;; amdgpu-corpus repo=ROCm/hipCUB kind=compiled arch=gfx906 opt=O3
	.amdgcn_target "amdgcn-amd-amdhsa--gfx906"
	.amdhsa_code_object_version 6
	.section	.text._Z16sort_keys_kernelI22helper_blocked_blockediLj64ELj1ELj10EEvPKT0_PS1_,"axG",@progbits,_Z16sort_keys_kernelI22helper_blocked_blockediLj64ELj1ELj10EEvPKT0_PS1_,comdat
	.protected	_Z16sort_keys_kernelI22helper_blocked_blockediLj64ELj1ELj10EEvPKT0_PS1_ ; -- Begin function _Z16sort_keys_kernelI22helper_blocked_blockediLj64ELj1ELj10EEvPKT0_PS1_
	.globl	_Z16sort_keys_kernelI22helper_blocked_blockediLj64ELj1ELj10EEvPKT0_PS1_
	.p2align	8
	.type	_Z16sort_keys_kernelI22helper_blocked_blockediLj64ELj1ELj10EEvPKT0_PS1_,@function
_Z16sort_keys_kernelI22helper_blocked_blockediLj64ELj1ELj10EEvPKT0_PS1_: ; @_Z16sort_keys_kernelI22helper_blocked_blockediLj64ELj1ELj10EEvPKT0_PS1_
; %bb.0:
	s_load_dwordx4 s[16:19], s[4:5], 0x0
	s_load_dword s2, s[4:5], 0x1c
	s_lshl_b32 s0, s6, 6
	s_mov_b32 s1, 0
	s_lshl_b64 s[20:21], s[0:1], 2
	s_waitcnt lgkmcnt(0)
	s_add_u32 s0, s16, s20
	s_addc_u32 s1, s17, s21
	v_lshlrev_b32_e32 v3, 2, v0
	global_load_dword v19, v3, s[0:1]
	s_lshr_b32 s0, s2, 16
	v_mad_u32_u24 v1, v2, s0, v1
	v_mbcnt_lo_u32_b32 v2, -1, 0
	v_mbcnt_hi_u32_b32 v2, -1, v2
	s_and_b32 s1, s2, 0xffff
	v_and_b32_e32 v4, 15, v2
	v_mad_u32_u24 v1, v1, s1, v0
	v_cmp_eq_u32_e32 vcc, 0, v4
	v_cmp_lt_u32_e64 s[0:1], 1, v4
	v_cmp_lt_u32_e64 s[2:3], 3, v4
	;; [unrolled: 1-line block ×3, first 2 shown]
	v_and_b32_e32 v4, 16, v2
	v_cmp_eq_u32_e64 s[6:7], 0, v4
	v_subrev_co_u32_e64 v4, s[12:13], 1, v2
	v_and_b32_e32 v5, 64, v2
	v_cmp_lt_i32_e64 s[14:15], v4, v5
	v_lshrrev_b32_e32 v1, 4, v1
	v_lshlrev_b32_e32 v6, 4, v0
	v_cndmask_b32_e64 v4, v4, v2, s[14:15]
	v_cmp_eq_u32_e64 s[14:15], 0, v0
	v_and_b32_e32 v9, 0xffffffc, v1
	v_mul_i32_i24_e32 v1, -12, v0
	v_mov_b32_e32 v3, 0
	v_cmp_lt_u32_e64 s[8:9], 31, v2
	v_cmp_eq_u32_e64 s[10:11], 63, v0
	v_lshlrev_b32_e32 v7, 2, v4
	s_or_b64 s[16:17], s[14:15], s[12:13]
	v_lshlrev_b32_e32 v8, 2, v2
	s_mov_b32 s22, 10
	s_movk_i32 s23, 0xff
	v_add_u32_e32 v10, v6, v1
	v_mov_b32_e32 v11, 1
	v_mov_b32_e32 v12, 30
	;; [unrolled: 1-line block ×8, first 2 shown]
	s_branch .LBB0_2
.LBB0_1:                                ;   in Loop: Header=BB0_2 Depth=1
	s_or_b64 exec, exec, s[12:13]
	ds_bpermute_b32 v2, v7, v2
	s_waitcnt lgkmcnt(0)
	; wave barrier
	s_add_i32 s22, s22, -1
	s_cmp_eq_u32 s22, 0
	v_cndmask_b32_e64 v2, v2, 0, s[16:17]
	v_add_u32_e32 v4, v2, v4
	v_add_u32_e32 v5, v4, v5
	;; [unrolled: 1-line block ×3, first 2 shown]
	ds_write2_b32 v6, v2, v4 offset0:1 offset1:2
	ds_write2_b32 v6, v5, v1 offset0:3 offset1:4
	s_waitcnt lgkmcnt(0)
	; wave barrier
	ds_read_b32 v1, v20 offset:4
	v_lshlrev_b32_e32 v2, 2, v21
	s_waitcnt lgkmcnt(0)
	; wave barrier
	v_lshl_add_u32 v1, v1, 2, v2
	ds_write_b32 v1, v19
	s_waitcnt lgkmcnt(0)
	; wave barrier
	ds_read_b32 v1, v10
	s_waitcnt lgkmcnt(0)
	v_xor_b32_e32 v19, 0x80000000, v1
	s_cbranch_scc1 .LBB0_18
.LBB0_2:                                ; =>This Inner Loop Header: Depth=1
	s_waitcnt vmcnt(0)
	v_and_b32_e32 v1, 0xff, v19
	v_lshl_add_u32 v20, v1, 2, v9
	v_and_b32_e32 v1, 1, v19
	v_add_co_u32_e64 v2, s[12:13], -1, v1
	v_addc_co_u32_e64 v4, s[12:13], 0, -1, s[12:13]
	v_cmp_ne_u32_e64 s[12:13], 0, v1
	v_xor_b32_e32 v1, s13, v4
	v_lshlrev_b32_e32 v4, 30, v19
	v_xor_b32_e32 v2, s12, v2
	v_cmp_gt_i64_e64 s[12:13], 0, v[3:4]
	v_not_b32_e32 v4, v4
	v_ashrrev_i32_e32 v4, 31, v4
	v_and_b32_e32 v2, exec_lo, v2
	v_xor_b32_e32 v5, s13, v4
	v_xor_b32_e32 v4, s12, v4
	v_and_b32_e32 v2, v2, v4
	v_lshlrev_b32_e32 v4, 29, v19
	v_cmp_gt_i64_e64 s[12:13], 0, v[3:4]
	v_not_b32_e32 v4, v4
	v_and_b32_e32 v1, exec_hi, v1
	v_ashrrev_i32_e32 v4, 31, v4
	v_and_b32_e32 v1, v1, v5
	v_xor_b32_e32 v5, s13, v4
	v_xor_b32_e32 v4, s12, v4
	v_and_b32_e32 v2, v2, v4
	v_lshlrev_b32_e32 v4, 28, v19
	v_cmp_gt_i64_e64 s[12:13], 0, v[3:4]
	v_not_b32_e32 v4, v4
	v_ashrrev_i32_e32 v4, 31, v4
	v_and_b32_e32 v1, v1, v5
	v_xor_b32_e32 v5, s13, v4
	v_xor_b32_e32 v4, s12, v4
	v_and_b32_e32 v2, v2, v4
	v_lshlrev_b32_e32 v4, 27, v19
	v_cmp_gt_i64_e64 s[12:13], 0, v[3:4]
	v_not_b32_e32 v4, v4
	;; [unrolled: 8-line block ×4, first 2 shown]
	v_ashrrev_i32_e32 v4, 31, v4
	v_and_b32_e32 v1, v1, v5
	v_xor_b32_e32 v5, s13, v4
	v_xor_b32_e32 v4, s12, v4
	v_and_b32_e32 v1, v1, v5
	v_and_b32_e32 v5, v2, v4
	v_lshlrev_b32_e32 v4, 24, v19
	v_cmp_gt_i64_e64 s[12:13], 0, v[3:4]
	v_not_b32_e32 v2, v4
	v_ashrrev_i32_e32 v2, 31, v2
	v_xor_b32_e32 v4, s13, v2
	v_xor_b32_e32 v21, s12, v2
	v_and_b32_e32 v2, v1, v4
	v_and_b32_e32 v1, v5, v21
	v_mbcnt_lo_u32_b32 v4, v1, 0
	v_mbcnt_hi_u32_b32 v21, v2, v4
	v_cmp_ne_u64_e64 s[12:13], 0, v[1:2]
	v_cmp_eq_u32_e64 s[14:15], 0, v21
	s_and_b64 s[14:15], s[12:13], s[14:15]
	ds_write2_b32 v6, v3, v3 offset0:1 offset1:2
	ds_write2_b32 v6, v3, v3 offset0:3 offset1:4
	s_waitcnt lgkmcnt(0)
	; wave barrier
	; wave barrier
	s_and_saveexec_b64 s[12:13], s[14:15]
; %bb.3:                                ;   in Loop: Header=BB0_2 Depth=1
	v_bcnt_u32_b32 v1, v1, 0
	v_bcnt_u32_b32 v1, v2, v1
	ds_write_b32 v20, v1 offset:4
; %bb.4:                                ;   in Loop: Header=BB0_2 Depth=1
	s_or_b64 exec, exec, s[12:13]
	; wave barrier
	s_waitcnt lgkmcnt(0)
	; wave barrier
	ds_read2_b32 v[4:5], v6 offset0:1 offset1:2
	ds_read2_b32 v[1:2], v6 offset0:3 offset1:4
	s_waitcnt lgkmcnt(1)
	v_add_u32_e32 v22, v5, v4
	s_waitcnt lgkmcnt(0)
	v_add3_u32 v2, v22, v1, v2
	s_nop 1
	v_mov_b32_dpp v22, v2 row_shr:1 row_mask:0xf bank_mask:0xf
	v_cndmask_b32_e64 v22, v22, 0, vcc
	v_add_u32_e32 v2, v22, v2
	s_nop 1
	v_mov_b32_dpp v22, v2 row_shr:2 row_mask:0xf bank_mask:0xf
	v_cndmask_b32_e64 v22, 0, v22, s[0:1]
	v_add_u32_e32 v2, v2, v22
	s_nop 1
	v_mov_b32_dpp v22, v2 row_shr:4 row_mask:0xf bank_mask:0xf
	v_cndmask_b32_e64 v22, 0, v22, s[2:3]
	;; [unrolled: 4-line block ×3, first 2 shown]
	v_add_u32_e32 v2, v2, v22
	s_nop 1
	v_mov_b32_dpp v22, v2 row_bcast:15 row_mask:0xf bank_mask:0xf
	v_cndmask_b32_e64 v22, v22, 0, s[6:7]
	v_add_u32_e32 v2, v2, v22
	s_nop 1
	v_mov_b32_dpp v22, v2 row_bcast:31 row_mask:0xf bank_mask:0xf
	v_cndmask_b32_e64 v22, 0, v22, s[8:9]
	v_add_u32_e32 v2, v2, v22
	s_and_saveexec_b64 s[12:13], s[10:11]
; %bb.5:                                ;   in Loop: Header=BB0_2 Depth=1
	ds_write_b32 v3, v2
; %bb.6:                                ;   in Loop: Header=BB0_2 Depth=1
	s_or_b64 exec, exec, s[12:13]
	ds_bpermute_b32 v2, v7, v2
	s_waitcnt lgkmcnt(0)
	; wave barrier
	v_cndmask_b32_e64 v2, v2, 0, s[16:17]
	v_add_u32_e32 v4, v2, v4
	v_add_u32_e32 v5, v4, v5
	;; [unrolled: 1-line block ×3, first 2 shown]
	ds_write2_b32 v6, v2, v4 offset0:1 offset1:2
	ds_write2_b32 v6, v5, v1 offset0:3 offset1:4
	s_waitcnt lgkmcnt(0)
	; wave barrier
	ds_read_b32 v1, v20 offset:4
	v_lshlrev_b32_e32 v4, 2, v21
	v_xor_b32_e32 v2, 0x80000000, v19
	s_waitcnt lgkmcnt(0)
	; wave barrier
	v_lshl_add_u32 v1, v1, 2, v4
	ds_write_b32 v1, v2
	s_waitcnt lgkmcnt(0)
	; wave barrier
	ds_read_b32 v19, v8
	s_waitcnt lgkmcnt(0)
	; wave barrier
	ds_write2_b32 v6, v3, v3 offset0:1 offset1:2
	ds_write2_b32 v6, v3, v3 offset0:3 offset1:4
	s_waitcnt lgkmcnt(0)
	v_lshrrev_b32_e32 v1, 8, v19
	v_and_b32_e32 v2, 0xff, v1
	v_lshl_add_u32 v20, v2, 2, v9
	v_and_b32_e32 v2, 1, v1
	v_add_co_u32_e64 v4, s[12:13], -1, v2
	v_addc_co_u32_e64 v5, s[12:13], 0, -1, s[12:13]
	v_cmp_ne_u32_e64 s[12:13], 0, v2
	v_xor_b32_e32 v4, s12, v4
	v_xor_b32_e32 v2, s13, v5
	v_and_b32_e32 v5, exec_lo, v4
	v_lshlrev_b32_e32 v4, 30, v1
	v_cmp_gt_i64_e64 s[12:13], 0, v[3:4]
	v_not_b32_e32 v4, v4
	v_ashrrev_i32_e32 v4, 31, v4
	v_xor_b32_e32 v21, s13, v4
	v_xor_b32_e32 v4, s12, v4
	v_and_b32_e32 v5, v5, v4
	v_lshlrev_b32_e32 v4, 29, v1
	v_cmp_gt_i64_e64 s[12:13], 0, v[3:4]
	v_not_b32_e32 v4, v4
	v_and_b32_e32 v2, exec_hi, v2
	v_ashrrev_i32_e32 v4, 31, v4
	v_and_b32_e32 v2, v2, v21
	v_xor_b32_e32 v21, s13, v4
	v_xor_b32_e32 v4, s12, v4
	v_and_b32_e32 v5, v5, v4
	v_lshlrev_b32_e32 v4, 28, v1
	v_cmp_gt_i64_e64 s[12:13], 0, v[3:4]
	v_not_b32_e32 v4, v4
	v_ashrrev_i32_e32 v4, 31, v4
	v_and_b32_e32 v2, v2, v21
	v_xor_b32_e32 v21, s13, v4
	v_xor_b32_e32 v4, s12, v4
	v_and_b32_e32 v5, v5, v4
	v_lshlrev_b32_e32 v4, 27, v1
	v_cmp_gt_i64_e64 s[12:13], 0, v[3:4]
	v_not_b32_e32 v4, v4
	;; [unrolled: 8-line block ×5, first 2 shown]
	v_ashrrev_i32_e32 v1, 31, v1
	v_xor_b32_e32 v4, s13, v1
	v_xor_b32_e32 v1, s12, v1
	v_and_b32_e32 v2, v2, v21
	v_and_b32_e32 v1, v5, v1
	;; [unrolled: 1-line block ×3, first 2 shown]
	v_mbcnt_lo_u32_b32 v4, v1, 0
	v_mbcnt_hi_u32_b32 v21, v2, v4
	v_cmp_ne_u64_e64 s[12:13], 0, v[1:2]
	v_cmp_eq_u32_e64 s[14:15], 0, v21
	s_and_b64 s[14:15], s[12:13], s[14:15]
	; wave barrier
	; wave barrier
	s_and_saveexec_b64 s[12:13], s[14:15]
; %bb.7:                                ;   in Loop: Header=BB0_2 Depth=1
	v_bcnt_u32_b32 v1, v1, 0
	v_bcnt_u32_b32 v1, v2, v1
	ds_write_b32 v20, v1 offset:4
; %bb.8:                                ;   in Loop: Header=BB0_2 Depth=1
	s_or_b64 exec, exec, s[12:13]
	; wave barrier
	s_waitcnt lgkmcnt(0)
	; wave barrier
	ds_read2_b32 v[4:5], v6 offset0:1 offset1:2
	ds_read2_b32 v[1:2], v6 offset0:3 offset1:4
	s_waitcnt lgkmcnt(1)
	v_add_u32_e32 v22, v5, v4
	s_waitcnt lgkmcnt(0)
	v_add3_u32 v2, v22, v1, v2
	s_nop 1
	v_mov_b32_dpp v22, v2 row_shr:1 row_mask:0xf bank_mask:0xf
	v_cndmask_b32_e64 v22, v22, 0, vcc
	v_add_u32_e32 v2, v22, v2
	s_nop 1
	v_mov_b32_dpp v22, v2 row_shr:2 row_mask:0xf bank_mask:0xf
	v_cndmask_b32_e64 v22, 0, v22, s[0:1]
	v_add_u32_e32 v2, v2, v22
	s_nop 1
	v_mov_b32_dpp v22, v2 row_shr:4 row_mask:0xf bank_mask:0xf
	v_cndmask_b32_e64 v22, 0, v22, s[2:3]
	;; [unrolled: 4-line block ×3, first 2 shown]
	v_add_u32_e32 v2, v2, v22
	s_nop 1
	v_mov_b32_dpp v22, v2 row_bcast:15 row_mask:0xf bank_mask:0xf
	v_cndmask_b32_e64 v22, v22, 0, s[6:7]
	v_add_u32_e32 v2, v2, v22
	s_nop 1
	v_mov_b32_dpp v22, v2 row_bcast:31 row_mask:0xf bank_mask:0xf
	v_cndmask_b32_e64 v22, 0, v22, s[8:9]
	v_add_u32_e32 v2, v2, v22
	s_and_saveexec_b64 s[12:13], s[10:11]
; %bb.9:                                ;   in Loop: Header=BB0_2 Depth=1
	ds_write_b32 v3, v2
; %bb.10:                               ;   in Loop: Header=BB0_2 Depth=1
	s_or_b64 exec, exec, s[12:13]
	ds_bpermute_b32 v2, v7, v2
	s_waitcnt lgkmcnt(0)
	; wave barrier
	v_cndmask_b32_e64 v2, v2, 0, s[16:17]
	v_add_u32_e32 v4, v2, v4
	v_add_u32_e32 v5, v4, v5
	;; [unrolled: 1-line block ×3, first 2 shown]
	ds_write2_b32 v6, v2, v4 offset0:1 offset1:2
	ds_write2_b32 v6, v5, v1 offset0:3 offset1:4
	s_waitcnt lgkmcnt(0)
	; wave barrier
	ds_read_b32 v1, v20 offset:4
	v_lshlrev_b32_e32 v2, 2, v21
	s_waitcnt lgkmcnt(0)
	; wave barrier
	v_lshl_add_u32 v1, v1, 2, v2
	ds_write_b32 v1, v19
	s_waitcnt lgkmcnt(0)
	; wave barrier
	ds_read_b32 v19, v8
	s_waitcnt lgkmcnt(0)
	; wave barrier
	ds_write2_b32 v6, v3, v3 offset0:1 offset1:2
	ds_write2_b32 v6, v3, v3 offset0:3 offset1:4
	s_waitcnt lgkmcnt(0)
	v_and_b32_sdwa v1, v19, s23 dst_sel:DWORD dst_unused:UNUSED_PAD src0_sel:WORD_1 src1_sel:DWORD
	v_lshl_add_u32 v20, v1, 2, v9
	v_and_b32_sdwa v1, v19, v11 dst_sel:DWORD dst_unused:UNUSED_PAD src0_sel:WORD_1 src1_sel:DWORD
	v_add_co_u32_e64 v2, s[12:13], -1, v1
	v_addc_co_u32_e64 v4, s[12:13], 0, -1, s[12:13]
	v_cmp_ne_u32_e64 s[12:13], 0, v1
	v_xor_b32_e32 v1, s13, v4
	v_lshlrev_b32_sdwa v4, v12, v19 dst_sel:DWORD dst_unused:UNUSED_PAD src0_sel:DWORD src1_sel:WORD_1
	v_xor_b32_e32 v2, s12, v2
	v_cmp_gt_i64_e64 s[12:13], 0, v[3:4]
	v_not_b32_e32 v4, v4
	v_ashrrev_i32_e32 v4, 31, v4
	v_and_b32_e32 v2, exec_lo, v2
	v_xor_b32_e32 v5, s13, v4
	v_xor_b32_e32 v4, s12, v4
	v_and_b32_e32 v2, v2, v4
	v_lshlrev_b32_sdwa v4, v13, v19 dst_sel:DWORD dst_unused:UNUSED_PAD src0_sel:DWORD src1_sel:WORD_1
	v_cmp_gt_i64_e64 s[12:13], 0, v[3:4]
	v_not_b32_e32 v4, v4
	v_and_b32_e32 v1, exec_hi, v1
	v_ashrrev_i32_e32 v4, 31, v4
	v_and_b32_e32 v1, v1, v5
	v_xor_b32_e32 v5, s13, v4
	v_xor_b32_e32 v4, s12, v4
	v_and_b32_e32 v2, v2, v4
	v_lshlrev_b32_sdwa v4, v14, v19 dst_sel:DWORD dst_unused:UNUSED_PAD src0_sel:DWORD src1_sel:WORD_1
	v_cmp_gt_i64_e64 s[12:13], 0, v[3:4]
	v_not_b32_e32 v4, v4
	v_ashrrev_i32_e32 v4, 31, v4
	v_and_b32_e32 v1, v1, v5
	v_xor_b32_e32 v5, s13, v4
	v_xor_b32_e32 v4, s12, v4
	v_and_b32_e32 v2, v2, v4
	v_lshlrev_b32_sdwa v4, v15, v19 dst_sel:DWORD dst_unused:UNUSED_PAD src0_sel:DWORD src1_sel:WORD_1
	v_cmp_gt_i64_e64 s[12:13], 0, v[3:4]
	v_not_b32_e32 v4, v4
	;; [unrolled: 8-line block ×4, first 2 shown]
	v_ashrrev_i32_e32 v4, 31, v4
	v_and_b32_e32 v1, v1, v5
	v_xor_b32_e32 v5, s13, v4
	v_xor_b32_e32 v4, s12, v4
	v_and_b32_e32 v1, v1, v5
	v_and_b32_e32 v5, v2, v4
	v_lshlrev_b32_sdwa v4, v18, v19 dst_sel:DWORD dst_unused:UNUSED_PAD src0_sel:DWORD src1_sel:WORD_1
	v_cmp_gt_i64_e64 s[12:13], 0, v[3:4]
	v_not_b32_e32 v2, v4
	v_ashrrev_i32_e32 v2, 31, v2
	v_xor_b32_e32 v4, s13, v2
	v_xor_b32_e32 v21, s12, v2
	v_and_b32_e32 v2, v1, v4
	v_and_b32_e32 v1, v5, v21
	v_mbcnt_lo_u32_b32 v4, v1, 0
	v_mbcnt_hi_u32_b32 v21, v2, v4
	v_cmp_ne_u64_e64 s[12:13], 0, v[1:2]
	v_cmp_eq_u32_e64 s[14:15], 0, v21
	s_and_b64 s[14:15], s[12:13], s[14:15]
	; wave barrier
	; wave barrier
	s_and_saveexec_b64 s[12:13], s[14:15]
; %bb.11:                               ;   in Loop: Header=BB0_2 Depth=1
	v_bcnt_u32_b32 v1, v1, 0
	v_bcnt_u32_b32 v1, v2, v1
	ds_write_b32 v20, v1 offset:4
; %bb.12:                               ;   in Loop: Header=BB0_2 Depth=1
	s_or_b64 exec, exec, s[12:13]
	; wave barrier
	s_waitcnt lgkmcnt(0)
	; wave barrier
	ds_read2_b32 v[4:5], v6 offset0:1 offset1:2
	ds_read2_b32 v[1:2], v6 offset0:3 offset1:4
	s_waitcnt lgkmcnt(1)
	v_add_u32_e32 v22, v5, v4
	s_waitcnt lgkmcnt(0)
	v_add3_u32 v2, v22, v1, v2
	s_nop 1
	v_mov_b32_dpp v22, v2 row_shr:1 row_mask:0xf bank_mask:0xf
	v_cndmask_b32_e64 v22, v22, 0, vcc
	v_add_u32_e32 v2, v22, v2
	s_nop 1
	v_mov_b32_dpp v22, v2 row_shr:2 row_mask:0xf bank_mask:0xf
	v_cndmask_b32_e64 v22, 0, v22, s[0:1]
	v_add_u32_e32 v2, v2, v22
	s_nop 1
	v_mov_b32_dpp v22, v2 row_shr:4 row_mask:0xf bank_mask:0xf
	v_cndmask_b32_e64 v22, 0, v22, s[2:3]
	;; [unrolled: 4-line block ×3, first 2 shown]
	v_add_u32_e32 v2, v2, v22
	s_nop 1
	v_mov_b32_dpp v22, v2 row_bcast:15 row_mask:0xf bank_mask:0xf
	v_cndmask_b32_e64 v22, v22, 0, s[6:7]
	v_add_u32_e32 v2, v2, v22
	s_nop 1
	v_mov_b32_dpp v22, v2 row_bcast:31 row_mask:0xf bank_mask:0xf
	v_cndmask_b32_e64 v22, 0, v22, s[8:9]
	v_add_u32_e32 v2, v2, v22
	s_and_saveexec_b64 s[12:13], s[10:11]
; %bb.13:                               ;   in Loop: Header=BB0_2 Depth=1
	ds_write_b32 v3, v2
; %bb.14:                               ;   in Loop: Header=BB0_2 Depth=1
	s_or_b64 exec, exec, s[12:13]
	ds_bpermute_b32 v2, v7, v2
	s_waitcnt lgkmcnt(0)
	; wave barrier
	v_cndmask_b32_e64 v2, v2, 0, s[16:17]
	v_add_u32_e32 v4, v2, v4
	v_add_u32_e32 v5, v4, v5
	;; [unrolled: 1-line block ×3, first 2 shown]
	ds_write2_b32 v6, v2, v4 offset0:1 offset1:2
	ds_write2_b32 v6, v5, v1 offset0:3 offset1:4
	s_waitcnt lgkmcnt(0)
	; wave barrier
	ds_read_b32 v1, v20 offset:4
	v_lshlrev_b32_e32 v2, 2, v21
	s_waitcnt lgkmcnt(0)
	; wave barrier
	v_lshl_add_u32 v1, v1, 2, v2
	ds_write_b32 v1, v19
	s_waitcnt lgkmcnt(0)
	; wave barrier
	ds_read_b32 v19, v8
	s_waitcnt lgkmcnt(0)
	; wave barrier
	ds_write2_b32 v6, v3, v3 offset0:1 offset1:2
	ds_write2_b32 v6, v3, v3 offset0:3 offset1:4
	s_waitcnt lgkmcnt(0)
	v_lshrrev_b32_e32 v1, 24, v19
	v_and_b32_e32 v2, 1, v1
	v_add_co_u32_e64 v4, s[12:13], -1, v2
	v_addc_co_u32_e64 v5, s[12:13], 0, -1, s[12:13]
	v_cmp_ne_u32_e64 s[12:13], 0, v2
	v_xor_b32_e32 v4, s12, v4
	v_xor_b32_e32 v2, s13, v5
	v_and_b32_e32 v5, exec_lo, v4
	v_lshlrev_b32_e32 v4, 30, v1
	v_cmp_gt_i64_e64 s[12:13], 0, v[3:4]
	v_not_b32_e32 v4, v4
	v_ashrrev_i32_e32 v4, 31, v4
	v_xor_b32_e32 v21, s13, v4
	v_xor_b32_e32 v4, s12, v4
	v_and_b32_e32 v5, v5, v4
	v_lshlrev_b32_e32 v4, 29, v1
	v_cmp_gt_i64_e64 s[12:13], 0, v[3:4]
	v_not_b32_e32 v4, v4
	v_and_b32_e32 v2, exec_hi, v2
	v_ashrrev_i32_e32 v4, 31, v4
	v_and_b32_e32 v2, v2, v21
	v_xor_b32_e32 v21, s13, v4
	v_xor_b32_e32 v4, s12, v4
	v_and_b32_e32 v5, v5, v4
	v_lshlrev_b32_e32 v4, 28, v1
	v_cmp_gt_i64_e64 s[12:13], 0, v[3:4]
	v_not_b32_e32 v4, v4
	v_ashrrev_i32_e32 v4, 31, v4
	v_and_b32_e32 v2, v2, v21
	v_xor_b32_e32 v21, s13, v4
	v_xor_b32_e32 v4, s12, v4
	v_and_b32_e32 v5, v5, v4
	v_lshlrev_b32_e32 v4, 27, v1
	v_cmp_gt_i64_e64 s[12:13], 0, v[3:4]
	v_not_b32_e32 v4, v4
	;; [unrolled: 8-line block ×4, first 2 shown]
	v_ashrrev_i32_e32 v4, 31, v4
	v_and_b32_e32 v2, v2, v21
	v_xor_b32_e32 v21, s13, v4
	v_xor_b32_e32 v4, s12, v4
	v_and_b32_e32 v5, v5, v4
	v_lshlrev_b32_e32 v4, 24, v1
	v_lshl_add_u32 v20, v1, 2, v9
	v_cmp_gt_i64_e64 s[12:13], 0, v[3:4]
	v_not_b32_e32 v1, v4
	v_ashrrev_i32_e32 v1, 31, v1
	v_xor_b32_e32 v4, s13, v1
	v_xor_b32_e32 v1, s12, v1
	v_and_b32_e32 v2, v2, v21
	v_and_b32_e32 v1, v5, v1
	;; [unrolled: 1-line block ×3, first 2 shown]
	v_mbcnt_lo_u32_b32 v4, v1, 0
	v_mbcnt_hi_u32_b32 v21, v2, v4
	v_cmp_ne_u64_e64 s[12:13], 0, v[1:2]
	v_cmp_eq_u32_e64 s[14:15], 0, v21
	s_and_b64 s[14:15], s[12:13], s[14:15]
	; wave barrier
	; wave barrier
	s_and_saveexec_b64 s[12:13], s[14:15]
; %bb.15:                               ;   in Loop: Header=BB0_2 Depth=1
	v_bcnt_u32_b32 v1, v1, 0
	v_bcnt_u32_b32 v1, v2, v1
	ds_write_b32 v20, v1 offset:4
; %bb.16:                               ;   in Loop: Header=BB0_2 Depth=1
	s_or_b64 exec, exec, s[12:13]
	; wave barrier
	s_waitcnt lgkmcnt(0)
	; wave barrier
	ds_read2_b32 v[4:5], v6 offset0:1 offset1:2
	ds_read2_b32 v[1:2], v6 offset0:3 offset1:4
	s_waitcnt lgkmcnt(1)
	v_add_u32_e32 v22, v5, v4
	s_waitcnt lgkmcnt(0)
	v_add3_u32 v2, v22, v1, v2
	s_nop 1
	v_mov_b32_dpp v22, v2 row_shr:1 row_mask:0xf bank_mask:0xf
	v_cndmask_b32_e64 v22, v22, 0, vcc
	v_add_u32_e32 v2, v22, v2
	s_nop 1
	v_mov_b32_dpp v22, v2 row_shr:2 row_mask:0xf bank_mask:0xf
	v_cndmask_b32_e64 v22, 0, v22, s[0:1]
	v_add_u32_e32 v2, v2, v22
	s_nop 1
	v_mov_b32_dpp v22, v2 row_shr:4 row_mask:0xf bank_mask:0xf
	v_cndmask_b32_e64 v22, 0, v22, s[2:3]
	;; [unrolled: 4-line block ×3, first 2 shown]
	v_add_u32_e32 v2, v2, v22
	s_nop 1
	v_mov_b32_dpp v22, v2 row_bcast:15 row_mask:0xf bank_mask:0xf
	v_cndmask_b32_e64 v22, v22, 0, s[6:7]
	v_add_u32_e32 v2, v2, v22
	s_nop 1
	v_mov_b32_dpp v22, v2 row_bcast:31 row_mask:0xf bank_mask:0xf
	v_cndmask_b32_e64 v22, 0, v22, s[8:9]
	v_add_u32_e32 v2, v2, v22
	s_and_saveexec_b64 s[12:13], s[10:11]
	s_cbranch_execz .LBB0_1
; %bb.17:                               ;   in Loop: Header=BB0_2 Depth=1
	ds_write_b32 v3, v2
	s_branch .LBB0_1
.LBB0_18:
	s_add_u32 s0, s18, s20
	s_addc_u32 s1, s19, s21
	v_lshlrev_b32_e32 v0, 2, v0
	global_store_dword v0, v19, s[0:1]
	s_endpgm
	.section	.rodata,"a",@progbits
	.p2align	6, 0x0
	.amdhsa_kernel _Z16sort_keys_kernelI22helper_blocked_blockediLj64ELj1ELj10EEvPKT0_PS1_
		.amdhsa_group_segment_fixed_size 1040
		.amdhsa_private_segment_fixed_size 0
		.amdhsa_kernarg_size 272
		.amdhsa_user_sgpr_count 6
		.amdhsa_user_sgpr_private_segment_buffer 1
		.amdhsa_user_sgpr_dispatch_ptr 0
		.amdhsa_user_sgpr_queue_ptr 0
		.amdhsa_user_sgpr_kernarg_segment_ptr 1
		.amdhsa_user_sgpr_dispatch_id 0
		.amdhsa_user_sgpr_flat_scratch_init 0
		.amdhsa_user_sgpr_private_segment_size 0
		.amdhsa_uses_dynamic_stack 0
		.amdhsa_system_sgpr_private_segment_wavefront_offset 0
		.amdhsa_system_sgpr_workgroup_id_x 1
		.amdhsa_system_sgpr_workgroup_id_y 0
		.amdhsa_system_sgpr_workgroup_id_z 0
		.amdhsa_system_sgpr_workgroup_info 0
		.amdhsa_system_vgpr_workitem_id 2
		.amdhsa_next_free_vgpr 23
		.amdhsa_next_free_sgpr 24
		.amdhsa_reserve_vcc 1
		.amdhsa_reserve_flat_scratch 0
		.amdhsa_float_round_mode_32 0
		.amdhsa_float_round_mode_16_64 0
		.amdhsa_float_denorm_mode_32 3
		.amdhsa_float_denorm_mode_16_64 3
		.amdhsa_dx10_clamp 1
		.amdhsa_ieee_mode 1
		.amdhsa_fp16_overflow 0
		.amdhsa_exception_fp_ieee_invalid_op 0
		.amdhsa_exception_fp_denorm_src 0
		.amdhsa_exception_fp_ieee_div_zero 0
		.amdhsa_exception_fp_ieee_overflow 0
		.amdhsa_exception_fp_ieee_underflow 0
		.amdhsa_exception_fp_ieee_inexact 0
		.amdhsa_exception_int_div_zero 0
	.end_amdhsa_kernel
	.section	.text._Z16sort_keys_kernelI22helper_blocked_blockediLj64ELj1ELj10EEvPKT0_PS1_,"axG",@progbits,_Z16sort_keys_kernelI22helper_blocked_blockediLj64ELj1ELj10EEvPKT0_PS1_,comdat
.Lfunc_end0:
	.size	_Z16sort_keys_kernelI22helper_blocked_blockediLj64ELj1ELj10EEvPKT0_PS1_, .Lfunc_end0-_Z16sort_keys_kernelI22helper_blocked_blockediLj64ELj1ELj10EEvPKT0_PS1_
                                        ; -- End function
	.set _Z16sort_keys_kernelI22helper_blocked_blockediLj64ELj1ELj10EEvPKT0_PS1_.num_vgpr, 23
	.set _Z16sort_keys_kernelI22helper_blocked_blockediLj64ELj1ELj10EEvPKT0_PS1_.num_agpr, 0
	.set _Z16sort_keys_kernelI22helper_blocked_blockediLj64ELj1ELj10EEvPKT0_PS1_.numbered_sgpr, 24
	.set _Z16sort_keys_kernelI22helper_blocked_blockediLj64ELj1ELj10EEvPKT0_PS1_.num_named_barrier, 0
	.set _Z16sort_keys_kernelI22helper_blocked_blockediLj64ELj1ELj10EEvPKT0_PS1_.private_seg_size, 0
	.set _Z16sort_keys_kernelI22helper_blocked_blockediLj64ELj1ELj10EEvPKT0_PS1_.uses_vcc, 1
	.set _Z16sort_keys_kernelI22helper_blocked_blockediLj64ELj1ELj10EEvPKT0_PS1_.uses_flat_scratch, 0
	.set _Z16sort_keys_kernelI22helper_blocked_blockediLj64ELj1ELj10EEvPKT0_PS1_.has_dyn_sized_stack, 0
	.set _Z16sort_keys_kernelI22helper_blocked_blockediLj64ELj1ELj10EEvPKT0_PS1_.has_recursion, 0
	.set _Z16sort_keys_kernelI22helper_blocked_blockediLj64ELj1ELj10EEvPKT0_PS1_.has_indirect_call, 0
	.section	.AMDGPU.csdata,"",@progbits
; Kernel info:
; codeLenInByte = 3172
; TotalNumSgprs: 28
; NumVgprs: 23
; ScratchSize: 0
; MemoryBound: 0
; FloatMode: 240
; IeeeMode: 1
; LDSByteSize: 1040 bytes/workgroup (compile time only)
; SGPRBlocks: 3
; VGPRBlocks: 5
; NumSGPRsForWavesPerEU: 28
; NumVGPRsForWavesPerEU: 23
; Occupancy: 10
; WaveLimiterHint : 0
; COMPUTE_PGM_RSRC2:SCRATCH_EN: 0
; COMPUTE_PGM_RSRC2:USER_SGPR: 6
; COMPUTE_PGM_RSRC2:TRAP_HANDLER: 0
; COMPUTE_PGM_RSRC2:TGID_X_EN: 1
; COMPUTE_PGM_RSRC2:TGID_Y_EN: 0
; COMPUTE_PGM_RSRC2:TGID_Z_EN: 0
; COMPUTE_PGM_RSRC2:TIDIG_COMP_CNT: 2
	.section	.text._Z17sort_pairs_kernelI22helper_blocked_blockediLj64ELj1ELj10EEvPKT0_PS1_,"axG",@progbits,_Z17sort_pairs_kernelI22helper_blocked_blockediLj64ELj1ELj10EEvPKT0_PS1_,comdat
	.protected	_Z17sort_pairs_kernelI22helper_blocked_blockediLj64ELj1ELj10EEvPKT0_PS1_ ; -- Begin function _Z17sort_pairs_kernelI22helper_blocked_blockediLj64ELj1ELj10EEvPKT0_PS1_
	.globl	_Z17sort_pairs_kernelI22helper_blocked_blockediLj64ELj1ELj10EEvPKT0_PS1_
	.p2align	8
	.type	_Z17sort_pairs_kernelI22helper_blocked_blockediLj64ELj1ELj10EEvPKT0_PS1_,@function
_Z17sort_pairs_kernelI22helper_blocked_blockediLj64ELj1ELj10EEvPKT0_PS1_: ; @_Z17sort_pairs_kernelI22helper_blocked_blockediLj64ELj1ELj10EEvPKT0_PS1_
; %bb.0:
	s_load_dwordx4 s[16:19], s[4:5], 0x0
	s_load_dword s24, s[4:5], 0x1c
	s_lshl_b32 s0, s6, 6
	s_mov_b32 s1, 0
	s_lshl_b64 s[20:21], s[0:1], 2
	s_waitcnt lgkmcnt(0)
	s_add_u32 s0, s16, s20
	s_addc_u32 s1, s17, s21
	v_lshlrev_b32_e32 v3, 2, v0
	global_load_dword v4, v3, s[0:1]
	v_mbcnt_lo_u32_b32 v5, -1, 0
	v_mbcnt_hi_u32_b32 v5, -1, v5
	s_lshr_b32 s25, s24, 16
	v_subrev_co_u32_e64 v17, s[14:15], 1, v5
	v_and_b32_e32 v18, 64, v5
	s_and_b32 s24, s24, 0xffff
	v_mad_u32_u24 v1, v2, s25, v1
	v_cmp_lt_i32_e64 s[16:17], v17, v18
	v_mad_u32_u24 v1, v1, s24, v0
	v_lshlrev_b32_e32 v12, 4, v0
	v_cmp_eq_u32_e64 s[12:13], 0, v0
	v_mul_i32_i24_e32 v14, -12, v0
	v_and_b32_e32 v15, 15, v5
	v_and_b32_e32 v16, 16, v5
	v_cmp_lt_u32_e64 s[0:1], 31, v5
	v_lshlrev_b32_e32 v13, 2, v5
	v_cndmask_b32_e64 v5, v17, v5, s[16:17]
	v_lshrrev_b32_e32 v1, 4, v1
	v_mov_b32_e32 v3, 0
	s_mov_b32 s22, 10
	s_movk_i32 s23, 0xff
	v_mov_b32_e32 v6, 30
	v_mov_b32_e32 v7, 29
	;; [unrolled: 1-line block ×6, first 2 shown]
	v_cmp_eq_u32_e32 vcc, 63, v0
	v_add_u32_e32 v14, v12, v14
	v_cmp_eq_u32_e64 s[2:3], 0, v15
	v_cmp_lt_u32_e64 s[4:5], 1, v15
	v_cmp_lt_u32_e64 s[6:7], 3, v15
	;; [unrolled: 1-line block ×3, first 2 shown]
	v_cmp_eq_u32_e64 s[10:11], 0, v16
	v_lshlrev_b32_e32 v15, 2, v5
	s_or_b64 s[16:17], s[12:13], s[14:15]
	v_and_b32_e32 v16, 0xffffffc, v1
	v_mov_b32_e32 v17, 24
	s_waitcnt vmcnt(0)
	v_add_u32_e32 v18, 1, v4
	v_xor_b32_e32 v19, 0x80000000, v4
	s_branch .LBB1_2
.LBB1_1:                                ;   in Loop: Header=BB1_2 Depth=1
	s_or_b64 exec, exec, s[12:13]
	ds_bpermute_b32 v2, v15, v2
	s_waitcnt lgkmcnt(0)
	; wave barrier
	s_add_i32 s22, s22, -1
	s_cmp_eq_u32 s22, 0
	v_cndmask_b32_e64 v2, v2, 0, s[16:17]
	v_add_u32_e32 v4, v2, v4
	v_add_u32_e32 v5, v4, v5
	;; [unrolled: 1-line block ×3, first 2 shown]
	ds_write2_b32 v12, v2, v4 offset0:1 offset1:2
	ds_write2_b32 v12, v5, v1 offset0:3 offset1:4
	s_waitcnt lgkmcnt(0)
	; wave barrier
	ds_read_b32 v1, v20 offset:4
	v_lshlrev_b32_e32 v2, 2, v21
	s_waitcnt lgkmcnt(0)
	; wave barrier
	v_lshl_add_u32 v1, v1, 2, v2
	ds_write_b32 v1, v19
	s_waitcnt lgkmcnt(0)
	; wave barrier
	ds_read_b32 v19, v14
	s_waitcnt lgkmcnt(0)
	; wave barrier
	ds_write_b32 v1, v18
	s_waitcnt lgkmcnt(0)
	; wave barrier
	ds_read_b32 v18, v14
	s_cbranch_scc1 .LBB1_18
.LBB1_2:                                ; =>This Inner Loop Header: Depth=1
	v_and_b32_e32 v1, 0xff, v19
	v_lshl_add_u32 v20, v1, 2, v16
	v_and_b32_e32 v1, 1, v19
	v_add_co_u32_e64 v2, s[12:13], -1, v1
	v_addc_co_u32_e64 v4, s[12:13], 0, -1, s[12:13]
	v_cmp_ne_u32_e64 s[12:13], 0, v1
	v_xor_b32_e32 v1, s13, v4
	v_lshlrev_b32_e32 v4, 30, v19
	v_xor_b32_e32 v2, s12, v2
	v_cmp_gt_i64_e64 s[12:13], 0, v[3:4]
	v_not_b32_e32 v4, v4
	v_ashrrev_i32_e32 v4, 31, v4
	v_and_b32_e32 v2, exec_lo, v2
	v_xor_b32_e32 v5, s13, v4
	v_xor_b32_e32 v4, s12, v4
	v_and_b32_e32 v2, v2, v4
	v_lshlrev_b32_e32 v4, 29, v19
	v_cmp_gt_i64_e64 s[12:13], 0, v[3:4]
	v_not_b32_e32 v4, v4
	v_and_b32_e32 v1, exec_hi, v1
	v_ashrrev_i32_e32 v4, 31, v4
	v_and_b32_e32 v1, v1, v5
	v_xor_b32_e32 v5, s13, v4
	v_xor_b32_e32 v4, s12, v4
	v_and_b32_e32 v2, v2, v4
	v_lshlrev_b32_e32 v4, 28, v19
	v_cmp_gt_i64_e64 s[12:13], 0, v[3:4]
	v_not_b32_e32 v4, v4
	v_ashrrev_i32_e32 v4, 31, v4
	v_and_b32_e32 v1, v1, v5
	v_xor_b32_e32 v5, s13, v4
	v_xor_b32_e32 v4, s12, v4
	v_and_b32_e32 v2, v2, v4
	v_lshlrev_b32_e32 v4, 27, v19
	v_cmp_gt_i64_e64 s[12:13], 0, v[3:4]
	v_not_b32_e32 v4, v4
	;; [unrolled: 8-line block ×4, first 2 shown]
	v_ashrrev_i32_e32 v4, 31, v4
	v_and_b32_e32 v1, v1, v5
	v_xor_b32_e32 v5, s13, v4
	v_xor_b32_e32 v4, s12, v4
	v_and_b32_e32 v1, v1, v5
	v_and_b32_e32 v5, v2, v4
	v_lshlrev_b32_e32 v4, 24, v19
	v_cmp_gt_i64_e64 s[12:13], 0, v[3:4]
	v_not_b32_e32 v2, v4
	v_ashrrev_i32_e32 v2, 31, v2
	v_xor_b32_e32 v4, s13, v2
	v_xor_b32_e32 v21, s12, v2
	v_and_b32_e32 v2, v1, v4
	v_and_b32_e32 v1, v5, v21
	v_mbcnt_lo_u32_b32 v4, v1, 0
	v_mbcnt_hi_u32_b32 v21, v2, v4
	v_cmp_ne_u64_e64 s[12:13], 0, v[1:2]
	v_cmp_eq_u32_e64 s[14:15], 0, v21
	s_and_b64 s[14:15], s[12:13], s[14:15]
	ds_write2_b32 v12, v3, v3 offset0:1 offset1:2
	ds_write2_b32 v12, v3, v3 offset0:3 offset1:4
	s_waitcnt lgkmcnt(0)
	; wave barrier
	; wave barrier
	s_and_saveexec_b64 s[12:13], s[14:15]
; %bb.3:                                ;   in Loop: Header=BB1_2 Depth=1
	v_bcnt_u32_b32 v1, v1, 0
	v_bcnt_u32_b32 v1, v2, v1
	ds_write_b32 v20, v1 offset:4
; %bb.4:                                ;   in Loop: Header=BB1_2 Depth=1
	s_or_b64 exec, exec, s[12:13]
	; wave barrier
	s_waitcnt lgkmcnt(0)
	; wave barrier
	ds_read2_b32 v[4:5], v12 offset0:1 offset1:2
	ds_read2_b32 v[1:2], v12 offset0:3 offset1:4
	s_waitcnt lgkmcnt(1)
	v_add_u32_e32 v22, v5, v4
	s_waitcnt lgkmcnt(0)
	v_add3_u32 v2, v22, v1, v2
	s_nop 1
	v_mov_b32_dpp v22, v2 row_shr:1 row_mask:0xf bank_mask:0xf
	v_cndmask_b32_e64 v22, v22, 0, s[2:3]
	v_add_u32_e32 v2, v22, v2
	s_nop 1
	v_mov_b32_dpp v22, v2 row_shr:2 row_mask:0xf bank_mask:0xf
	v_cndmask_b32_e64 v22, 0, v22, s[4:5]
	v_add_u32_e32 v2, v2, v22
	;; [unrolled: 4-line block ×4, first 2 shown]
	s_nop 1
	v_mov_b32_dpp v22, v2 row_bcast:15 row_mask:0xf bank_mask:0xf
	v_cndmask_b32_e64 v22, v22, 0, s[10:11]
	v_add_u32_e32 v2, v2, v22
	s_nop 1
	v_mov_b32_dpp v22, v2 row_bcast:31 row_mask:0xf bank_mask:0xf
	v_cndmask_b32_e64 v22, 0, v22, s[0:1]
	v_add_u32_e32 v2, v2, v22
	s_and_saveexec_b64 s[12:13], vcc
; %bb.5:                                ;   in Loop: Header=BB1_2 Depth=1
	ds_write_b32 v3, v2
; %bb.6:                                ;   in Loop: Header=BB1_2 Depth=1
	s_or_b64 exec, exec, s[12:13]
	ds_bpermute_b32 v2, v15, v2
	s_waitcnt lgkmcnt(0)
	; wave barrier
	v_cndmask_b32_e64 v2, v2, 0, s[16:17]
	v_add_u32_e32 v4, v2, v4
	v_add_u32_e32 v5, v4, v5
	;; [unrolled: 1-line block ×3, first 2 shown]
	ds_write2_b32 v12, v2, v4 offset0:1 offset1:2
	ds_write2_b32 v12, v5, v1 offset0:3 offset1:4
	s_waitcnt lgkmcnt(0)
	; wave barrier
	ds_read_b32 v1, v20 offset:4
	v_lshlrev_b32_e32 v2, 2, v21
	s_waitcnt lgkmcnt(0)
	; wave barrier
	v_lshl_add_u32 v1, v1, 2, v2
	ds_write_b32 v1, v19
	s_waitcnt lgkmcnt(0)
	; wave barrier
	ds_read_b32 v19, v13
	s_waitcnt lgkmcnt(0)
	; wave barrier
	ds_write_b32 v1, v18
	s_waitcnt lgkmcnt(0)
	v_lshrrev_b32_e32 v1, 8, v19
	v_and_b32_e32 v2, 0xff, v1
	v_lshl_add_u32 v20, v2, 2, v16
	v_and_b32_e32 v2, 1, v1
	v_add_co_u32_e64 v4, s[12:13], -1, v2
	v_addc_co_u32_e64 v5, s[12:13], 0, -1, s[12:13]
	v_cmp_ne_u32_e64 s[12:13], 0, v2
	v_xor_b32_e32 v4, s12, v4
	v_xor_b32_e32 v2, s13, v5
	v_and_b32_e32 v5, exec_lo, v4
	v_lshlrev_b32_e32 v4, 30, v1
	v_cmp_gt_i64_e64 s[12:13], 0, v[3:4]
	v_not_b32_e32 v4, v4
	v_ashrrev_i32_e32 v4, 31, v4
	v_xor_b32_e32 v21, s13, v4
	v_xor_b32_e32 v4, s12, v4
	v_and_b32_e32 v5, v5, v4
	v_lshlrev_b32_e32 v4, 29, v1
	v_cmp_gt_i64_e64 s[12:13], 0, v[3:4]
	v_not_b32_e32 v4, v4
	v_and_b32_e32 v2, exec_hi, v2
	v_ashrrev_i32_e32 v4, 31, v4
	v_and_b32_e32 v2, v2, v21
	v_xor_b32_e32 v21, s13, v4
	v_xor_b32_e32 v4, s12, v4
	v_and_b32_e32 v5, v5, v4
	v_lshlrev_b32_e32 v4, 28, v1
	v_cmp_gt_i64_e64 s[12:13], 0, v[3:4]
	v_not_b32_e32 v4, v4
	v_ashrrev_i32_e32 v4, 31, v4
	v_and_b32_e32 v2, v2, v21
	v_xor_b32_e32 v21, s13, v4
	v_xor_b32_e32 v4, s12, v4
	v_and_b32_e32 v5, v5, v4
	v_lshlrev_b32_e32 v4, 27, v1
	v_cmp_gt_i64_e64 s[12:13], 0, v[3:4]
	v_not_b32_e32 v4, v4
	;; [unrolled: 8-line block ×5, first 2 shown]
	v_ashrrev_i32_e32 v1, 31, v1
	v_xor_b32_e32 v4, s13, v1
	v_xor_b32_e32 v1, s12, v1
	; wave barrier
	ds_read_b32 v18, v13
	v_and_b32_e32 v2, v2, v21
	v_and_b32_e32 v1, v5, v1
	;; [unrolled: 1-line block ×3, first 2 shown]
	v_mbcnt_lo_u32_b32 v4, v1, 0
	v_mbcnt_hi_u32_b32 v21, v2, v4
	v_cmp_ne_u64_e64 s[12:13], 0, v[1:2]
	v_cmp_eq_u32_e64 s[14:15], 0, v21
	s_and_b64 s[14:15], s[12:13], s[14:15]
	s_waitcnt lgkmcnt(0)
	; wave barrier
	ds_write2_b32 v12, v3, v3 offset0:1 offset1:2
	ds_write2_b32 v12, v3, v3 offset0:3 offset1:4
	s_waitcnt lgkmcnt(0)
	; wave barrier
	; wave barrier
	s_and_saveexec_b64 s[12:13], s[14:15]
; %bb.7:                                ;   in Loop: Header=BB1_2 Depth=1
	v_bcnt_u32_b32 v1, v1, 0
	v_bcnt_u32_b32 v1, v2, v1
	ds_write_b32 v20, v1 offset:4
; %bb.8:                                ;   in Loop: Header=BB1_2 Depth=1
	s_or_b64 exec, exec, s[12:13]
	; wave barrier
	s_waitcnt lgkmcnt(0)
	; wave barrier
	ds_read2_b32 v[4:5], v12 offset0:1 offset1:2
	ds_read2_b32 v[1:2], v12 offset0:3 offset1:4
	s_waitcnt lgkmcnt(1)
	v_add_u32_e32 v22, v5, v4
	s_waitcnt lgkmcnt(0)
	v_add3_u32 v2, v22, v1, v2
	s_nop 1
	v_mov_b32_dpp v22, v2 row_shr:1 row_mask:0xf bank_mask:0xf
	v_cndmask_b32_e64 v22, v22, 0, s[2:3]
	v_add_u32_e32 v2, v22, v2
	s_nop 1
	v_mov_b32_dpp v22, v2 row_shr:2 row_mask:0xf bank_mask:0xf
	v_cndmask_b32_e64 v22, 0, v22, s[4:5]
	v_add_u32_e32 v2, v2, v22
	s_nop 1
	v_mov_b32_dpp v22, v2 row_shr:4 row_mask:0xf bank_mask:0xf
	v_cndmask_b32_e64 v22, 0, v22, s[6:7]
	v_add_u32_e32 v2, v2, v22
	s_nop 1
	v_mov_b32_dpp v22, v2 row_shr:8 row_mask:0xf bank_mask:0xf
	v_cndmask_b32_e64 v22, 0, v22, s[8:9]
	v_add_u32_e32 v2, v2, v22
	s_nop 1
	v_mov_b32_dpp v22, v2 row_bcast:15 row_mask:0xf bank_mask:0xf
	v_cndmask_b32_e64 v22, v22, 0, s[10:11]
	v_add_u32_e32 v2, v2, v22
	s_nop 1
	v_mov_b32_dpp v22, v2 row_bcast:31 row_mask:0xf bank_mask:0xf
	v_cndmask_b32_e64 v22, 0, v22, s[0:1]
	v_add_u32_e32 v2, v2, v22
	s_and_saveexec_b64 s[12:13], vcc
; %bb.9:                                ;   in Loop: Header=BB1_2 Depth=1
	ds_write_b32 v3, v2
; %bb.10:                               ;   in Loop: Header=BB1_2 Depth=1
	s_or_b64 exec, exec, s[12:13]
	ds_bpermute_b32 v2, v15, v2
	s_waitcnt lgkmcnt(0)
	; wave barrier
	v_cndmask_b32_e64 v2, v2, 0, s[16:17]
	v_add_u32_e32 v4, v2, v4
	v_add_u32_e32 v5, v4, v5
	;; [unrolled: 1-line block ×3, first 2 shown]
	ds_write2_b32 v12, v2, v4 offset0:1 offset1:2
	ds_write2_b32 v12, v5, v1 offset0:3 offset1:4
	s_waitcnt lgkmcnt(0)
	; wave barrier
	ds_read_b32 v1, v20 offset:4
	v_lshlrev_b32_e32 v2, 2, v21
	s_waitcnt lgkmcnt(0)
	; wave barrier
	v_lshl_add_u32 v1, v1, 2, v2
	ds_write_b32 v1, v19
	s_waitcnt lgkmcnt(0)
	; wave barrier
	ds_read_b32 v19, v13
	s_waitcnt lgkmcnt(0)
	; wave barrier
	ds_write_b32 v1, v18
	s_waitcnt lgkmcnt(0)
	v_and_b32_sdwa v1, v19, s23 dst_sel:DWORD dst_unused:UNUSED_PAD src0_sel:WORD_1 src1_sel:DWORD
	v_lshl_add_u32 v20, v1, 2, v16
	v_mov_b32_e32 v1, 1
	v_and_b32_sdwa v1, v19, v1 dst_sel:DWORD dst_unused:UNUSED_PAD src0_sel:WORD_1 src1_sel:DWORD
	v_add_co_u32_e64 v2, s[12:13], -1, v1
	v_addc_co_u32_e64 v4, s[12:13], 0, -1, s[12:13]
	v_cmp_ne_u32_e64 s[12:13], 0, v1
	v_xor_b32_e32 v1, s13, v4
	v_lshlrev_b32_sdwa v4, v6, v19 dst_sel:DWORD dst_unused:UNUSED_PAD src0_sel:DWORD src1_sel:WORD_1
	v_xor_b32_e32 v2, s12, v2
	v_cmp_gt_i64_e64 s[12:13], 0, v[3:4]
	v_not_b32_e32 v4, v4
	v_ashrrev_i32_e32 v4, 31, v4
	v_and_b32_e32 v2, exec_lo, v2
	v_xor_b32_e32 v5, s13, v4
	v_xor_b32_e32 v4, s12, v4
	v_and_b32_e32 v2, v2, v4
	v_lshlrev_b32_sdwa v4, v7, v19 dst_sel:DWORD dst_unused:UNUSED_PAD src0_sel:DWORD src1_sel:WORD_1
	v_cmp_gt_i64_e64 s[12:13], 0, v[3:4]
	v_not_b32_e32 v4, v4
	v_and_b32_e32 v1, exec_hi, v1
	v_ashrrev_i32_e32 v4, 31, v4
	v_and_b32_e32 v1, v1, v5
	v_xor_b32_e32 v5, s13, v4
	v_xor_b32_e32 v4, s12, v4
	v_and_b32_e32 v2, v2, v4
	v_lshlrev_b32_sdwa v4, v8, v19 dst_sel:DWORD dst_unused:UNUSED_PAD src0_sel:DWORD src1_sel:WORD_1
	v_cmp_gt_i64_e64 s[12:13], 0, v[3:4]
	v_not_b32_e32 v4, v4
	v_ashrrev_i32_e32 v4, 31, v4
	v_and_b32_e32 v1, v1, v5
	v_xor_b32_e32 v5, s13, v4
	v_xor_b32_e32 v4, s12, v4
	v_and_b32_e32 v2, v2, v4
	v_lshlrev_b32_sdwa v4, v9, v19 dst_sel:DWORD dst_unused:UNUSED_PAD src0_sel:DWORD src1_sel:WORD_1
	v_cmp_gt_i64_e64 s[12:13], 0, v[3:4]
	v_not_b32_e32 v4, v4
	;; [unrolled: 8-line block ×4, first 2 shown]
	v_ashrrev_i32_e32 v4, 31, v4
	v_and_b32_e32 v1, v1, v5
	v_xor_b32_e32 v5, s13, v4
	v_xor_b32_e32 v4, s12, v4
	v_and_b32_e32 v1, v1, v5
	v_and_b32_e32 v5, v2, v4
	v_lshlrev_b32_sdwa v4, v17, v19 dst_sel:DWORD dst_unused:UNUSED_PAD src0_sel:DWORD src1_sel:WORD_1
	v_cmp_gt_i64_e64 s[12:13], 0, v[3:4]
	v_not_b32_e32 v2, v4
	v_ashrrev_i32_e32 v2, 31, v2
	v_xor_b32_e32 v4, s13, v2
	v_xor_b32_e32 v21, s12, v2
	; wave barrier
	ds_read_b32 v18, v13
	v_and_b32_e32 v2, v1, v4
	v_and_b32_e32 v1, v5, v21
	v_mbcnt_lo_u32_b32 v4, v1, 0
	v_mbcnt_hi_u32_b32 v21, v2, v4
	v_cmp_ne_u64_e64 s[12:13], 0, v[1:2]
	v_cmp_eq_u32_e64 s[14:15], 0, v21
	s_and_b64 s[14:15], s[12:13], s[14:15]
	s_waitcnt lgkmcnt(0)
	; wave barrier
	ds_write2_b32 v12, v3, v3 offset0:1 offset1:2
	ds_write2_b32 v12, v3, v3 offset0:3 offset1:4
	s_waitcnt lgkmcnt(0)
	; wave barrier
	; wave barrier
	s_and_saveexec_b64 s[12:13], s[14:15]
; %bb.11:                               ;   in Loop: Header=BB1_2 Depth=1
	v_bcnt_u32_b32 v1, v1, 0
	v_bcnt_u32_b32 v1, v2, v1
	ds_write_b32 v20, v1 offset:4
; %bb.12:                               ;   in Loop: Header=BB1_2 Depth=1
	s_or_b64 exec, exec, s[12:13]
	; wave barrier
	s_waitcnt lgkmcnt(0)
	; wave barrier
	ds_read2_b32 v[4:5], v12 offset0:1 offset1:2
	ds_read2_b32 v[1:2], v12 offset0:3 offset1:4
	s_waitcnt lgkmcnt(1)
	v_add_u32_e32 v22, v5, v4
	s_waitcnt lgkmcnt(0)
	v_add3_u32 v2, v22, v1, v2
	s_nop 1
	v_mov_b32_dpp v22, v2 row_shr:1 row_mask:0xf bank_mask:0xf
	v_cndmask_b32_e64 v22, v22, 0, s[2:3]
	v_add_u32_e32 v2, v22, v2
	s_nop 1
	v_mov_b32_dpp v22, v2 row_shr:2 row_mask:0xf bank_mask:0xf
	v_cndmask_b32_e64 v22, 0, v22, s[4:5]
	v_add_u32_e32 v2, v2, v22
	;; [unrolled: 4-line block ×4, first 2 shown]
	s_nop 1
	v_mov_b32_dpp v22, v2 row_bcast:15 row_mask:0xf bank_mask:0xf
	v_cndmask_b32_e64 v22, v22, 0, s[10:11]
	v_add_u32_e32 v2, v2, v22
	s_nop 1
	v_mov_b32_dpp v22, v2 row_bcast:31 row_mask:0xf bank_mask:0xf
	v_cndmask_b32_e64 v22, 0, v22, s[0:1]
	v_add_u32_e32 v2, v2, v22
	s_and_saveexec_b64 s[12:13], vcc
; %bb.13:                               ;   in Loop: Header=BB1_2 Depth=1
	ds_write_b32 v3, v2
; %bb.14:                               ;   in Loop: Header=BB1_2 Depth=1
	s_or_b64 exec, exec, s[12:13]
	ds_bpermute_b32 v2, v15, v2
	s_waitcnt lgkmcnt(0)
	; wave barrier
	v_cndmask_b32_e64 v2, v2, 0, s[16:17]
	v_add_u32_e32 v4, v2, v4
	v_add_u32_e32 v5, v4, v5
	;; [unrolled: 1-line block ×3, first 2 shown]
	ds_write2_b32 v12, v2, v4 offset0:1 offset1:2
	ds_write2_b32 v12, v5, v1 offset0:3 offset1:4
	s_waitcnt lgkmcnt(0)
	; wave barrier
	ds_read_b32 v1, v20 offset:4
	v_lshlrev_b32_e32 v2, 2, v21
	s_waitcnt lgkmcnt(0)
	; wave barrier
	v_lshl_add_u32 v1, v1, 2, v2
	ds_write_b32 v1, v19
	s_waitcnt lgkmcnt(0)
	; wave barrier
	ds_read_b32 v19, v13
	s_waitcnt lgkmcnt(0)
	; wave barrier
	ds_write_b32 v1, v18
	s_waitcnt lgkmcnt(0)
	v_lshrrev_b32_e32 v1, 24, v19
	v_and_b32_e32 v2, 1, v1
	v_add_co_u32_e64 v4, s[12:13], -1, v2
	v_addc_co_u32_e64 v5, s[12:13], 0, -1, s[12:13]
	v_cmp_ne_u32_e64 s[12:13], 0, v2
	v_xor_b32_e32 v4, s12, v4
	v_xor_b32_e32 v2, s13, v5
	v_and_b32_e32 v5, exec_lo, v4
	v_lshlrev_b32_e32 v4, 30, v1
	v_cmp_gt_i64_e64 s[12:13], 0, v[3:4]
	v_not_b32_e32 v4, v4
	v_ashrrev_i32_e32 v4, 31, v4
	v_xor_b32_e32 v21, s13, v4
	v_xor_b32_e32 v4, s12, v4
	v_and_b32_e32 v5, v5, v4
	v_lshlrev_b32_e32 v4, 29, v1
	v_cmp_gt_i64_e64 s[12:13], 0, v[3:4]
	v_not_b32_e32 v4, v4
	v_and_b32_e32 v2, exec_hi, v2
	v_ashrrev_i32_e32 v4, 31, v4
	v_and_b32_e32 v2, v2, v21
	v_xor_b32_e32 v21, s13, v4
	v_xor_b32_e32 v4, s12, v4
	v_and_b32_e32 v5, v5, v4
	v_lshlrev_b32_e32 v4, 28, v1
	v_cmp_gt_i64_e64 s[12:13], 0, v[3:4]
	v_not_b32_e32 v4, v4
	v_ashrrev_i32_e32 v4, 31, v4
	v_and_b32_e32 v2, v2, v21
	v_xor_b32_e32 v21, s13, v4
	v_xor_b32_e32 v4, s12, v4
	v_and_b32_e32 v5, v5, v4
	v_lshlrev_b32_e32 v4, 27, v1
	v_cmp_gt_i64_e64 s[12:13], 0, v[3:4]
	v_not_b32_e32 v4, v4
	;; [unrolled: 8-line block ×4, first 2 shown]
	v_ashrrev_i32_e32 v4, 31, v4
	v_and_b32_e32 v2, v2, v21
	v_xor_b32_e32 v21, s13, v4
	v_xor_b32_e32 v4, s12, v4
	v_and_b32_e32 v5, v5, v4
	v_lshlrev_b32_e32 v4, 24, v1
	v_lshl_add_u32 v20, v1, 2, v16
	v_cmp_gt_i64_e64 s[12:13], 0, v[3:4]
	v_not_b32_e32 v1, v4
	v_ashrrev_i32_e32 v1, 31, v1
	v_xor_b32_e32 v4, s13, v1
	v_xor_b32_e32 v1, s12, v1
	; wave barrier
	ds_read_b32 v18, v13
	v_and_b32_e32 v2, v2, v21
	v_and_b32_e32 v1, v5, v1
	;; [unrolled: 1-line block ×3, first 2 shown]
	v_mbcnt_lo_u32_b32 v4, v1, 0
	v_mbcnt_hi_u32_b32 v21, v2, v4
	v_cmp_ne_u64_e64 s[12:13], 0, v[1:2]
	v_cmp_eq_u32_e64 s[14:15], 0, v21
	s_and_b64 s[14:15], s[12:13], s[14:15]
	s_waitcnt lgkmcnt(0)
	; wave barrier
	ds_write2_b32 v12, v3, v3 offset0:1 offset1:2
	ds_write2_b32 v12, v3, v3 offset0:3 offset1:4
	s_waitcnt lgkmcnt(0)
	; wave barrier
	; wave barrier
	s_and_saveexec_b64 s[12:13], s[14:15]
; %bb.15:                               ;   in Loop: Header=BB1_2 Depth=1
	v_bcnt_u32_b32 v1, v1, 0
	v_bcnt_u32_b32 v1, v2, v1
	ds_write_b32 v20, v1 offset:4
; %bb.16:                               ;   in Loop: Header=BB1_2 Depth=1
	s_or_b64 exec, exec, s[12:13]
	; wave barrier
	s_waitcnt lgkmcnt(0)
	; wave barrier
	ds_read2_b32 v[4:5], v12 offset0:1 offset1:2
	ds_read2_b32 v[1:2], v12 offset0:3 offset1:4
	s_waitcnt lgkmcnt(1)
	v_add_u32_e32 v22, v5, v4
	s_waitcnt lgkmcnt(0)
	v_add3_u32 v2, v22, v1, v2
	s_nop 1
	v_mov_b32_dpp v22, v2 row_shr:1 row_mask:0xf bank_mask:0xf
	v_cndmask_b32_e64 v22, v22, 0, s[2:3]
	v_add_u32_e32 v2, v22, v2
	s_nop 1
	v_mov_b32_dpp v22, v2 row_shr:2 row_mask:0xf bank_mask:0xf
	v_cndmask_b32_e64 v22, 0, v22, s[4:5]
	v_add_u32_e32 v2, v2, v22
	;; [unrolled: 4-line block ×4, first 2 shown]
	s_nop 1
	v_mov_b32_dpp v22, v2 row_bcast:15 row_mask:0xf bank_mask:0xf
	v_cndmask_b32_e64 v22, v22, 0, s[10:11]
	v_add_u32_e32 v2, v2, v22
	s_nop 1
	v_mov_b32_dpp v22, v2 row_bcast:31 row_mask:0xf bank_mask:0xf
	v_cndmask_b32_e64 v22, 0, v22, s[0:1]
	v_add_u32_e32 v2, v2, v22
	s_and_saveexec_b64 s[12:13], vcc
	s_cbranch_execz .LBB1_1
; %bb.17:                               ;   in Loop: Header=BB1_2 Depth=1
	ds_write_b32 v3, v2
	s_branch .LBB1_1
.LBB1_18:
	s_brev_b32 s0, 1
	s_waitcnt lgkmcnt(0)
	v_add3_u32 v1, v18, v19, s0
	s_add_u32 s0, s18, s20
	s_addc_u32 s1, s19, s21
	v_lshlrev_b32_e32 v0, 2, v0
	global_store_dword v0, v1, s[0:1]
	s_endpgm
	.section	.rodata,"a",@progbits
	.p2align	6, 0x0
	.amdhsa_kernel _Z17sort_pairs_kernelI22helper_blocked_blockediLj64ELj1ELj10EEvPKT0_PS1_
		.amdhsa_group_segment_fixed_size 1040
		.amdhsa_private_segment_fixed_size 0
		.amdhsa_kernarg_size 272
		.amdhsa_user_sgpr_count 6
		.amdhsa_user_sgpr_private_segment_buffer 1
		.amdhsa_user_sgpr_dispatch_ptr 0
		.amdhsa_user_sgpr_queue_ptr 0
		.amdhsa_user_sgpr_kernarg_segment_ptr 1
		.amdhsa_user_sgpr_dispatch_id 0
		.amdhsa_user_sgpr_flat_scratch_init 0
		.amdhsa_user_sgpr_private_segment_size 0
		.amdhsa_uses_dynamic_stack 0
		.amdhsa_system_sgpr_private_segment_wavefront_offset 0
		.amdhsa_system_sgpr_workgroup_id_x 1
		.amdhsa_system_sgpr_workgroup_id_y 0
		.amdhsa_system_sgpr_workgroup_id_z 0
		.amdhsa_system_sgpr_workgroup_info 0
		.amdhsa_system_vgpr_workitem_id 2
		.amdhsa_next_free_vgpr 23
		.amdhsa_next_free_sgpr 26
		.amdhsa_reserve_vcc 1
		.amdhsa_reserve_flat_scratch 0
		.amdhsa_float_round_mode_32 0
		.amdhsa_float_round_mode_16_64 0
		.amdhsa_float_denorm_mode_32 3
		.amdhsa_float_denorm_mode_16_64 3
		.amdhsa_dx10_clamp 1
		.amdhsa_ieee_mode 1
		.amdhsa_fp16_overflow 0
		.amdhsa_exception_fp_ieee_invalid_op 0
		.amdhsa_exception_fp_denorm_src 0
		.amdhsa_exception_fp_ieee_div_zero 0
		.amdhsa_exception_fp_ieee_overflow 0
		.amdhsa_exception_fp_ieee_underflow 0
		.amdhsa_exception_fp_ieee_inexact 0
		.amdhsa_exception_int_div_zero 0
	.end_amdhsa_kernel
	.section	.text._Z17sort_pairs_kernelI22helper_blocked_blockediLj64ELj1ELj10EEvPKT0_PS1_,"axG",@progbits,_Z17sort_pairs_kernelI22helper_blocked_blockediLj64ELj1ELj10EEvPKT0_PS1_,comdat
.Lfunc_end1:
	.size	_Z17sort_pairs_kernelI22helper_blocked_blockediLj64ELj1ELj10EEvPKT0_PS1_, .Lfunc_end1-_Z17sort_pairs_kernelI22helper_blocked_blockediLj64ELj1ELj10EEvPKT0_PS1_
                                        ; -- End function
	.set _Z17sort_pairs_kernelI22helper_blocked_blockediLj64ELj1ELj10EEvPKT0_PS1_.num_vgpr, 23
	.set _Z17sort_pairs_kernelI22helper_blocked_blockediLj64ELj1ELj10EEvPKT0_PS1_.num_agpr, 0
	.set _Z17sort_pairs_kernelI22helper_blocked_blockediLj64ELj1ELj10EEvPKT0_PS1_.numbered_sgpr, 26
	.set _Z17sort_pairs_kernelI22helper_blocked_blockediLj64ELj1ELj10EEvPKT0_PS1_.num_named_barrier, 0
	.set _Z17sort_pairs_kernelI22helper_blocked_blockediLj64ELj1ELj10EEvPKT0_PS1_.private_seg_size, 0
	.set _Z17sort_pairs_kernelI22helper_blocked_blockediLj64ELj1ELj10EEvPKT0_PS1_.uses_vcc, 1
	.set _Z17sort_pairs_kernelI22helper_blocked_blockediLj64ELj1ELj10EEvPKT0_PS1_.uses_flat_scratch, 0
	.set _Z17sort_pairs_kernelI22helper_blocked_blockediLj64ELj1ELj10EEvPKT0_PS1_.has_dyn_sized_stack, 0
	.set _Z17sort_pairs_kernelI22helper_blocked_blockediLj64ELj1ELj10EEvPKT0_PS1_.has_recursion, 0
	.set _Z17sort_pairs_kernelI22helper_blocked_blockediLj64ELj1ELj10EEvPKT0_PS1_.has_indirect_call, 0
	.section	.AMDGPU.csdata,"",@progbits
; Kernel info:
; codeLenInByte = 3276
; TotalNumSgprs: 30
; NumVgprs: 23
; ScratchSize: 0
; MemoryBound: 0
; FloatMode: 240
; IeeeMode: 1
; LDSByteSize: 1040 bytes/workgroup (compile time only)
; SGPRBlocks: 3
; VGPRBlocks: 5
; NumSGPRsForWavesPerEU: 30
; NumVGPRsForWavesPerEU: 23
; Occupancy: 10
; WaveLimiterHint : 0
; COMPUTE_PGM_RSRC2:SCRATCH_EN: 0
; COMPUTE_PGM_RSRC2:USER_SGPR: 6
; COMPUTE_PGM_RSRC2:TRAP_HANDLER: 0
; COMPUTE_PGM_RSRC2:TGID_X_EN: 1
; COMPUTE_PGM_RSRC2:TGID_Y_EN: 0
; COMPUTE_PGM_RSRC2:TGID_Z_EN: 0
; COMPUTE_PGM_RSRC2:TIDIG_COMP_CNT: 2
	.section	.text._Z16sort_keys_kernelI22helper_blocked_blockediLj64ELj3ELj10EEvPKT0_PS1_,"axG",@progbits,_Z16sort_keys_kernelI22helper_blocked_blockediLj64ELj3ELj10EEvPKT0_PS1_,comdat
	.protected	_Z16sort_keys_kernelI22helper_blocked_blockediLj64ELj3ELj10EEvPKT0_PS1_ ; -- Begin function _Z16sort_keys_kernelI22helper_blocked_blockediLj64ELj3ELj10EEvPKT0_PS1_
	.globl	_Z16sort_keys_kernelI22helper_blocked_blockediLj64ELj3ELj10EEvPKT0_PS1_
	.p2align	8
	.type	_Z16sort_keys_kernelI22helper_blocked_blockediLj64ELj3ELj10EEvPKT0_PS1_,@function
_Z16sort_keys_kernelI22helper_blocked_blockediLj64ELj3ELj10EEvPKT0_PS1_: ; @_Z16sort_keys_kernelI22helper_blocked_blockediLj64ELj3ELj10EEvPKT0_PS1_
; %bb.0:
	s_load_dwordx4 s[16:19], s[4:5], 0x0
	s_load_dword s2, s[4:5], 0x1c
	s_mul_i32 s20, s6, 0xc0
	s_mov_b32 s21, 0
	s_lshl_b64 s[22:23], s[20:21], 2
	s_waitcnt lgkmcnt(0)
	s_add_u32 s0, s16, s22
	s_addc_u32 s1, s17, s23
	v_lshlrev_b32_e32 v11, 2, v0
	global_load_dword v4, v11, s[0:1]
	global_load_dword v5, v11, s[0:1] offset:256
	global_load_dword v12, v11, s[0:1] offset:512
	v_mbcnt_lo_u32_b32 v6, -1, 0
	v_mbcnt_hi_u32_b32 v9, -1, v6
	s_lshr_b32 s0, s2, 16
	s_and_b32 s1, s2, 0xffff
	v_mad_u32_u24 v1, v2, s0, v1
	v_and_b32_e32 v2, 15, v9
	v_mad_u32_u24 v1, v1, s1, v0
	v_cmp_eq_u32_e64 s[0:1], 0, v2
	v_cmp_lt_u32_e64 s[2:3], 1, v2
	v_cmp_lt_u32_e64 s[4:5], 3, v2
	;; [unrolled: 1-line block ×3, first 2 shown]
	v_and_b32_e32 v2, 16, v9
	v_cmp_eq_u32_e64 s[8:9], 0, v2
	v_subrev_co_u32_e32 v2, vcc, 1, v9
	v_and_b32_e32 v10, 64, v9
	v_cmp_lt_i32_e64 s[14:15], v2, v10
	v_lshrrev_b32_e32 v1, 4, v1
	v_lshlrev_b32_e32 v8, 4, v0
	v_cndmask_b32_e64 v2, v2, v9, s[14:15]
	v_cmp_eq_u32_e64 s[14:15], 0, v0
	v_and_b32_e32 v10, 0xffffffc, v1
	v_sub_u32_e32 v1, 0, v11
	v_mov_b32_e32 v3, 0
	v_mul_u32_u24_e32 v6, 12, v9
	v_lshlrev_b32_e32 v7, 2, v9
	v_cmp_lt_u32_e64 s[10:11], 31, v9
	v_cmp_eq_u32_e64 s[12:13], 63, v0
	v_lshlrev_b32_e32 v9, 2, v2
	s_or_b64 s[16:17], s[14:15], vcc
	v_add_u32_e32 v11, v8, v1
	s_branch .LBB2_2
.LBB2_1:                                ;   in Loop: Header=BB2_2 Depth=1
	v_lshlrev_b32_e32 v1, 2, v16
	; wave barrier
	ds_write_b32 v1, v15
	v_lshlrev_b32_e32 v1, 2, v5
	ds_write_b32 v1, v13
	v_lshlrev_b32_e32 v1, 2, v4
	ds_write_b32 v1, v12
	s_waitcnt lgkmcnt(0)
	; wave barrier
	ds_read2_b32 v[1:2], v11 offset1:1
	ds_read_b32 v12, v11 offset:8
	s_add_i32 s21, s21, 1
	s_cmp_eq_u32 s21, 10
	s_waitcnt lgkmcnt(1)
	v_xor_b32_e32 v4, 0x80000000, v1
	v_xor_b32_e32 v5, 0x80000000, v2
	s_waitcnt lgkmcnt(0)
	v_xor_b32_e32 v12, 0x80000000, v12
	s_cbranch_scc1 .LBB2_14
.LBB2_2:                                ; =>This Loop Header: Depth=1
                                        ;     Child Loop BB2_4 Depth 2
	s_waitcnt vmcnt(2)
	v_xor_b32_e32 v1, 0x80000000, v4
	s_waitcnt vmcnt(1)
	v_xor_b32_e32 v2, 0x80000000, v5
	;; [unrolled: 2-line block ×3, first 2 shown]
	ds_write2_b32 v6, v1, v2 offset1:1
	ds_write_b32 v6, v4 offset:8
	; wave barrier
	ds_read2st64_b32 v[1:2], v7 offset1:1
	ds_read_b32 v17, v7 offset:512
	v_mov_b32_e32 v14, v3
	s_waitcnt lgkmcnt(0)
	; wave barrier
	; wave barrier
	;; [unrolled: 1-line block ×3, first 2 shown]
	s_branch .LBB2_4
.LBB2_3:                                ;   in Loop: Header=BB2_4 Depth=2
	s_andn2_b64 vcc, exec, s[14:15]
	s_cbranch_vccz .LBB2_1
.LBB2_4:                                ;   Parent Loop BB2_2 Depth=1
                                        ; =>  This Inner Loop Header: Depth=2
	v_mov_b32_e32 v15, v1
	v_lshrrev_b32_e32 v1, v14, v15
	v_mov_b32_e32 v13, v2
	v_and_b32_e32 v2, 0xff, v1
	v_lshl_add_u32 v16, v2, 2, v10
	v_and_b32_e32 v2, 1, v1
	v_add_co_u32_e32 v4, vcc, -1, v2
	v_addc_co_u32_e64 v5, s[14:15], 0, -1, vcc
	v_cmp_ne_u32_e32 vcc, 0, v2
	v_xor_b32_e32 v4, vcc_lo, v4
	v_xor_b32_e32 v2, vcc_hi, v5
	v_and_b32_e32 v5, exec_lo, v4
	v_lshlrev_b32_e32 v4, 30, v1
	v_cmp_gt_i64_e32 vcc, 0, v[3:4]
	v_not_b32_e32 v4, v4
	v_ashrrev_i32_e32 v4, 31, v4
	v_mov_b32_e32 v12, v17
	v_xor_b32_e32 v17, vcc_hi, v4
	v_xor_b32_e32 v4, vcc_lo, v4
	v_and_b32_e32 v5, v5, v4
	v_lshlrev_b32_e32 v4, 29, v1
	v_cmp_gt_i64_e32 vcc, 0, v[3:4]
	v_not_b32_e32 v4, v4
	v_and_b32_e32 v2, exec_hi, v2
	v_ashrrev_i32_e32 v4, 31, v4
	v_and_b32_e32 v2, v2, v17
	v_xor_b32_e32 v17, vcc_hi, v4
	v_xor_b32_e32 v4, vcc_lo, v4
	v_and_b32_e32 v5, v5, v4
	v_lshlrev_b32_e32 v4, 28, v1
	v_cmp_gt_i64_e32 vcc, 0, v[3:4]
	v_not_b32_e32 v4, v4
	v_ashrrev_i32_e32 v4, 31, v4
	v_and_b32_e32 v2, v2, v17
	v_xor_b32_e32 v17, vcc_hi, v4
	v_xor_b32_e32 v4, vcc_lo, v4
	v_and_b32_e32 v5, v5, v4
	v_lshlrev_b32_e32 v4, 27, v1
	v_cmp_gt_i64_e32 vcc, 0, v[3:4]
	v_not_b32_e32 v4, v4
	;; [unrolled: 8-line block ×5, first 2 shown]
	v_ashrrev_i32_e32 v1, 31, v1
	v_xor_b32_e32 v4, vcc_hi, v1
	v_xor_b32_e32 v1, vcc_lo, v1
	v_and_b32_e32 v2, v2, v17
	v_and_b32_e32 v1, v5, v1
	;; [unrolled: 1-line block ×3, first 2 shown]
	v_mbcnt_lo_u32_b32 v4, v1, 0
	v_mbcnt_hi_u32_b32 v17, v2, v4
	v_cmp_ne_u64_e32 vcc, 0, v[1:2]
	v_cmp_eq_u32_e64 s[14:15], 0, v17
	s_and_b64 s[24:25], vcc, s[14:15]
	ds_write2_b32 v8, v3, v3 offset0:1 offset1:2
	ds_write2_b32 v8, v3, v3 offset0:3 offset1:4
	s_waitcnt lgkmcnt(0)
	; wave barrier
	; wave barrier
	s_and_saveexec_b64 s[14:15], s[24:25]
; %bb.5:                                ;   in Loop: Header=BB2_4 Depth=2
	v_bcnt_u32_b32 v1, v1, 0
	v_bcnt_u32_b32 v1, v2, v1
	ds_write_b32 v16, v1 offset:4
; %bb.6:                                ;   in Loop: Header=BB2_4 Depth=2
	s_or_b64 exec, exec, s[14:15]
	v_lshrrev_b32_e32 v1, v14, v13
	v_and_b32_e32 v2, 0xff, v1
	v_lshl_add_u32 v19, v2, 2, v10
	v_and_b32_e32 v2, 1, v1
	v_add_co_u32_e32 v4, vcc, -1, v2
	v_addc_co_u32_e64 v5, s[14:15], 0, -1, vcc
	v_cmp_ne_u32_e32 vcc, 0, v2
	v_xor_b32_e32 v4, vcc_lo, v4
	v_xor_b32_e32 v2, vcc_hi, v5
	v_and_b32_e32 v5, exec_lo, v4
	v_lshlrev_b32_e32 v4, 30, v1
	v_cmp_gt_i64_e32 vcc, 0, v[3:4]
	v_not_b32_e32 v4, v4
	v_ashrrev_i32_e32 v4, 31, v4
	v_xor_b32_e32 v20, vcc_hi, v4
	v_xor_b32_e32 v4, vcc_lo, v4
	v_and_b32_e32 v5, v5, v4
	v_lshlrev_b32_e32 v4, 29, v1
	v_cmp_gt_i64_e32 vcc, 0, v[3:4]
	v_not_b32_e32 v4, v4
	v_and_b32_e32 v2, exec_hi, v2
	v_ashrrev_i32_e32 v4, 31, v4
	v_and_b32_e32 v2, v2, v20
	v_xor_b32_e32 v20, vcc_hi, v4
	v_xor_b32_e32 v4, vcc_lo, v4
	v_and_b32_e32 v5, v5, v4
	v_lshlrev_b32_e32 v4, 28, v1
	v_cmp_gt_i64_e32 vcc, 0, v[3:4]
	v_not_b32_e32 v4, v4
	v_ashrrev_i32_e32 v4, 31, v4
	v_and_b32_e32 v2, v2, v20
	v_xor_b32_e32 v20, vcc_hi, v4
	v_xor_b32_e32 v4, vcc_lo, v4
	v_and_b32_e32 v5, v5, v4
	v_lshlrev_b32_e32 v4, 27, v1
	v_cmp_gt_i64_e32 vcc, 0, v[3:4]
	v_not_b32_e32 v4, v4
	;; [unrolled: 8-line block ×5, first 2 shown]
	v_ashrrev_i32_e32 v1, 31, v1
	v_xor_b32_e32 v4, vcc_hi, v1
	v_xor_b32_e32 v1, vcc_lo, v1
	; wave barrier
	ds_read_b32 v18, v19 offset:4
	v_and_b32_e32 v2, v2, v20
	v_and_b32_e32 v1, v5, v1
	;; [unrolled: 1-line block ×3, first 2 shown]
	v_mbcnt_lo_u32_b32 v4, v1, 0
	v_mbcnt_hi_u32_b32 v20, v2, v4
	v_cmp_ne_u64_e32 vcc, 0, v[1:2]
	v_cmp_eq_u32_e64 s[14:15], 0, v20
	s_and_b64 s[24:25], vcc, s[14:15]
	; wave barrier
	s_and_saveexec_b64 s[14:15], s[24:25]
	s_cbranch_execz .LBB2_8
; %bb.7:                                ;   in Loop: Header=BB2_4 Depth=2
	v_bcnt_u32_b32 v1, v1, 0
	v_bcnt_u32_b32 v1, v2, v1
	s_waitcnt lgkmcnt(0)
	v_add_u32_e32 v1, v18, v1
	ds_write_b32 v19, v1 offset:4
.LBB2_8:                                ;   in Loop: Header=BB2_4 Depth=2
	s_or_b64 exec, exec, s[14:15]
	v_lshrrev_b32_e32 v1, v14, v12
	v_and_b32_e32 v2, 0xff, v1
	v_lshl_add_u32 v22, v2, 2, v10
	v_and_b32_e32 v2, 1, v1
	v_add_co_u32_e32 v4, vcc, -1, v2
	v_addc_co_u32_e64 v5, s[14:15], 0, -1, vcc
	v_cmp_ne_u32_e32 vcc, 0, v2
	v_xor_b32_e32 v4, vcc_lo, v4
	v_xor_b32_e32 v2, vcc_hi, v5
	v_and_b32_e32 v5, exec_lo, v4
	v_lshlrev_b32_e32 v4, 30, v1
	v_cmp_gt_i64_e32 vcc, 0, v[3:4]
	v_not_b32_e32 v4, v4
	v_ashrrev_i32_e32 v4, 31, v4
	v_xor_b32_e32 v23, vcc_hi, v4
	v_xor_b32_e32 v4, vcc_lo, v4
	v_and_b32_e32 v5, v5, v4
	v_lshlrev_b32_e32 v4, 29, v1
	v_cmp_gt_i64_e32 vcc, 0, v[3:4]
	v_not_b32_e32 v4, v4
	v_and_b32_e32 v2, exec_hi, v2
	v_ashrrev_i32_e32 v4, 31, v4
	v_and_b32_e32 v2, v2, v23
	v_xor_b32_e32 v23, vcc_hi, v4
	v_xor_b32_e32 v4, vcc_lo, v4
	v_and_b32_e32 v5, v5, v4
	v_lshlrev_b32_e32 v4, 28, v1
	v_cmp_gt_i64_e32 vcc, 0, v[3:4]
	v_not_b32_e32 v4, v4
	v_ashrrev_i32_e32 v4, 31, v4
	v_and_b32_e32 v2, v2, v23
	v_xor_b32_e32 v23, vcc_hi, v4
	v_xor_b32_e32 v4, vcc_lo, v4
	v_and_b32_e32 v5, v5, v4
	v_lshlrev_b32_e32 v4, 27, v1
	v_cmp_gt_i64_e32 vcc, 0, v[3:4]
	v_not_b32_e32 v4, v4
	;; [unrolled: 8-line block ×5, first 2 shown]
	v_ashrrev_i32_e32 v1, 31, v1
	v_xor_b32_e32 v4, vcc_hi, v1
	v_xor_b32_e32 v1, vcc_lo, v1
	; wave barrier
	ds_read_b32 v21, v22 offset:4
	v_and_b32_e32 v2, v2, v23
	v_and_b32_e32 v1, v5, v1
	;; [unrolled: 1-line block ×3, first 2 shown]
	v_mbcnt_lo_u32_b32 v4, v1, 0
	v_mbcnt_hi_u32_b32 v23, v2, v4
	v_cmp_ne_u64_e32 vcc, 0, v[1:2]
	v_cmp_eq_u32_e64 s[14:15], 0, v23
	s_and_b64 s[24:25], vcc, s[14:15]
	; wave barrier
	s_and_saveexec_b64 s[14:15], s[24:25]
	s_cbranch_execz .LBB2_10
; %bb.9:                                ;   in Loop: Header=BB2_4 Depth=2
	v_bcnt_u32_b32 v1, v1, 0
	v_bcnt_u32_b32 v1, v2, v1
	s_waitcnt lgkmcnt(0)
	v_add_u32_e32 v1, v21, v1
	ds_write_b32 v22, v1 offset:4
.LBB2_10:                               ;   in Loop: Header=BB2_4 Depth=2
	s_or_b64 exec, exec, s[14:15]
	; wave barrier
	s_waitcnt lgkmcnt(0)
	; wave barrier
	ds_read2_b32 v[4:5], v8 offset0:1 offset1:2
	ds_read2_b32 v[1:2], v8 offset0:3 offset1:4
	s_waitcnt lgkmcnt(1)
	v_add_u32_e32 v24, v5, v4
	s_waitcnt lgkmcnt(0)
	v_add3_u32 v2, v24, v1, v2
	s_nop 1
	v_mov_b32_dpp v24, v2 row_shr:1 row_mask:0xf bank_mask:0xf
	v_cndmask_b32_e64 v24, v24, 0, s[0:1]
	v_add_u32_e32 v2, v24, v2
	s_nop 1
	v_mov_b32_dpp v24, v2 row_shr:2 row_mask:0xf bank_mask:0xf
	v_cndmask_b32_e64 v24, 0, v24, s[2:3]
	v_add_u32_e32 v2, v2, v24
	;; [unrolled: 4-line block ×4, first 2 shown]
	s_nop 1
	v_mov_b32_dpp v24, v2 row_bcast:15 row_mask:0xf bank_mask:0xf
	v_cndmask_b32_e64 v24, v24, 0, s[8:9]
	v_add_u32_e32 v2, v2, v24
	s_nop 1
	v_mov_b32_dpp v24, v2 row_bcast:31 row_mask:0xf bank_mask:0xf
	v_cndmask_b32_e64 v24, 0, v24, s[10:11]
	v_add_u32_e32 v2, v2, v24
	s_and_saveexec_b64 s[14:15], s[12:13]
; %bb.11:                               ;   in Loop: Header=BB2_4 Depth=2
	ds_write_b32 v3, v2
; %bb.12:                               ;   in Loop: Header=BB2_4 Depth=2
	s_or_b64 exec, exec, s[14:15]
	ds_bpermute_b32 v2, v9, v2
	s_waitcnt lgkmcnt(0)
	; wave barrier
	v_cmp_lt_u32_e32 vcc, 23, v14
	s_and_b64 vcc, exec, vcc
	v_cndmask_b32_e64 v2, v2, 0, s[16:17]
	v_add_u32_e32 v4, v2, v4
	v_add_u32_e32 v5, v4, v5
	;; [unrolled: 1-line block ×3, first 2 shown]
	ds_write2_b32 v8, v2, v4 offset0:1 offset1:2
	ds_write2_b32 v8, v5, v1 offset0:3 offset1:4
	s_waitcnt lgkmcnt(0)
	; wave barrier
	ds_read_b32 v1, v16 offset:4
	ds_read_b32 v2, v19 offset:4
	;; [unrolled: 1-line block ×3, first 2 shown]
	s_mov_b64 s[14:15], -1
	s_waitcnt lgkmcnt(2)
	v_add_u32_e32 v16, v1, v17
	s_waitcnt lgkmcnt(1)
	v_add3_u32 v5, v20, v18, v2
	s_waitcnt lgkmcnt(0)
	v_add3_u32 v4, v23, v21, v4
                                        ; implicit-def: $vgpr17
                                        ; implicit-def: $vgpr2
	s_cbranch_vccnz .LBB2_3
; %bb.13:                               ;   in Loop: Header=BB2_4 Depth=2
	v_lshlrev_b32_e32 v1, 2, v16
	; wave barrier
	ds_write_b32 v1, v15
	v_lshlrev_b32_e32 v1, 2, v5
	ds_write_b32 v1, v13
	v_lshlrev_b32_e32 v1, 2, v4
	ds_write_b32 v1, v12
	s_waitcnt lgkmcnt(0)
	; wave barrier
	ds_read2st64_b32 v[1:2], v7 offset1:1
	ds_read_b32 v17, v7 offset:512
	v_add_u32_e32 v14, 8, v14
	s_mov_b64 s[14:15], 0
	s_waitcnt lgkmcnt(0)
	; wave barrier
	s_branch .LBB2_3
.LBB2_14:
	s_add_u32 s0, s18, s22
	s_addc_u32 s1, s19, s23
	v_lshlrev_b32_e32 v0, 2, v0
	global_store_dword v0, v4, s[0:1]
	global_store_dword v0, v5, s[0:1] offset:256
	global_store_dword v0, v12, s[0:1] offset:512
	s_endpgm
	.section	.rodata,"a",@progbits
	.p2align	6, 0x0
	.amdhsa_kernel _Z16sort_keys_kernelI22helper_blocked_blockediLj64ELj3ELj10EEvPKT0_PS1_
		.amdhsa_group_segment_fixed_size 1040
		.amdhsa_private_segment_fixed_size 0
		.amdhsa_kernarg_size 272
		.amdhsa_user_sgpr_count 6
		.amdhsa_user_sgpr_private_segment_buffer 1
		.amdhsa_user_sgpr_dispatch_ptr 0
		.amdhsa_user_sgpr_queue_ptr 0
		.amdhsa_user_sgpr_kernarg_segment_ptr 1
		.amdhsa_user_sgpr_dispatch_id 0
		.amdhsa_user_sgpr_flat_scratch_init 0
		.amdhsa_user_sgpr_private_segment_size 0
		.amdhsa_uses_dynamic_stack 0
		.amdhsa_system_sgpr_private_segment_wavefront_offset 0
		.amdhsa_system_sgpr_workgroup_id_x 1
		.amdhsa_system_sgpr_workgroup_id_y 0
		.amdhsa_system_sgpr_workgroup_id_z 0
		.amdhsa_system_sgpr_workgroup_info 0
		.amdhsa_system_vgpr_workitem_id 2
		.amdhsa_next_free_vgpr 25
		.amdhsa_next_free_sgpr 26
		.amdhsa_reserve_vcc 1
		.amdhsa_reserve_flat_scratch 0
		.amdhsa_float_round_mode_32 0
		.amdhsa_float_round_mode_16_64 0
		.amdhsa_float_denorm_mode_32 3
		.amdhsa_float_denorm_mode_16_64 3
		.amdhsa_dx10_clamp 1
		.amdhsa_ieee_mode 1
		.amdhsa_fp16_overflow 0
		.amdhsa_exception_fp_ieee_invalid_op 0
		.amdhsa_exception_fp_denorm_src 0
		.amdhsa_exception_fp_ieee_div_zero 0
		.amdhsa_exception_fp_ieee_overflow 0
		.amdhsa_exception_fp_ieee_underflow 0
		.amdhsa_exception_fp_ieee_inexact 0
		.amdhsa_exception_int_div_zero 0
	.end_amdhsa_kernel
	.section	.text._Z16sort_keys_kernelI22helper_blocked_blockediLj64ELj3ELj10EEvPKT0_PS1_,"axG",@progbits,_Z16sort_keys_kernelI22helper_blocked_blockediLj64ELj3ELj10EEvPKT0_PS1_,comdat
.Lfunc_end2:
	.size	_Z16sort_keys_kernelI22helper_blocked_blockediLj64ELj3ELj10EEvPKT0_PS1_, .Lfunc_end2-_Z16sort_keys_kernelI22helper_blocked_blockediLj64ELj3ELj10EEvPKT0_PS1_
                                        ; -- End function
	.set _Z16sort_keys_kernelI22helper_blocked_blockediLj64ELj3ELj10EEvPKT0_PS1_.num_vgpr, 25
	.set _Z16sort_keys_kernelI22helper_blocked_blockediLj64ELj3ELj10EEvPKT0_PS1_.num_agpr, 0
	.set _Z16sort_keys_kernelI22helper_blocked_blockediLj64ELj3ELj10EEvPKT0_PS1_.numbered_sgpr, 26
	.set _Z16sort_keys_kernelI22helper_blocked_blockediLj64ELj3ELj10EEvPKT0_PS1_.num_named_barrier, 0
	.set _Z16sort_keys_kernelI22helper_blocked_blockediLj64ELj3ELj10EEvPKT0_PS1_.private_seg_size, 0
	.set _Z16sort_keys_kernelI22helper_blocked_blockediLj64ELj3ELj10EEvPKT0_PS1_.uses_vcc, 1
	.set _Z16sort_keys_kernelI22helper_blocked_blockediLj64ELj3ELj10EEvPKT0_PS1_.uses_flat_scratch, 0
	.set _Z16sort_keys_kernelI22helper_blocked_blockediLj64ELj3ELj10EEvPKT0_PS1_.has_dyn_sized_stack, 0
	.set _Z16sort_keys_kernelI22helper_blocked_blockediLj64ELj3ELj10EEvPKT0_PS1_.has_recursion, 0
	.set _Z16sort_keys_kernelI22helper_blocked_blockediLj64ELj3ELj10EEvPKT0_PS1_.has_indirect_call, 0
	.section	.AMDGPU.csdata,"",@progbits
; Kernel info:
; codeLenInByte = 1988
; TotalNumSgprs: 30
; NumVgprs: 25
; ScratchSize: 0
; MemoryBound: 0
; FloatMode: 240
; IeeeMode: 1
; LDSByteSize: 1040 bytes/workgroup (compile time only)
; SGPRBlocks: 3
; VGPRBlocks: 6
; NumSGPRsForWavesPerEU: 30
; NumVGPRsForWavesPerEU: 25
; Occupancy: 9
; WaveLimiterHint : 1
; COMPUTE_PGM_RSRC2:SCRATCH_EN: 0
; COMPUTE_PGM_RSRC2:USER_SGPR: 6
; COMPUTE_PGM_RSRC2:TRAP_HANDLER: 0
; COMPUTE_PGM_RSRC2:TGID_X_EN: 1
; COMPUTE_PGM_RSRC2:TGID_Y_EN: 0
; COMPUTE_PGM_RSRC2:TGID_Z_EN: 0
; COMPUTE_PGM_RSRC2:TIDIG_COMP_CNT: 2
	.section	.text._Z17sort_pairs_kernelI22helper_blocked_blockediLj64ELj3ELj10EEvPKT0_PS1_,"axG",@progbits,_Z17sort_pairs_kernelI22helper_blocked_blockediLj64ELj3ELj10EEvPKT0_PS1_,comdat
	.protected	_Z17sort_pairs_kernelI22helper_blocked_blockediLj64ELj3ELj10EEvPKT0_PS1_ ; -- Begin function _Z17sort_pairs_kernelI22helper_blocked_blockediLj64ELj3ELj10EEvPKT0_PS1_
	.globl	_Z17sort_pairs_kernelI22helper_blocked_blockediLj64ELj3ELj10EEvPKT0_PS1_
	.p2align	8
	.type	_Z17sort_pairs_kernelI22helper_blocked_blockediLj64ELj3ELj10EEvPKT0_PS1_,@function
_Z17sort_pairs_kernelI22helper_blocked_blockediLj64ELj3ELj10EEvPKT0_PS1_: ; @_Z17sort_pairs_kernelI22helper_blocked_blockediLj64ELj3ELj10EEvPKT0_PS1_
; %bb.0:
	s_load_dwordx4 s[16:19], s[4:5], 0x0
	s_load_dword s24, s[4:5], 0x1c
	s_mul_i32 s22, s6, 0xc0
	s_mov_b32 s23, 0
	s_lshl_b64 s[20:21], s[22:23], 2
	s_waitcnt lgkmcnt(0)
	s_add_u32 s0, s16, s20
	s_addc_u32 s1, s17, s21
	v_lshlrev_b32_e32 v4, 2, v0
	global_load_dword v12, v4, s[0:1]
	global_load_dword v13, v4, s[0:1] offset:256
	global_load_dword v14, v4, s[0:1] offset:512
	v_mbcnt_lo_u32_b32 v5, -1, 0
	v_mbcnt_hi_u32_b32 v5, -1, v5
	s_lshr_b32 s22, s24, 16
	v_subrev_co_u32_e64 v11, s[14:15], 1, v5
	v_and_b32_e32 v15, 64, v5
	s_and_b32 s24, s24, 0xffff
	v_mad_u32_u24 v1, v2, s22, v1
	v_cmp_lt_i32_e64 s[16:17], v11, v15
	v_mad_u32_u24 v1, v1, s24, v0
	v_lshlrev_b32_e32 v6, 4, v0
	v_cmp_eq_u32_e32 vcc, 0, v0
	v_and_b32_e32 v9, 15, v5
	v_and_b32_e32 v10, 16, v5
	v_sub_u32_e32 v16, 0, v4
	v_cndmask_b32_e64 v4, v11, v5, s[16:17]
	v_lshrrev_b32_e32 v1, 4, v1
	v_mov_b32_e32 v3, 0
	v_cmp_eq_u32_e64 s[0:1], 63, v0
	v_mul_u32_u24_e32 v7, 12, v5
	v_lshlrev_b32_e32 v8, 2, v5
	v_cmp_lt_u32_e64 s[2:3], 31, v5
	v_cmp_eq_u32_e64 s[4:5], 0, v9
	v_cmp_lt_u32_e64 s[6:7], 1, v9
	v_cmp_lt_u32_e64 s[8:9], 3, v9
	;; [unrolled: 1-line block ×3, first 2 shown]
	v_cmp_eq_u32_e64 s[12:13], 0, v10
	v_lshlrev_b32_e32 v9, 2, v4
	s_or_b64 s[16:17], vcc, s[14:15]
	v_and_b32_e32 v10, 0xffffffc, v1
	v_add_u32_e32 v11, v6, v16
	s_waitcnt vmcnt(2)
	v_add_u32_e32 v4, 1, v12
	s_waitcnt vmcnt(1)
	;; [unrolled: 2-line block ×3, first 2 shown]
	v_add_u32_e32 v15, 1, v14
	s_branch .LBB3_2
.LBB3_1:                                ;   in Loop: Header=BB3_2 Depth=1
	v_lshlrev_b32_e32 v4, 2, v22
	v_lshlrev_b32_e32 v5, 2, v20
	;; [unrolled: 1-line block ×3, first 2 shown]
	; wave barrier
	ds_write_b32 v4, v18
	ds_write_b32 v5, v17
	;; [unrolled: 1-line block ×3, first 2 shown]
	s_waitcnt lgkmcnt(0)
	; wave barrier
	ds_read2_b32 v[1:2], v11 offset1:1
	ds_read_b32 v17, v11 offset:8
	s_waitcnt lgkmcnt(0)
	; wave barrier
	ds_write_b32 v4, v14
	ds_write_b32 v5, v13
	;; [unrolled: 1-line block ×3, first 2 shown]
	s_waitcnt lgkmcnt(0)
	; wave barrier
	ds_read2_b32 v[4:5], v11 offset1:1
	ds_read_b32 v15, v11 offset:8
	s_add_i32 s23, s23, 1
	v_xor_b32_e32 v12, 0x80000000, v1
	v_xor_b32_e32 v13, 0x80000000, v2
	s_cmp_eq_u32 s23, 10
	v_xor_b32_e32 v14, 0x80000000, v17
	s_cbranch_scc1 .LBB3_14
.LBB3_2:                                ; =>This Loop Header: Depth=1
                                        ;     Child Loop BB3_4 Depth 2
	v_xor_b32_e32 v1, 0x80000000, v12
	v_xor_b32_e32 v2, 0x80000000, v13
	;; [unrolled: 1-line block ×3, first 2 shown]
	ds_write2_b32 v7, v1, v2 offset1:1
	ds_write_b32 v7, v12 offset:8
	; wave barrier
	ds_read2st64_b32 v[1:2], v8 offset1:1
	ds_read_b32 v21, v8 offset:512
	; wave barrier
	s_waitcnt lgkmcnt(5)
	ds_write2_b32 v7, v4, v5 offset1:1
	s_waitcnt lgkmcnt(5)
	ds_write_b32 v7, v15 offset:8
	; wave barrier
	ds_read2st64_b32 v[4:5], v8 offset1:1
	ds_read_b32 v23, v8 offset:512
	v_mov_b32_e32 v16, v3
	s_waitcnt lgkmcnt(0)
	; wave barrier
	s_branch .LBB3_4
.LBB3_3:                                ;   in Loop: Header=BB3_4 Depth=2
	s_andn2_b64 vcc, exec, s[14:15]
	s_cbranch_vccz .LBB3_1
.LBB3_4:                                ;   Parent Loop BB3_2 Depth=1
                                        ; =>  This Inner Loop Header: Depth=2
	v_mov_b32_e32 v18, v1
	v_lshrrev_b32_e32 v1, v16, v18
	v_mov_b32_e32 v17, v2
	v_and_b32_e32 v2, 0xff, v1
	v_lshl_add_u32 v19, v2, 2, v10
	v_and_b32_e32 v2, 1, v1
	v_mov_b32_e32 v14, v4
	v_add_co_u32_e32 v4, vcc, -1, v2
	v_mov_b32_e32 v13, v5
	v_addc_co_u32_e64 v5, s[14:15], 0, -1, vcc
	v_cmp_ne_u32_e32 vcc, 0, v2
	v_xor_b32_e32 v4, vcc_lo, v4
	v_xor_b32_e32 v2, vcc_hi, v5
	v_and_b32_e32 v5, exec_lo, v4
	v_lshlrev_b32_e32 v4, 30, v1
	v_cmp_gt_i64_e32 vcc, 0, v[3:4]
	v_not_b32_e32 v4, v4
	v_ashrrev_i32_e32 v4, 31, v4
	v_xor_b32_e32 v20, vcc_hi, v4
	v_xor_b32_e32 v4, vcc_lo, v4
	v_and_b32_e32 v5, v5, v4
	v_lshlrev_b32_e32 v4, 29, v1
	v_cmp_gt_i64_e32 vcc, 0, v[3:4]
	v_not_b32_e32 v4, v4
	v_and_b32_e32 v2, exec_hi, v2
	v_ashrrev_i32_e32 v4, 31, v4
	v_and_b32_e32 v2, v2, v20
	v_xor_b32_e32 v20, vcc_hi, v4
	v_xor_b32_e32 v4, vcc_lo, v4
	v_and_b32_e32 v5, v5, v4
	v_lshlrev_b32_e32 v4, 28, v1
	v_cmp_gt_i64_e32 vcc, 0, v[3:4]
	v_not_b32_e32 v4, v4
	v_ashrrev_i32_e32 v4, 31, v4
	v_and_b32_e32 v2, v2, v20
	v_xor_b32_e32 v20, vcc_hi, v4
	v_xor_b32_e32 v4, vcc_lo, v4
	v_and_b32_e32 v5, v5, v4
	v_lshlrev_b32_e32 v4, 27, v1
	v_cmp_gt_i64_e32 vcc, 0, v[3:4]
	v_not_b32_e32 v4, v4
	v_ashrrev_i32_e32 v4, 31, v4
	v_and_b32_e32 v2, v2, v20
	v_xor_b32_e32 v20, vcc_hi, v4
	v_xor_b32_e32 v4, vcc_lo, v4
	v_and_b32_e32 v5, v5, v4
	v_lshlrev_b32_e32 v4, 26, v1
	v_cmp_gt_i64_e32 vcc, 0, v[3:4]
	v_not_b32_e32 v4, v4
	v_ashrrev_i32_e32 v4, 31, v4
	v_and_b32_e32 v2, v2, v20
	v_xor_b32_e32 v20, vcc_hi, v4
	v_xor_b32_e32 v4, vcc_lo, v4
	v_and_b32_e32 v5, v5, v4
	v_lshlrev_b32_e32 v4, 25, v1
	v_cmp_gt_i64_e32 vcc, 0, v[3:4]
	v_not_b32_e32 v4, v4
	v_ashrrev_i32_e32 v4, 31, v4
	v_and_b32_e32 v2, v2, v20
	v_xor_b32_e32 v20, vcc_hi, v4
	v_xor_b32_e32 v4, vcc_lo, v4
	v_and_b32_e32 v5, v5, v4
	v_lshlrev_b32_e32 v4, 24, v1
	v_cmp_gt_i64_e32 vcc, 0, v[3:4]
	v_not_b32_e32 v1, v4
	v_ashrrev_i32_e32 v1, 31, v1
	v_xor_b32_e32 v4, vcc_hi, v1
	v_xor_b32_e32 v1, vcc_lo, v1
	v_and_b32_e32 v2, v2, v20
	v_and_b32_e32 v1, v5, v1
	;; [unrolled: 1-line block ×3, first 2 shown]
	v_mbcnt_lo_u32_b32 v4, v1, 0
	v_mbcnt_hi_u32_b32 v20, v2, v4
	v_cmp_ne_u64_e32 vcc, 0, v[1:2]
	v_cmp_eq_u32_e64 s[14:15], 0, v20
	v_mov_b32_e32 v15, v21
	v_mov_b32_e32 v12, v23
	s_and_b64 s[24:25], vcc, s[14:15]
	ds_write2_b32 v6, v3, v3 offset0:1 offset1:2
	ds_write2_b32 v6, v3, v3 offset0:3 offset1:4
	s_waitcnt lgkmcnt(0)
	; wave barrier
	; wave barrier
	s_and_saveexec_b64 s[14:15], s[24:25]
; %bb.5:                                ;   in Loop: Header=BB3_4 Depth=2
	v_bcnt_u32_b32 v1, v1, 0
	v_bcnt_u32_b32 v1, v2, v1
	ds_write_b32 v19, v1 offset:4
; %bb.6:                                ;   in Loop: Header=BB3_4 Depth=2
	s_or_b64 exec, exec, s[14:15]
	v_lshrrev_b32_e32 v1, v16, v17
	v_and_b32_e32 v2, 0xff, v1
	v_lshl_add_u32 v22, v2, 2, v10
	v_and_b32_e32 v2, 1, v1
	v_add_co_u32_e32 v4, vcc, -1, v2
	v_addc_co_u32_e64 v5, s[14:15], 0, -1, vcc
	v_cmp_ne_u32_e32 vcc, 0, v2
	v_xor_b32_e32 v4, vcc_lo, v4
	v_xor_b32_e32 v2, vcc_hi, v5
	v_and_b32_e32 v5, exec_lo, v4
	v_lshlrev_b32_e32 v4, 30, v1
	v_cmp_gt_i64_e32 vcc, 0, v[3:4]
	v_not_b32_e32 v4, v4
	v_ashrrev_i32_e32 v4, 31, v4
	v_xor_b32_e32 v23, vcc_hi, v4
	v_xor_b32_e32 v4, vcc_lo, v4
	v_and_b32_e32 v5, v5, v4
	v_lshlrev_b32_e32 v4, 29, v1
	v_cmp_gt_i64_e32 vcc, 0, v[3:4]
	v_not_b32_e32 v4, v4
	v_and_b32_e32 v2, exec_hi, v2
	v_ashrrev_i32_e32 v4, 31, v4
	v_and_b32_e32 v2, v2, v23
	v_xor_b32_e32 v23, vcc_hi, v4
	v_xor_b32_e32 v4, vcc_lo, v4
	v_and_b32_e32 v5, v5, v4
	v_lshlrev_b32_e32 v4, 28, v1
	v_cmp_gt_i64_e32 vcc, 0, v[3:4]
	v_not_b32_e32 v4, v4
	v_ashrrev_i32_e32 v4, 31, v4
	v_and_b32_e32 v2, v2, v23
	v_xor_b32_e32 v23, vcc_hi, v4
	v_xor_b32_e32 v4, vcc_lo, v4
	v_and_b32_e32 v5, v5, v4
	v_lshlrev_b32_e32 v4, 27, v1
	v_cmp_gt_i64_e32 vcc, 0, v[3:4]
	v_not_b32_e32 v4, v4
	;; [unrolled: 8-line block ×5, first 2 shown]
	v_ashrrev_i32_e32 v1, 31, v1
	v_xor_b32_e32 v4, vcc_hi, v1
	v_xor_b32_e32 v1, vcc_lo, v1
	; wave barrier
	ds_read_b32 v21, v22 offset:4
	v_and_b32_e32 v2, v2, v23
	v_and_b32_e32 v1, v5, v1
	v_and_b32_e32 v2, v2, v4
	v_mbcnt_lo_u32_b32 v4, v1, 0
	v_mbcnt_hi_u32_b32 v23, v2, v4
	v_cmp_ne_u64_e32 vcc, 0, v[1:2]
	v_cmp_eq_u32_e64 s[14:15], 0, v23
	s_and_b64 s[24:25], vcc, s[14:15]
	; wave barrier
	s_and_saveexec_b64 s[14:15], s[24:25]
	s_cbranch_execz .LBB3_8
; %bb.7:                                ;   in Loop: Header=BB3_4 Depth=2
	v_bcnt_u32_b32 v1, v1, 0
	v_bcnt_u32_b32 v1, v2, v1
	s_waitcnt lgkmcnt(0)
	v_add_u32_e32 v1, v21, v1
	ds_write_b32 v22, v1 offset:4
.LBB3_8:                                ;   in Loop: Header=BB3_4 Depth=2
	s_or_b64 exec, exec, s[14:15]
	v_lshrrev_b32_e32 v1, v16, v15
	v_and_b32_e32 v2, 0xff, v1
	v_lshl_add_u32 v25, v2, 2, v10
	v_and_b32_e32 v2, 1, v1
	v_add_co_u32_e32 v4, vcc, -1, v2
	v_addc_co_u32_e64 v5, s[14:15], 0, -1, vcc
	v_cmp_ne_u32_e32 vcc, 0, v2
	v_xor_b32_e32 v4, vcc_lo, v4
	v_xor_b32_e32 v2, vcc_hi, v5
	v_and_b32_e32 v5, exec_lo, v4
	v_lshlrev_b32_e32 v4, 30, v1
	v_cmp_gt_i64_e32 vcc, 0, v[3:4]
	v_not_b32_e32 v4, v4
	v_ashrrev_i32_e32 v4, 31, v4
	v_xor_b32_e32 v26, vcc_hi, v4
	v_xor_b32_e32 v4, vcc_lo, v4
	v_and_b32_e32 v5, v5, v4
	v_lshlrev_b32_e32 v4, 29, v1
	v_cmp_gt_i64_e32 vcc, 0, v[3:4]
	v_not_b32_e32 v4, v4
	v_and_b32_e32 v2, exec_hi, v2
	v_ashrrev_i32_e32 v4, 31, v4
	v_and_b32_e32 v2, v2, v26
	v_xor_b32_e32 v26, vcc_hi, v4
	v_xor_b32_e32 v4, vcc_lo, v4
	v_and_b32_e32 v5, v5, v4
	v_lshlrev_b32_e32 v4, 28, v1
	v_cmp_gt_i64_e32 vcc, 0, v[3:4]
	v_not_b32_e32 v4, v4
	v_ashrrev_i32_e32 v4, 31, v4
	v_and_b32_e32 v2, v2, v26
	v_xor_b32_e32 v26, vcc_hi, v4
	v_xor_b32_e32 v4, vcc_lo, v4
	v_and_b32_e32 v5, v5, v4
	v_lshlrev_b32_e32 v4, 27, v1
	v_cmp_gt_i64_e32 vcc, 0, v[3:4]
	v_not_b32_e32 v4, v4
	;; [unrolled: 8-line block ×5, first 2 shown]
	v_ashrrev_i32_e32 v1, 31, v1
	v_xor_b32_e32 v4, vcc_hi, v1
	v_xor_b32_e32 v1, vcc_lo, v1
	; wave barrier
	ds_read_b32 v24, v25 offset:4
	v_and_b32_e32 v2, v2, v26
	v_and_b32_e32 v1, v5, v1
	;; [unrolled: 1-line block ×3, first 2 shown]
	v_mbcnt_lo_u32_b32 v4, v1, 0
	v_mbcnt_hi_u32_b32 v26, v2, v4
	v_cmp_ne_u64_e32 vcc, 0, v[1:2]
	v_cmp_eq_u32_e64 s[14:15], 0, v26
	s_and_b64 s[24:25], vcc, s[14:15]
	; wave barrier
	s_and_saveexec_b64 s[14:15], s[24:25]
	s_cbranch_execz .LBB3_10
; %bb.9:                                ;   in Loop: Header=BB3_4 Depth=2
	v_bcnt_u32_b32 v1, v1, 0
	v_bcnt_u32_b32 v1, v2, v1
	s_waitcnt lgkmcnt(0)
	v_add_u32_e32 v1, v24, v1
	ds_write_b32 v25, v1 offset:4
.LBB3_10:                               ;   in Loop: Header=BB3_4 Depth=2
	s_or_b64 exec, exec, s[14:15]
	; wave barrier
	s_waitcnt lgkmcnt(0)
	; wave barrier
	ds_read2_b32 v[4:5], v6 offset0:1 offset1:2
	ds_read2_b32 v[1:2], v6 offset0:3 offset1:4
	s_waitcnt lgkmcnt(1)
	v_add_u32_e32 v27, v5, v4
	s_waitcnt lgkmcnt(0)
	v_add3_u32 v2, v27, v1, v2
	s_nop 1
	v_mov_b32_dpp v27, v2 row_shr:1 row_mask:0xf bank_mask:0xf
	v_cndmask_b32_e64 v27, v27, 0, s[4:5]
	v_add_u32_e32 v2, v27, v2
	s_nop 1
	v_mov_b32_dpp v27, v2 row_shr:2 row_mask:0xf bank_mask:0xf
	v_cndmask_b32_e64 v27, 0, v27, s[6:7]
	v_add_u32_e32 v2, v2, v27
	;; [unrolled: 4-line block ×4, first 2 shown]
	s_nop 1
	v_mov_b32_dpp v27, v2 row_bcast:15 row_mask:0xf bank_mask:0xf
	v_cndmask_b32_e64 v27, v27, 0, s[12:13]
	v_add_u32_e32 v2, v2, v27
	s_nop 1
	v_mov_b32_dpp v27, v2 row_bcast:31 row_mask:0xf bank_mask:0xf
	v_cndmask_b32_e64 v27, 0, v27, s[2:3]
	v_add_u32_e32 v2, v2, v27
	s_and_saveexec_b64 s[14:15], s[0:1]
; %bb.11:                               ;   in Loop: Header=BB3_4 Depth=2
	ds_write_b32 v3, v2
; %bb.12:                               ;   in Loop: Header=BB3_4 Depth=2
	s_or_b64 exec, exec, s[14:15]
	ds_bpermute_b32 v2, v9, v2
	s_waitcnt lgkmcnt(0)
	; wave barrier
	v_cmp_lt_u32_e32 vcc, 23, v16
	s_and_b64 vcc, exec, vcc
	v_cndmask_b32_e64 v2, v2, 0, s[16:17]
	v_add_u32_e32 v4, v2, v4
	v_add_u32_e32 v5, v4, v5
	;; [unrolled: 1-line block ×3, first 2 shown]
	ds_write2_b32 v6, v2, v4 offset0:1 offset1:2
	ds_write2_b32 v6, v5, v1 offset0:3 offset1:4
	s_waitcnt lgkmcnt(0)
	; wave barrier
	ds_read_b32 v1, v19 offset:4
	ds_read_b32 v2, v22 offset:4
	;; [unrolled: 1-line block ×3, first 2 shown]
	s_mov_b64 s[14:15], -1
	s_waitcnt lgkmcnt(2)
	v_add_u32_e32 v22, v1, v20
	s_waitcnt lgkmcnt(1)
	v_add3_u32 v20, v23, v21, v2
	s_waitcnt lgkmcnt(0)
	v_add3_u32 v19, v26, v24, v4
                                        ; implicit-def: $vgpr21
                                        ; implicit-def: $vgpr2
                                        ; implicit-def: $vgpr23
                                        ; implicit-def: $vgpr5
	s_cbranch_vccnz .LBB3_3
; %bb.13:                               ;   in Loop: Header=BB3_4 Depth=2
	v_lshlrev_b32_e32 v4, 2, v22
	v_lshlrev_b32_e32 v5, 2, v20
	;; [unrolled: 1-line block ×3, first 2 shown]
	; wave barrier
	ds_write_b32 v4, v18
	ds_write_b32 v5, v17
	;; [unrolled: 1-line block ×3, first 2 shown]
	s_waitcnt lgkmcnt(0)
	; wave barrier
	ds_read2st64_b32 v[1:2], v8 offset1:1
	ds_read_b32 v21, v8 offset:512
	s_waitcnt lgkmcnt(0)
	; wave barrier
	ds_write_b32 v4, v14
	ds_write_b32 v5, v13
	;; [unrolled: 1-line block ×3, first 2 shown]
	s_waitcnt lgkmcnt(0)
	; wave barrier
	ds_read2st64_b32 v[4:5], v8 offset1:1
	ds_read_b32 v23, v8 offset:512
	v_add_u32_e32 v16, 8, v16
	s_mov_b64 s[14:15], 0
	s_waitcnt lgkmcnt(0)
	; wave barrier
	s_branch .LBB3_3
.LBB3_14:
	s_add_u32 s0, s18, s20
	s_waitcnt lgkmcnt(1)
	v_add_u32_e32 v1, v12, v4
	s_addc_u32 s1, s19, s21
	v_lshlrev_b32_e32 v0, 2, v0
	v_add_u32_e32 v2, v13, v5
	s_waitcnt lgkmcnt(0)
	v_add_u32_e32 v3, v14, v15
	global_store_dword v0, v1, s[0:1]
	global_store_dword v0, v2, s[0:1] offset:256
	global_store_dword v0, v3, s[0:1] offset:512
	s_endpgm
	.section	.rodata,"a",@progbits
	.p2align	6, 0x0
	.amdhsa_kernel _Z17sort_pairs_kernelI22helper_blocked_blockediLj64ELj3ELj10EEvPKT0_PS1_
		.amdhsa_group_segment_fixed_size 1040
		.amdhsa_private_segment_fixed_size 0
		.amdhsa_kernarg_size 272
		.amdhsa_user_sgpr_count 6
		.amdhsa_user_sgpr_private_segment_buffer 1
		.amdhsa_user_sgpr_dispatch_ptr 0
		.amdhsa_user_sgpr_queue_ptr 0
		.amdhsa_user_sgpr_kernarg_segment_ptr 1
		.amdhsa_user_sgpr_dispatch_id 0
		.amdhsa_user_sgpr_flat_scratch_init 0
		.amdhsa_user_sgpr_private_segment_size 0
		.amdhsa_uses_dynamic_stack 0
		.amdhsa_system_sgpr_private_segment_wavefront_offset 0
		.amdhsa_system_sgpr_workgroup_id_x 1
		.amdhsa_system_sgpr_workgroup_id_y 0
		.amdhsa_system_sgpr_workgroup_id_z 0
		.amdhsa_system_sgpr_workgroup_info 0
		.amdhsa_system_vgpr_workitem_id 2
		.amdhsa_next_free_vgpr 28
		.amdhsa_next_free_sgpr 26
		.amdhsa_reserve_vcc 1
		.amdhsa_reserve_flat_scratch 0
		.amdhsa_float_round_mode_32 0
		.amdhsa_float_round_mode_16_64 0
		.amdhsa_float_denorm_mode_32 3
		.amdhsa_float_denorm_mode_16_64 3
		.amdhsa_dx10_clamp 1
		.amdhsa_ieee_mode 1
		.amdhsa_fp16_overflow 0
		.amdhsa_exception_fp_ieee_invalid_op 0
		.amdhsa_exception_fp_denorm_src 0
		.amdhsa_exception_fp_ieee_div_zero 0
		.amdhsa_exception_fp_ieee_overflow 0
		.amdhsa_exception_fp_ieee_underflow 0
		.amdhsa_exception_fp_ieee_inexact 0
		.amdhsa_exception_int_div_zero 0
	.end_amdhsa_kernel
	.section	.text._Z17sort_pairs_kernelI22helper_blocked_blockediLj64ELj3ELj10EEvPKT0_PS1_,"axG",@progbits,_Z17sort_pairs_kernelI22helper_blocked_blockediLj64ELj3ELj10EEvPKT0_PS1_,comdat
.Lfunc_end3:
	.size	_Z17sort_pairs_kernelI22helper_blocked_blockediLj64ELj3ELj10EEvPKT0_PS1_, .Lfunc_end3-_Z17sort_pairs_kernelI22helper_blocked_blockediLj64ELj3ELj10EEvPKT0_PS1_
                                        ; -- End function
	.set _Z17sort_pairs_kernelI22helper_blocked_blockediLj64ELj3ELj10EEvPKT0_PS1_.num_vgpr, 28
	.set _Z17sort_pairs_kernelI22helper_blocked_blockediLj64ELj3ELj10EEvPKT0_PS1_.num_agpr, 0
	.set _Z17sort_pairs_kernelI22helper_blocked_blockediLj64ELj3ELj10EEvPKT0_PS1_.numbered_sgpr, 26
	.set _Z17sort_pairs_kernelI22helper_blocked_blockediLj64ELj3ELj10EEvPKT0_PS1_.num_named_barrier, 0
	.set _Z17sort_pairs_kernelI22helper_blocked_blockediLj64ELj3ELj10EEvPKT0_PS1_.private_seg_size, 0
	.set _Z17sort_pairs_kernelI22helper_blocked_blockediLj64ELj3ELj10EEvPKT0_PS1_.uses_vcc, 1
	.set _Z17sort_pairs_kernelI22helper_blocked_blockediLj64ELj3ELj10EEvPKT0_PS1_.uses_flat_scratch, 0
	.set _Z17sort_pairs_kernelI22helper_blocked_blockediLj64ELj3ELj10EEvPKT0_PS1_.has_dyn_sized_stack, 0
	.set _Z17sort_pairs_kernelI22helper_blocked_blockediLj64ELj3ELj10EEvPKT0_PS1_.has_recursion, 0
	.set _Z17sort_pairs_kernelI22helper_blocked_blockediLj64ELj3ELj10EEvPKT0_PS1_.has_indirect_call, 0
	.section	.AMDGPU.csdata,"",@progbits
; Kernel info:
; codeLenInByte = 2160
; TotalNumSgprs: 30
; NumVgprs: 28
; ScratchSize: 0
; MemoryBound: 0
; FloatMode: 240
; IeeeMode: 1
; LDSByteSize: 1040 bytes/workgroup (compile time only)
; SGPRBlocks: 3
; VGPRBlocks: 6
; NumSGPRsForWavesPerEU: 30
; NumVGPRsForWavesPerEU: 28
; Occupancy: 9
; WaveLimiterHint : 1
; COMPUTE_PGM_RSRC2:SCRATCH_EN: 0
; COMPUTE_PGM_RSRC2:USER_SGPR: 6
; COMPUTE_PGM_RSRC2:TRAP_HANDLER: 0
; COMPUTE_PGM_RSRC2:TGID_X_EN: 1
; COMPUTE_PGM_RSRC2:TGID_Y_EN: 0
; COMPUTE_PGM_RSRC2:TGID_Z_EN: 0
; COMPUTE_PGM_RSRC2:TIDIG_COMP_CNT: 2
	.section	.text._Z16sort_keys_kernelI22helper_blocked_blockediLj64ELj4ELj10EEvPKT0_PS1_,"axG",@progbits,_Z16sort_keys_kernelI22helper_blocked_blockediLj64ELj4ELj10EEvPKT0_PS1_,comdat
	.protected	_Z16sort_keys_kernelI22helper_blocked_blockediLj64ELj4ELj10EEvPKT0_PS1_ ; -- Begin function _Z16sort_keys_kernelI22helper_blocked_blockediLj64ELj4ELj10EEvPKT0_PS1_
	.globl	_Z16sort_keys_kernelI22helper_blocked_blockediLj64ELj4ELj10EEvPKT0_PS1_
	.p2align	8
	.type	_Z16sort_keys_kernelI22helper_blocked_blockediLj64ELj4ELj10EEvPKT0_PS1_,@function
_Z16sort_keys_kernelI22helper_blocked_blockediLj64ELj4ELj10EEvPKT0_PS1_: ; @_Z16sort_keys_kernelI22helper_blocked_blockediLj64ELj4ELj10EEvPKT0_PS1_
; %bb.0:
	s_load_dwordx4 s[24:27], s[4:5], 0x0
	s_load_dword s8, s[4:5], 0x1c
	s_lshl_b32 s28, s6, 8
	s_mov_b32 s29, 0
	s_lshl_b64 s[30:31], s[28:29], 2
	s_waitcnt lgkmcnt(0)
	s_add_u32 s0, s24, s30
	s_addc_u32 s1, s25, s31
	v_lshlrev_b32_e32 v3, 2, v0
	global_load_dword v15, v3, s[0:1]
	global_load_dword v4, v3, s[0:1] offset:256
	global_load_dword v5, v3, s[0:1] offset:512
	;; [unrolled: 1-line block ×3, first 2 shown]
	v_mbcnt_lo_u32_b32 v6, -1, 0
	v_mbcnt_hi_u32_b32 v12, -1, v6
	s_lshr_b32 s9, s8, 16
	s_and_b32 s8, s8, 0xffff
	v_mad_u32_u24 v1, v2, s9, v1
	v_and_b32_e32 v2, 15, v12
	v_mad_u32_u24 v1, v1, s8, v0
	v_cmp_eq_u32_e64 s[8:9], 0, v2
	v_cmp_lt_u32_e64 s[10:11], 1, v2
	v_cmp_lt_u32_e64 s[12:13], 3, v2
	;; [unrolled: 1-line block ×3, first 2 shown]
	v_and_b32_e32 v2, 16, v12
	v_lshrrev_b32_e32 v9, 2, v12
	v_and_b32_e32 v6, 3, v12
	v_and_b32_e32 v11, 64, v12
	v_cmp_eq_u32_e64 s[16:17], 0, v2
	v_subrev_co_u32_e32 v2, vcc, 1, v12
	v_cmp_eq_u32_e64 s[0:1], 3, v6
	v_cmp_eq_u32_e64 s[2:3], 2, v6
	;; [unrolled: 1-line block ×4, first 2 shown]
	v_or_b32_e32 v6, v9, v11
	v_add_u32_e32 v9, 48, v9
	v_cmp_lt_i32_e64 s[22:23], v2, v11
	v_lshlrev_b32_e32 v6, 2, v6
	v_and_or_b32 v9, v9, 63, v11
	v_cndmask_b32_e64 v2, v2, v12, s[22:23]
	v_cmp_eq_u32_e64 s[22:23], 0, v0
	v_lshrrev_b32_e32 v1, 4, v1
	v_mov_b32_e32 v3, 0
	v_add_u32_e32 v7, 64, v6
	v_or_b32_e32 v8, 0x80, v6
	v_lshlrev_b32_e32 v9, 2, v9
	v_lshlrev_b32_e32 v10, 4, v0
	v_cmp_lt_u32_e64 s[18:19], 31, v12
	v_cmp_eq_u32_e64 s[20:21], 63, v0
	v_lshlrev_b32_e32 v11, 2, v2
	s_or_b64 s[24:25], s[22:23], vcc
	v_lshlrev_b32_e32 v12, 2, v12
	v_and_b32_e32 v13, 0xffffffc, v1
	s_branch .LBB4_2
.LBB4_1:                                ;   in Loop: Header=BB4_2 Depth=1
	v_lshlrev_b32_e32 v1, 2, v22
	; wave barrier
	ds_write_b32 v1, v18
	v_lshlrev_b32_e32 v1, 2, v21
	ds_write_b32 v1, v17
	v_lshlrev_b32_e32 v1, 2, v20
	;; [unrolled: 2-line block ×3, first 2 shown]
	ds_write_b32 v1, v14
	s_waitcnt lgkmcnt(0)
	; wave barrier
	ds_read2_b64 v[15:18], v10 offset1:1
	s_add_i32 s29, s29, 1
	s_cmp_eq_u32 s29, 10
	s_waitcnt lgkmcnt(0)
	v_xor_b32_e32 v15, 0x80000000, v15
	v_xor_b32_e32 v4, 0x80000000, v16
	;; [unrolled: 1-line block ×4, first 2 shown]
	s_cbranch_scc1 .LBB4_16
.LBB4_2:                                ; =>This Loop Header: Depth=1
                                        ;     Child Loop BB4_4 Depth 2
	s_waitcnt vmcnt(3)
	v_xor_b32_e32 v15, 0x80000000, v15
	ds_bpermute_b32 v1, v6, v15
	s_waitcnt vmcnt(2)
	v_xor_b32_e32 v4, 0x80000000, v4
	s_waitcnt vmcnt(1)
	v_xor_b32_e32 v5, 0x80000000, v5
	ds_bpermute_b32 v2, v6, v4
	ds_bpermute_b32 v16, v6, v5
	;; [unrolled: 1-line block ×3, first 2 shown]
	s_waitcnt vmcnt(0)
	v_xor_b32_e32 v14, 0x80000000, v14
	ds_bpermute_b32 v17, v6, v14
	s_waitcnt lgkmcnt(4)
	v_cndmask_b32_e64 v1, 0, v1, s[6:7]
	ds_bpermute_b32 v19, v7, v4
	s_waitcnt lgkmcnt(4)
	v_cndmask_b32_e64 v1, v1, v2, s[4:5]
	s_waitcnt lgkmcnt(3)
	v_cndmask_b32_e64 v1, v1, v16, s[2:3]
	s_waitcnt lgkmcnt(2)
	v_cndmask_b32_e64 v2, 0, v18, s[6:7]
	ds_bpermute_b32 v16, v7, v5
	ds_bpermute_b32 v18, v8, v15
	s_waitcnt lgkmcnt(3)
	v_cndmask_b32_e64 v1, v1, v17, s[0:1]
	ds_bpermute_b32 v17, v7, v14
	s_waitcnt lgkmcnt(3)
	v_cndmask_b32_e64 v2, v2, v19, s[4:5]
	ds_bpermute_b32 v15, v9, v15
	ds_bpermute_b32 v19, v8, v4
	s_waitcnt lgkmcnt(4)
	v_cndmask_b32_e64 v2, v2, v16, s[2:3]
	s_waitcnt lgkmcnt(3)
	v_cndmask_b32_e64 v16, 0, v18, s[6:7]
	ds_bpermute_b32 v18, v9, v4
	ds_bpermute_b32 v20, v8, v5
	ds_bpermute_b32 v5, v9, v5
	s_waitcnt lgkmcnt(5)
	v_cndmask_b32_e64 v2, v2, v17, s[0:1]
	ds_bpermute_b32 v17, v8, v14
	ds_bpermute_b32 v14, v9, v14
	s_waitcnt lgkmcnt(6)
	v_cndmask_b32_e64 v15, 0, v15, s[6:7]
	s_waitcnt lgkmcnt(5)
	v_cndmask_b32_e64 v16, v16, v19, s[4:5]
	;; [unrolled: 2-line block ×7, first 2 shown]
	v_mov_b32_e32 v16, v3
	; wave barrier
	s_branch .LBB4_4
.LBB4_3:                                ;   in Loop: Header=BB4_4 Depth=2
	s_andn2_b64 vcc, exec, s[22:23]
	s_cbranch_vccz .LBB4_1
.LBB4_4:                                ;   Parent Loop BB4_2 Depth=1
                                        ; =>  This Inner Loop Header: Depth=2
	v_mov_b32_e32 v18, v1
	v_lshrrev_b32_e32 v1, v16, v18
	v_mov_b32_e32 v17, v2
	v_and_b32_e32 v2, 0xff, v1
	v_lshl_add_u32 v19, v2, 2, v13
	v_and_b32_e32 v2, 1, v1
	v_mov_b32_e32 v15, v4
	v_add_co_u32_e32 v4, vcc, -1, v2
	v_mov_b32_e32 v14, v5
	v_addc_co_u32_e64 v5, s[22:23], 0, -1, vcc
	v_cmp_ne_u32_e32 vcc, 0, v2
	v_xor_b32_e32 v4, vcc_lo, v4
	v_xor_b32_e32 v2, vcc_hi, v5
	v_and_b32_e32 v5, exec_lo, v4
	v_lshlrev_b32_e32 v4, 30, v1
	v_cmp_gt_i64_e32 vcc, 0, v[3:4]
	v_not_b32_e32 v4, v4
	v_ashrrev_i32_e32 v4, 31, v4
	v_xor_b32_e32 v20, vcc_hi, v4
	v_xor_b32_e32 v4, vcc_lo, v4
	v_and_b32_e32 v5, v5, v4
	v_lshlrev_b32_e32 v4, 29, v1
	v_cmp_gt_i64_e32 vcc, 0, v[3:4]
	v_not_b32_e32 v4, v4
	v_and_b32_e32 v2, exec_hi, v2
	v_ashrrev_i32_e32 v4, 31, v4
	v_and_b32_e32 v2, v2, v20
	v_xor_b32_e32 v20, vcc_hi, v4
	v_xor_b32_e32 v4, vcc_lo, v4
	v_and_b32_e32 v5, v5, v4
	v_lshlrev_b32_e32 v4, 28, v1
	v_cmp_gt_i64_e32 vcc, 0, v[3:4]
	v_not_b32_e32 v4, v4
	v_ashrrev_i32_e32 v4, 31, v4
	v_and_b32_e32 v2, v2, v20
	v_xor_b32_e32 v20, vcc_hi, v4
	v_xor_b32_e32 v4, vcc_lo, v4
	v_and_b32_e32 v5, v5, v4
	v_lshlrev_b32_e32 v4, 27, v1
	v_cmp_gt_i64_e32 vcc, 0, v[3:4]
	v_not_b32_e32 v4, v4
	;; [unrolled: 8-line block ×5, first 2 shown]
	v_ashrrev_i32_e32 v1, 31, v1
	v_xor_b32_e32 v4, vcc_hi, v1
	v_xor_b32_e32 v1, vcc_lo, v1
	v_and_b32_e32 v2, v2, v20
	v_and_b32_e32 v1, v5, v1
	;; [unrolled: 1-line block ×3, first 2 shown]
	v_mbcnt_lo_u32_b32 v4, v1, 0
	v_mbcnt_hi_u32_b32 v20, v2, v4
	v_cmp_ne_u64_e32 vcc, 0, v[1:2]
	v_cmp_eq_u32_e64 s[22:23], 0, v20
	s_and_b64 s[34:35], vcc, s[22:23]
	ds_write2_b32 v10, v3, v3 offset0:1 offset1:2
	ds_write2_b32 v10, v3, v3 offset0:3 offset1:4
	s_waitcnt lgkmcnt(0)
	; wave barrier
	; wave barrier
	s_and_saveexec_b64 s[22:23], s[34:35]
; %bb.5:                                ;   in Loop: Header=BB4_4 Depth=2
	v_bcnt_u32_b32 v1, v1, 0
	v_bcnt_u32_b32 v1, v2, v1
	ds_write_b32 v19, v1 offset:4
; %bb.6:                                ;   in Loop: Header=BB4_4 Depth=2
	s_or_b64 exec, exec, s[22:23]
	v_lshrrev_b32_e32 v1, v16, v17
	v_and_b32_e32 v2, 0xff, v1
	v_lshl_add_u32 v22, v2, 2, v13
	v_and_b32_e32 v2, 1, v1
	v_add_co_u32_e32 v4, vcc, -1, v2
	v_addc_co_u32_e64 v5, s[22:23], 0, -1, vcc
	v_cmp_ne_u32_e32 vcc, 0, v2
	v_xor_b32_e32 v4, vcc_lo, v4
	v_xor_b32_e32 v2, vcc_hi, v5
	v_and_b32_e32 v5, exec_lo, v4
	v_lshlrev_b32_e32 v4, 30, v1
	v_cmp_gt_i64_e32 vcc, 0, v[3:4]
	v_not_b32_e32 v4, v4
	v_ashrrev_i32_e32 v4, 31, v4
	v_xor_b32_e32 v23, vcc_hi, v4
	v_xor_b32_e32 v4, vcc_lo, v4
	v_and_b32_e32 v5, v5, v4
	v_lshlrev_b32_e32 v4, 29, v1
	v_cmp_gt_i64_e32 vcc, 0, v[3:4]
	v_not_b32_e32 v4, v4
	v_and_b32_e32 v2, exec_hi, v2
	v_ashrrev_i32_e32 v4, 31, v4
	v_and_b32_e32 v2, v2, v23
	v_xor_b32_e32 v23, vcc_hi, v4
	v_xor_b32_e32 v4, vcc_lo, v4
	v_and_b32_e32 v5, v5, v4
	v_lshlrev_b32_e32 v4, 28, v1
	v_cmp_gt_i64_e32 vcc, 0, v[3:4]
	v_not_b32_e32 v4, v4
	v_ashrrev_i32_e32 v4, 31, v4
	v_and_b32_e32 v2, v2, v23
	v_xor_b32_e32 v23, vcc_hi, v4
	v_xor_b32_e32 v4, vcc_lo, v4
	v_and_b32_e32 v5, v5, v4
	v_lshlrev_b32_e32 v4, 27, v1
	v_cmp_gt_i64_e32 vcc, 0, v[3:4]
	v_not_b32_e32 v4, v4
	;; [unrolled: 8-line block ×5, first 2 shown]
	v_ashrrev_i32_e32 v1, 31, v1
	v_xor_b32_e32 v4, vcc_hi, v1
	v_xor_b32_e32 v1, vcc_lo, v1
	; wave barrier
	ds_read_b32 v21, v22 offset:4
	v_and_b32_e32 v2, v2, v23
	v_and_b32_e32 v1, v5, v1
	;; [unrolled: 1-line block ×3, first 2 shown]
	v_mbcnt_lo_u32_b32 v4, v1, 0
	v_mbcnt_hi_u32_b32 v23, v2, v4
	v_cmp_ne_u64_e32 vcc, 0, v[1:2]
	v_cmp_eq_u32_e64 s[22:23], 0, v23
	s_and_b64 s[34:35], vcc, s[22:23]
	; wave barrier
	s_and_saveexec_b64 s[22:23], s[34:35]
	s_cbranch_execz .LBB4_8
; %bb.7:                                ;   in Loop: Header=BB4_4 Depth=2
	v_bcnt_u32_b32 v1, v1, 0
	v_bcnt_u32_b32 v1, v2, v1
	s_waitcnt lgkmcnt(0)
	v_add_u32_e32 v1, v21, v1
	ds_write_b32 v22, v1 offset:4
.LBB4_8:                                ;   in Loop: Header=BB4_4 Depth=2
	s_or_b64 exec, exec, s[22:23]
	v_lshrrev_b32_e32 v1, v16, v15
	v_and_b32_e32 v2, 0xff, v1
	v_lshl_add_u32 v25, v2, 2, v13
	v_and_b32_e32 v2, 1, v1
	v_add_co_u32_e32 v4, vcc, -1, v2
	v_addc_co_u32_e64 v5, s[22:23], 0, -1, vcc
	v_cmp_ne_u32_e32 vcc, 0, v2
	v_xor_b32_e32 v4, vcc_lo, v4
	v_xor_b32_e32 v2, vcc_hi, v5
	v_and_b32_e32 v5, exec_lo, v4
	v_lshlrev_b32_e32 v4, 30, v1
	v_cmp_gt_i64_e32 vcc, 0, v[3:4]
	v_not_b32_e32 v4, v4
	v_ashrrev_i32_e32 v4, 31, v4
	v_xor_b32_e32 v26, vcc_hi, v4
	v_xor_b32_e32 v4, vcc_lo, v4
	v_and_b32_e32 v5, v5, v4
	v_lshlrev_b32_e32 v4, 29, v1
	v_cmp_gt_i64_e32 vcc, 0, v[3:4]
	v_not_b32_e32 v4, v4
	v_and_b32_e32 v2, exec_hi, v2
	v_ashrrev_i32_e32 v4, 31, v4
	v_and_b32_e32 v2, v2, v26
	v_xor_b32_e32 v26, vcc_hi, v4
	v_xor_b32_e32 v4, vcc_lo, v4
	v_and_b32_e32 v5, v5, v4
	v_lshlrev_b32_e32 v4, 28, v1
	v_cmp_gt_i64_e32 vcc, 0, v[3:4]
	v_not_b32_e32 v4, v4
	v_ashrrev_i32_e32 v4, 31, v4
	v_and_b32_e32 v2, v2, v26
	v_xor_b32_e32 v26, vcc_hi, v4
	v_xor_b32_e32 v4, vcc_lo, v4
	v_and_b32_e32 v5, v5, v4
	v_lshlrev_b32_e32 v4, 27, v1
	v_cmp_gt_i64_e32 vcc, 0, v[3:4]
	v_not_b32_e32 v4, v4
	;; [unrolled: 8-line block ×5, first 2 shown]
	v_ashrrev_i32_e32 v1, 31, v1
	v_xor_b32_e32 v4, vcc_hi, v1
	v_xor_b32_e32 v1, vcc_lo, v1
	; wave barrier
	ds_read_b32 v24, v25 offset:4
	v_and_b32_e32 v2, v2, v26
	v_and_b32_e32 v1, v5, v1
	;; [unrolled: 1-line block ×3, first 2 shown]
	v_mbcnt_lo_u32_b32 v4, v1, 0
	v_mbcnt_hi_u32_b32 v26, v2, v4
	v_cmp_ne_u64_e32 vcc, 0, v[1:2]
	v_cmp_eq_u32_e64 s[22:23], 0, v26
	s_and_b64 s[34:35], vcc, s[22:23]
	; wave barrier
	s_and_saveexec_b64 s[22:23], s[34:35]
	s_cbranch_execz .LBB4_10
; %bb.9:                                ;   in Loop: Header=BB4_4 Depth=2
	v_bcnt_u32_b32 v1, v1, 0
	v_bcnt_u32_b32 v1, v2, v1
	s_waitcnt lgkmcnt(0)
	v_add_u32_e32 v1, v24, v1
	ds_write_b32 v25, v1 offset:4
.LBB4_10:                               ;   in Loop: Header=BB4_4 Depth=2
	s_or_b64 exec, exec, s[22:23]
	v_lshrrev_b32_e32 v1, v16, v14
	v_and_b32_e32 v2, 0xff, v1
	v_lshl_add_u32 v28, v2, 2, v13
	v_and_b32_e32 v2, 1, v1
	v_add_co_u32_e32 v4, vcc, -1, v2
	v_addc_co_u32_e64 v5, s[22:23], 0, -1, vcc
	v_cmp_ne_u32_e32 vcc, 0, v2
	v_xor_b32_e32 v4, vcc_lo, v4
	v_xor_b32_e32 v2, vcc_hi, v5
	v_and_b32_e32 v5, exec_lo, v4
	v_lshlrev_b32_e32 v4, 30, v1
	v_cmp_gt_i64_e32 vcc, 0, v[3:4]
	v_not_b32_e32 v4, v4
	v_ashrrev_i32_e32 v4, 31, v4
	v_xor_b32_e32 v29, vcc_hi, v4
	v_xor_b32_e32 v4, vcc_lo, v4
	v_and_b32_e32 v5, v5, v4
	v_lshlrev_b32_e32 v4, 29, v1
	v_cmp_gt_i64_e32 vcc, 0, v[3:4]
	v_not_b32_e32 v4, v4
	v_and_b32_e32 v2, exec_hi, v2
	v_ashrrev_i32_e32 v4, 31, v4
	v_and_b32_e32 v2, v2, v29
	v_xor_b32_e32 v29, vcc_hi, v4
	v_xor_b32_e32 v4, vcc_lo, v4
	v_and_b32_e32 v5, v5, v4
	v_lshlrev_b32_e32 v4, 28, v1
	v_cmp_gt_i64_e32 vcc, 0, v[3:4]
	v_not_b32_e32 v4, v4
	v_ashrrev_i32_e32 v4, 31, v4
	v_and_b32_e32 v2, v2, v29
	v_xor_b32_e32 v29, vcc_hi, v4
	v_xor_b32_e32 v4, vcc_lo, v4
	v_and_b32_e32 v5, v5, v4
	v_lshlrev_b32_e32 v4, 27, v1
	v_cmp_gt_i64_e32 vcc, 0, v[3:4]
	v_not_b32_e32 v4, v4
	;; [unrolled: 8-line block ×5, first 2 shown]
	v_ashrrev_i32_e32 v1, 31, v1
	v_xor_b32_e32 v4, vcc_hi, v1
	v_xor_b32_e32 v1, vcc_lo, v1
	; wave barrier
	ds_read_b32 v27, v28 offset:4
	v_and_b32_e32 v2, v2, v29
	v_and_b32_e32 v1, v5, v1
	;; [unrolled: 1-line block ×3, first 2 shown]
	v_mbcnt_lo_u32_b32 v4, v1, 0
	v_mbcnt_hi_u32_b32 v29, v2, v4
	v_cmp_ne_u64_e32 vcc, 0, v[1:2]
	v_cmp_eq_u32_e64 s[22:23], 0, v29
	s_and_b64 s[34:35], vcc, s[22:23]
	; wave barrier
	s_and_saveexec_b64 s[22:23], s[34:35]
	s_cbranch_execz .LBB4_12
; %bb.11:                               ;   in Loop: Header=BB4_4 Depth=2
	v_bcnt_u32_b32 v1, v1, 0
	v_bcnt_u32_b32 v1, v2, v1
	s_waitcnt lgkmcnt(0)
	v_add_u32_e32 v1, v27, v1
	ds_write_b32 v28, v1 offset:4
.LBB4_12:                               ;   in Loop: Header=BB4_4 Depth=2
	s_or_b64 exec, exec, s[22:23]
	; wave barrier
	s_waitcnt lgkmcnt(0)
	; wave barrier
	ds_read2_b32 v[4:5], v10 offset0:1 offset1:2
	ds_read2_b32 v[1:2], v10 offset0:3 offset1:4
	s_waitcnt lgkmcnt(1)
	v_add_u32_e32 v30, v5, v4
	s_waitcnt lgkmcnt(0)
	v_add3_u32 v2, v30, v1, v2
	s_nop 1
	v_mov_b32_dpp v30, v2 row_shr:1 row_mask:0xf bank_mask:0xf
	v_cndmask_b32_e64 v30, v30, 0, s[8:9]
	v_add_u32_e32 v2, v30, v2
	s_nop 1
	v_mov_b32_dpp v30, v2 row_shr:2 row_mask:0xf bank_mask:0xf
	v_cndmask_b32_e64 v30, 0, v30, s[10:11]
	v_add_u32_e32 v2, v2, v30
	s_nop 1
	v_mov_b32_dpp v30, v2 row_shr:4 row_mask:0xf bank_mask:0xf
	v_cndmask_b32_e64 v30, 0, v30, s[12:13]
	v_add_u32_e32 v2, v2, v30
	s_nop 1
	v_mov_b32_dpp v30, v2 row_shr:8 row_mask:0xf bank_mask:0xf
	v_cndmask_b32_e64 v30, 0, v30, s[14:15]
	v_add_u32_e32 v2, v2, v30
	s_nop 1
	v_mov_b32_dpp v30, v2 row_bcast:15 row_mask:0xf bank_mask:0xf
	v_cndmask_b32_e64 v30, v30, 0, s[16:17]
	v_add_u32_e32 v2, v2, v30
	s_nop 1
	v_mov_b32_dpp v30, v2 row_bcast:31 row_mask:0xf bank_mask:0xf
	v_cndmask_b32_e64 v30, 0, v30, s[18:19]
	v_add_u32_e32 v2, v2, v30
	s_and_saveexec_b64 s[22:23], s[20:21]
; %bb.13:                               ;   in Loop: Header=BB4_4 Depth=2
	ds_write_b32 v3, v2
; %bb.14:                               ;   in Loop: Header=BB4_4 Depth=2
	s_or_b64 exec, exec, s[22:23]
	ds_bpermute_b32 v2, v11, v2
	s_waitcnt lgkmcnt(0)
	; wave barrier
	v_cmp_lt_u32_e32 vcc, 23, v16
	s_and_b64 vcc, exec, vcc
	v_cndmask_b32_e64 v2, v2, 0, s[24:25]
	v_add_u32_e32 v4, v2, v4
	v_add_u32_e32 v5, v4, v5
	;; [unrolled: 1-line block ×3, first 2 shown]
	ds_write2_b32 v10, v2, v4 offset0:1 offset1:2
	ds_write2_b32 v10, v5, v1 offset0:3 offset1:4
	s_waitcnt lgkmcnt(0)
	; wave barrier
	ds_read_b32 v1, v19 offset:4
	ds_read_b32 v2, v22 offset:4
	ds_read_b32 v4, v25 offset:4
	ds_read_b32 v5, v28 offset:4
	s_mov_b64 s[22:23], -1
	s_waitcnt lgkmcnt(3)
	v_add_u32_e32 v22, v1, v20
	s_waitcnt lgkmcnt(2)
	v_add3_u32 v21, v23, v21, v2
	s_waitcnt lgkmcnt(1)
	v_add3_u32 v20, v26, v24, v4
	;; [unrolled: 2-line block ×3, first 2 shown]
                                        ; implicit-def: $vgpr5
                                        ; implicit-def: $vgpr2
	s_cbranch_vccnz .LBB4_3
; %bb.15:                               ;   in Loop: Header=BB4_4 Depth=2
	v_lshlrev_b32_e32 v1, 2, v22
	; wave barrier
	ds_write_b32 v1, v18
	v_lshlrev_b32_e32 v1, 2, v21
	ds_write_b32 v1, v17
	v_lshlrev_b32_e32 v1, 2, v20
	;; [unrolled: 2-line block ×3, first 2 shown]
	ds_write_b32 v1, v14
	s_waitcnt lgkmcnt(0)
	; wave barrier
	ds_read2st64_b32 v[1:2], v12 offset1:1
	ds_read2st64_b32 v[4:5], v12 offset0:2 offset1:3
	v_add_u32_e32 v16, 8, v16
	s_mov_b64 s[22:23], 0
	s_waitcnt lgkmcnt(0)
	; wave barrier
	s_branch .LBB4_3
.LBB4_16:
	s_add_u32 s0, s26, s30
	s_addc_u32 s1, s27, s31
	v_lshlrev_b32_e32 v0, 2, v0
	global_store_dword v0, v15, s[0:1]
	global_store_dword v0, v4, s[0:1] offset:256
	global_store_dword v0, v5, s[0:1] offset:512
	;; [unrolled: 1-line block ×3, first 2 shown]
	s_endpgm
	.section	.rodata,"a",@progbits
	.p2align	6, 0x0
	.amdhsa_kernel _Z16sort_keys_kernelI22helper_blocked_blockediLj64ELj4ELj10EEvPKT0_PS1_
		.amdhsa_group_segment_fixed_size 1040
		.amdhsa_private_segment_fixed_size 0
		.amdhsa_kernarg_size 272
		.amdhsa_user_sgpr_count 6
		.amdhsa_user_sgpr_private_segment_buffer 1
		.amdhsa_user_sgpr_dispatch_ptr 0
		.amdhsa_user_sgpr_queue_ptr 0
		.amdhsa_user_sgpr_kernarg_segment_ptr 1
		.amdhsa_user_sgpr_dispatch_id 0
		.amdhsa_user_sgpr_flat_scratch_init 0
		.amdhsa_user_sgpr_private_segment_size 0
		.amdhsa_uses_dynamic_stack 0
		.amdhsa_system_sgpr_private_segment_wavefront_offset 0
		.amdhsa_system_sgpr_workgroup_id_x 1
		.amdhsa_system_sgpr_workgroup_id_y 0
		.amdhsa_system_sgpr_workgroup_id_z 0
		.amdhsa_system_sgpr_workgroup_info 0
		.amdhsa_system_vgpr_workitem_id 2
		.amdhsa_next_free_vgpr 31
		.amdhsa_next_free_sgpr 36
		.amdhsa_reserve_vcc 1
		.amdhsa_reserve_flat_scratch 0
		.amdhsa_float_round_mode_32 0
		.amdhsa_float_round_mode_16_64 0
		.amdhsa_float_denorm_mode_32 3
		.amdhsa_float_denorm_mode_16_64 3
		.amdhsa_dx10_clamp 1
		.amdhsa_ieee_mode 1
		.amdhsa_fp16_overflow 0
		.amdhsa_exception_fp_ieee_invalid_op 0
		.amdhsa_exception_fp_denorm_src 0
		.amdhsa_exception_fp_ieee_div_zero 0
		.amdhsa_exception_fp_ieee_overflow 0
		.amdhsa_exception_fp_ieee_underflow 0
		.amdhsa_exception_fp_ieee_inexact 0
		.amdhsa_exception_int_div_zero 0
	.end_amdhsa_kernel
	.section	.text._Z16sort_keys_kernelI22helper_blocked_blockediLj64ELj4ELj10EEvPKT0_PS1_,"axG",@progbits,_Z16sort_keys_kernelI22helper_blocked_blockediLj64ELj4ELj10EEvPKT0_PS1_,comdat
.Lfunc_end4:
	.size	_Z16sort_keys_kernelI22helper_blocked_blockediLj64ELj4ELj10EEvPKT0_PS1_, .Lfunc_end4-_Z16sort_keys_kernelI22helper_blocked_blockediLj64ELj4ELj10EEvPKT0_PS1_
                                        ; -- End function
	.set _Z16sort_keys_kernelI22helper_blocked_blockediLj64ELj4ELj10EEvPKT0_PS1_.num_vgpr, 31
	.set _Z16sort_keys_kernelI22helper_blocked_blockediLj64ELj4ELj10EEvPKT0_PS1_.num_agpr, 0
	.set _Z16sort_keys_kernelI22helper_blocked_blockediLj64ELj4ELj10EEvPKT0_PS1_.numbered_sgpr, 36
	.set _Z16sort_keys_kernelI22helper_blocked_blockediLj64ELj4ELj10EEvPKT0_PS1_.num_named_barrier, 0
	.set _Z16sort_keys_kernelI22helper_blocked_blockediLj64ELj4ELj10EEvPKT0_PS1_.private_seg_size, 0
	.set _Z16sort_keys_kernelI22helper_blocked_blockediLj64ELj4ELj10EEvPKT0_PS1_.uses_vcc, 1
	.set _Z16sort_keys_kernelI22helper_blocked_blockediLj64ELj4ELj10EEvPKT0_PS1_.uses_flat_scratch, 0
	.set _Z16sort_keys_kernelI22helper_blocked_blockediLj64ELj4ELj10EEvPKT0_PS1_.has_dyn_sized_stack, 0
	.set _Z16sort_keys_kernelI22helper_blocked_blockediLj64ELj4ELj10EEvPKT0_PS1_.has_recursion, 0
	.set _Z16sort_keys_kernelI22helper_blocked_blockediLj64ELj4ELj10EEvPKT0_PS1_.has_indirect_call, 0
	.section	.AMDGPU.csdata,"",@progbits
; Kernel info:
; codeLenInByte = 2768
; TotalNumSgprs: 40
; NumVgprs: 31
; ScratchSize: 0
; MemoryBound: 0
; FloatMode: 240
; IeeeMode: 1
; LDSByteSize: 1040 bytes/workgroup (compile time only)
; SGPRBlocks: 4
; VGPRBlocks: 7
; NumSGPRsForWavesPerEU: 40
; NumVGPRsForWavesPerEU: 31
; Occupancy: 8
; WaveLimiterHint : 1
; COMPUTE_PGM_RSRC2:SCRATCH_EN: 0
; COMPUTE_PGM_RSRC2:USER_SGPR: 6
; COMPUTE_PGM_RSRC2:TRAP_HANDLER: 0
; COMPUTE_PGM_RSRC2:TGID_X_EN: 1
; COMPUTE_PGM_RSRC2:TGID_Y_EN: 0
; COMPUTE_PGM_RSRC2:TGID_Z_EN: 0
; COMPUTE_PGM_RSRC2:TIDIG_COMP_CNT: 2
	.section	.text._Z17sort_pairs_kernelI22helper_blocked_blockediLj64ELj4ELj10EEvPKT0_PS1_,"axG",@progbits,_Z17sort_pairs_kernelI22helper_blocked_blockediLj64ELj4ELj10EEvPKT0_PS1_,comdat
	.protected	_Z17sort_pairs_kernelI22helper_blocked_blockediLj64ELj4ELj10EEvPKT0_PS1_ ; -- Begin function _Z17sort_pairs_kernelI22helper_blocked_blockediLj64ELj4ELj10EEvPKT0_PS1_
	.globl	_Z17sort_pairs_kernelI22helper_blocked_blockediLj64ELj4ELj10EEvPKT0_PS1_
	.p2align	8
	.type	_Z17sort_pairs_kernelI22helper_blocked_blockediLj64ELj4ELj10EEvPKT0_PS1_,@function
_Z17sort_pairs_kernelI22helper_blocked_blockediLj64ELj4ELj10EEvPKT0_PS1_: ; @_Z17sort_pairs_kernelI22helper_blocked_blockediLj64ELj4ELj10EEvPKT0_PS1_
; %bb.0:
	s_load_dwordx4 s[24:27], s[4:5], 0x0
	s_load_dword s33, s[4:5], 0x1c
	s_lshl_b32 s30, s6, 8
	s_mov_b32 s31, 0
	s_lshl_b64 s[28:29], s[30:31], 2
	s_waitcnt lgkmcnt(0)
	s_add_u32 s0, s24, s28
	s_addc_u32 s1, s25, s29
	v_lshlrev_b32_e32 v3, 2, v0
	global_load_dword v8, v3, s[0:1]
	global_load_dword v9, v3, s[0:1] offset:256
	global_load_dword v7, v3, s[0:1] offset:512
	;; [unrolled: 1-line block ×3, first 2 shown]
	v_mbcnt_lo_u32_b32 v3, -1, 0
	v_mbcnt_hi_u32_b32 v3, -1, v3
	s_lshr_b32 s30, s33, 16
	v_lshrrev_b32_e32 v4, 2, v3
	v_and_b32_e32 v12, 3, v3
	v_and_b32_e32 v13, 64, v3
	v_subrev_co_u32_e64 v16, s[22:23], 1, v3
	s_and_b32 s33, s33, 0xffff
	v_mad_u32_u24 v1, v2, s30, v1
	v_cmp_eq_u32_e64 s[4:5], 3, v12
	v_cmp_eq_u32_e64 s[6:7], 2, v12
	;; [unrolled: 1-line block ×4, first 2 shown]
	v_or_b32_e32 v12, v4, v13
	v_add_u32_e32 v4, 48, v4
	v_cmp_lt_i32_e64 s[24:25], v16, v13
	v_mad_u32_u24 v1, v1, s33, v0
	v_cmp_eq_u32_e32 vcc, 0, v0
	v_and_b32_e32 v14, 15, v3
	v_and_b32_e32 v15, 16, v3
	v_cmp_lt_u32_e64 s[2:3], 31, v3
	v_lshlrev_b32_e32 v11, 2, v3
	v_cndmask_b32_e64 v3, v16, v3, s[24:25]
	v_lshlrev_b32_e32 v12, 2, v12
	v_and_or_b32 v4, v4, 63, v13
	v_lshrrev_b32_e32 v17, 4, v1
	v_mov_b32_e32 v5, 0
	v_lshlrev_b32_e32 v10, 4, v0
	v_cmp_eq_u32_e64 s[0:1], 63, v0
	v_cmp_eq_u32_e64 s[12:13], 0, v14
	v_cmp_lt_u32_e64 s[14:15], 1, v14
	v_cmp_lt_u32_e64 s[16:17], 3, v14
	v_cmp_lt_u32_e64 s[18:19], 7, v14
	v_cmp_eq_u32_e64 s[20:21], 0, v15
	v_lshlrev_b32_e32 v13, 2, v3
	v_add_u32_e32 v14, 64, v12
	v_or_b32_e32 v15, 0x80, v12
	v_lshlrev_b32_e32 v16, 2, v4
	s_or_b64 s[24:25], vcc, s[22:23]
	v_and_b32_e32 v17, 0xffffffc, v17
	s_waitcnt vmcnt(3)
	v_add_u32_e32 v1, 1, v8
	s_waitcnt vmcnt(2)
	v_add_u32_e32 v2, 1, v9
	;; [unrolled: 2-line block ×4, first 2 shown]
	s_branch .LBB5_2
.LBB5_1:                                ;   in Loop: Header=BB5_2 Depth=1
	v_lshlrev_b32_e32 v1, 2, v33
	v_lshlrev_b32_e32 v2, 2, v30
	v_lshlrev_b32_e32 v3, 2, v28
	v_lshlrev_b32_e32 v4, 2, v27
	; wave barrier
	ds_write_b32 v1, v26
	ds_write_b32 v2, v25
	;; [unrolled: 1-line block ×4, first 2 shown]
	s_waitcnt lgkmcnt(0)
	; wave barrier
	ds_read2_b64 v[22:25], v10 offset1:1
	s_waitcnt lgkmcnt(0)
	; wave barrier
	ds_write_b32 v1, v21
	ds_write_b32 v2, v20
	;; [unrolled: 1-line block ×4, first 2 shown]
	s_waitcnt lgkmcnt(0)
	; wave barrier
	ds_read2_b64 v[1:4], v10 offset1:1
	s_add_i32 s31, s31, 1
	v_xor_b32_e32 v8, 0x80000000, v22
	v_xor_b32_e32 v9, 0x80000000, v23
	;; [unrolled: 1-line block ×3, first 2 shown]
	s_cmp_eq_u32 s31, 10
	v_xor_b32_e32 v6, 0x80000000, v25
	s_cbranch_scc1 .LBB5_16
.LBB5_2:                                ; =>This Loop Header: Depth=1
                                        ;     Child Loop BB5_4 Depth 2
	v_xor_b32_e32 v8, 0x80000000, v8
	s_waitcnt lgkmcnt(0)
	ds_bpermute_b32 v18, v12, v1
	ds_bpermute_b32 v22, v14, v1
	;; [unrolled: 1-line block ×4, first 2 shown]
	v_xor_b32_e32 v9, 0x80000000, v9
	ds_bpermute_b32 v1, v12, v8
	ds_bpermute_b32 v19, v12, v2
	;; [unrolled: 1-line block ×6, first 2 shown]
	s_waitcnt lgkmcnt(5)
	v_cndmask_b32_e64 v1, 0, v1, s[10:11]
	ds_bpermute_b32 v20, v12, v3
	ds_bpermute_b32 v24, v14, v3
	;; [unrolled: 1-line block ×3, first 2 shown]
	s_waitcnt lgkmcnt(3)
	v_cndmask_b32_e64 v1, v1, v2, s[8:9]
	ds_bpermute_b32 v2, v14, v8
	v_xor_b32_e32 v7, 0x80000000, v7
	ds_bpermute_b32 v33, v16, v3
	ds_bpermute_b32 v3, v14, v9
	;; [unrolled: 1-line block ×8, first 2 shown]
	s_waitcnt lgkmcnt(8)
	v_cndmask_b32_e64 v2, 0, v2, s[10:11]
	s_waitcnt lgkmcnt(6)
	v_cndmask_b32_e64 v2, v2, v3, s[8:9]
	ds_bpermute_b32 v3, v15, v8
	s_waitcnt lgkmcnt(2)
	v_cndmask_b32_e64 v2, v2, v4, s[6:7]
	ds_bpermute_b32 v4, v15, v9
	v_xor_b32_e32 v6, 0x80000000, v6
	s_waitcnt lgkmcnt(2)
	v_cndmask_b32_e64 v1, v1, v32, s[6:7]
	ds_bpermute_b32 v32, v12, v6
	s_waitcnt lgkmcnt(2)
	v_cndmask_b32_e64 v3, 0, v3, s[10:11]
	s_waitcnt lgkmcnt(1)
	v_cndmask_b32_e64 v3, v3, v4, s[8:9]
	ds_bpermute_b32 v4, v16, v8
	ds_bpermute_b32 v8, v16, v9
	s_waitcnt lgkmcnt(2)
	v_cndmask_b32_e64 v1, v1, v32, s[4:5]
	ds_bpermute_b32 v32, v15, v7
	ds_bpermute_b32 v7, v16, v7
	;; [unrolled: 1-line block ×5, first 2 shown]
	s_waitcnt lgkmcnt(6)
	v_cndmask_b32_e64 v4, 0, v4, s[10:11]
	s_waitcnt lgkmcnt(5)
	v_cndmask_b32_e64 v4, v4, v8, s[8:9]
	;; [unrolled: 2-line block ×6, first 2 shown]
	v_cndmask_b32_e64 v6, 0, v18, s[10:11]
	v_cndmask_b32_e64 v7, 0, v22, s[10:11]
	;; [unrolled: 1-line block ×17, first 2 shown]
	v_mov_b32_e32 v23, v5
	; wave barrier
	s_branch .LBB5_4
.LBB5_3:                                ;   in Loop: Header=BB5_4 Depth=2
	s_andn2_b64 vcc, exec, s[22:23]
	s_cbranch_vccz .LBB5_1
.LBB5_4:                                ;   Parent Loop BB5_2 Depth=1
                                        ; =>  This Inner Loop Header: Depth=2
	v_mov_b32_e32 v26, v1
	v_lshrrev_b32_e32 v1, v23, v26
	v_mov_b32_e32 v25, v2
	v_and_b32_e32 v2, 0xff, v1
	v_mov_b32_e32 v20, v7
	v_lshl_add_u32 v7, v2, 2, v17
	v_and_b32_e32 v2, 1, v1
	v_mov_b32_e32 v24, v3
	v_add_co_u32_e32 v3, vcc, -1, v2
	v_mov_b32_e32 v22, v4
	v_mov_b32_e32 v21, v6
	v_addc_co_u32_e64 v4, s[22:23], 0, -1, vcc
	v_cmp_ne_u32_e32 vcc, 0, v2
	v_lshlrev_b32_e32 v6, 30, v1
	v_xor_b32_e32 v2, vcc_hi, v4
	v_xor_b32_e32 v3, vcc_lo, v3
	v_cmp_gt_i64_e32 vcc, 0, v[5:6]
	v_not_b32_e32 v4, v6
	v_ashrrev_i32_e32 v4, 31, v4
	v_and_b32_e32 v2, exec_hi, v2
	v_xor_b32_e32 v6, vcc_hi, v4
	v_and_b32_e32 v3, exec_lo, v3
	v_xor_b32_e32 v4, vcc_lo, v4
	v_and_b32_e32 v2, v2, v6
	v_lshlrev_b32_e32 v6, 29, v1
	v_and_b32_e32 v3, v3, v4
	v_cmp_gt_i64_e32 vcc, 0, v[5:6]
	v_not_b32_e32 v4, v6
	v_ashrrev_i32_e32 v4, 31, v4
	v_xor_b32_e32 v6, vcc_hi, v4
	v_xor_b32_e32 v4, vcc_lo, v4
	v_and_b32_e32 v2, v2, v6
	v_lshlrev_b32_e32 v6, 28, v1
	v_and_b32_e32 v3, v3, v4
	v_cmp_gt_i64_e32 vcc, 0, v[5:6]
	v_not_b32_e32 v4, v6
	v_ashrrev_i32_e32 v4, 31, v4
	v_xor_b32_e32 v6, vcc_hi, v4
	;; [unrolled: 8-line block ×5, first 2 shown]
	v_and_b32_e32 v2, v2, v6
	v_lshlrev_b32_e32 v6, 24, v1
	v_xor_b32_e32 v4, vcc_lo, v4
	v_cmp_gt_i64_e32 vcc, 0, v[5:6]
	v_not_b32_e32 v1, v6
	v_ashrrev_i32_e32 v1, 31, v1
	v_and_b32_e32 v3, v3, v4
	v_xor_b32_e32 v4, vcc_hi, v1
	v_xor_b32_e32 v1, vcc_lo, v1
	v_and_b32_e32 v1, v3, v1
	v_and_b32_e32 v2, v2, v4
	v_mbcnt_lo_u32_b32 v3, v1, 0
	v_mov_b32_e32 v19, v8
	v_mbcnt_hi_u32_b32 v8, v2, v3
	v_cmp_ne_u64_e32 vcc, 0, v[1:2]
	v_cmp_eq_u32_e64 s[22:23], 0, v8
	v_mov_b32_e32 v18, v9
	s_and_b64 s[34:35], vcc, s[22:23]
	ds_write2_b32 v10, v5, v5 offset0:1 offset1:2
	ds_write2_b32 v10, v5, v5 offset0:3 offset1:4
	s_waitcnt lgkmcnt(0)
	; wave barrier
	; wave barrier
	s_and_saveexec_b64 s[22:23], s[34:35]
; %bb.5:                                ;   in Loop: Header=BB5_4 Depth=2
	v_bcnt_u32_b32 v1, v1, 0
	v_bcnt_u32_b32 v1, v2, v1
	ds_write_b32 v7, v1 offset:4
; %bb.6:                                ;   in Loop: Header=BB5_4 Depth=2
	s_or_b64 exec, exec, s[22:23]
	v_lshrrev_b32_e32 v1, v23, v25
	v_and_b32_e32 v2, 0xff, v1
	v_lshl_add_u32 v27, v2, 2, v17
	v_and_b32_e32 v2, 1, v1
	v_add_co_u32_e32 v3, vcc, -1, v2
	v_addc_co_u32_e64 v4, s[22:23], 0, -1, vcc
	v_cmp_ne_u32_e32 vcc, 0, v2
	v_lshlrev_b32_e32 v6, 30, v1
	v_xor_b32_e32 v2, vcc_hi, v4
	v_xor_b32_e32 v3, vcc_lo, v3
	v_cmp_gt_i64_e32 vcc, 0, v[5:6]
	v_not_b32_e32 v4, v6
	v_ashrrev_i32_e32 v4, 31, v4
	v_and_b32_e32 v2, exec_hi, v2
	v_xor_b32_e32 v6, vcc_hi, v4
	v_and_b32_e32 v3, exec_lo, v3
	v_xor_b32_e32 v4, vcc_lo, v4
	v_and_b32_e32 v2, v2, v6
	v_lshlrev_b32_e32 v6, 29, v1
	v_and_b32_e32 v3, v3, v4
	v_cmp_gt_i64_e32 vcc, 0, v[5:6]
	v_not_b32_e32 v4, v6
	v_ashrrev_i32_e32 v4, 31, v4
	v_xor_b32_e32 v6, vcc_hi, v4
	v_xor_b32_e32 v4, vcc_lo, v4
	v_and_b32_e32 v2, v2, v6
	v_lshlrev_b32_e32 v6, 28, v1
	v_and_b32_e32 v3, v3, v4
	v_cmp_gt_i64_e32 vcc, 0, v[5:6]
	v_not_b32_e32 v4, v6
	v_ashrrev_i32_e32 v4, 31, v4
	v_xor_b32_e32 v6, vcc_hi, v4
	;; [unrolled: 8-line block ×5, first 2 shown]
	v_and_b32_e32 v2, v2, v6
	v_lshlrev_b32_e32 v6, 24, v1
	v_xor_b32_e32 v4, vcc_lo, v4
	v_cmp_gt_i64_e32 vcc, 0, v[5:6]
	v_not_b32_e32 v1, v6
	v_ashrrev_i32_e32 v1, 31, v1
	v_and_b32_e32 v3, v3, v4
	v_xor_b32_e32 v4, vcc_hi, v1
	v_xor_b32_e32 v1, vcc_lo, v1
	; wave barrier
	ds_read_b32 v9, v27 offset:4
	v_and_b32_e32 v1, v3, v1
	v_and_b32_e32 v2, v2, v4
	v_mbcnt_lo_u32_b32 v3, v1, 0
	v_mbcnt_hi_u32_b32 v28, v2, v3
	v_cmp_ne_u64_e32 vcc, 0, v[1:2]
	v_cmp_eq_u32_e64 s[22:23], 0, v28
	s_and_b64 s[34:35], vcc, s[22:23]
	; wave barrier
	s_and_saveexec_b64 s[22:23], s[34:35]
	s_cbranch_execz .LBB5_8
; %bb.7:                                ;   in Loop: Header=BB5_4 Depth=2
	v_bcnt_u32_b32 v1, v1, 0
	v_bcnt_u32_b32 v1, v2, v1
	s_waitcnt lgkmcnt(0)
	v_add_u32_e32 v1, v9, v1
	ds_write_b32 v27, v1 offset:4
.LBB5_8:                                ;   in Loop: Header=BB5_4 Depth=2
	s_or_b64 exec, exec, s[22:23]
	v_lshrrev_b32_e32 v1, v23, v24
	v_and_b32_e32 v2, 0xff, v1
	v_lshl_add_u32 v30, v2, 2, v17
	v_and_b32_e32 v2, 1, v1
	v_add_co_u32_e32 v3, vcc, -1, v2
	v_addc_co_u32_e64 v4, s[22:23], 0, -1, vcc
	v_cmp_ne_u32_e32 vcc, 0, v2
	v_lshlrev_b32_e32 v6, 30, v1
	v_xor_b32_e32 v2, vcc_hi, v4
	v_xor_b32_e32 v3, vcc_lo, v3
	v_cmp_gt_i64_e32 vcc, 0, v[5:6]
	v_not_b32_e32 v4, v6
	v_ashrrev_i32_e32 v4, 31, v4
	v_and_b32_e32 v2, exec_hi, v2
	v_xor_b32_e32 v6, vcc_hi, v4
	v_and_b32_e32 v3, exec_lo, v3
	v_xor_b32_e32 v4, vcc_lo, v4
	v_and_b32_e32 v2, v2, v6
	v_lshlrev_b32_e32 v6, 29, v1
	v_and_b32_e32 v3, v3, v4
	v_cmp_gt_i64_e32 vcc, 0, v[5:6]
	v_not_b32_e32 v4, v6
	v_ashrrev_i32_e32 v4, 31, v4
	v_xor_b32_e32 v6, vcc_hi, v4
	v_xor_b32_e32 v4, vcc_lo, v4
	v_and_b32_e32 v2, v2, v6
	v_lshlrev_b32_e32 v6, 28, v1
	v_and_b32_e32 v3, v3, v4
	v_cmp_gt_i64_e32 vcc, 0, v[5:6]
	v_not_b32_e32 v4, v6
	v_ashrrev_i32_e32 v4, 31, v4
	v_xor_b32_e32 v6, vcc_hi, v4
	;; [unrolled: 8-line block ×5, first 2 shown]
	v_and_b32_e32 v2, v2, v6
	v_lshlrev_b32_e32 v6, 24, v1
	v_xor_b32_e32 v4, vcc_lo, v4
	v_cmp_gt_i64_e32 vcc, 0, v[5:6]
	v_not_b32_e32 v1, v6
	v_ashrrev_i32_e32 v1, 31, v1
	v_and_b32_e32 v3, v3, v4
	v_xor_b32_e32 v4, vcc_hi, v1
	v_xor_b32_e32 v1, vcc_lo, v1
	; wave barrier
	ds_read_b32 v29, v30 offset:4
	v_and_b32_e32 v1, v3, v1
	v_and_b32_e32 v2, v2, v4
	v_mbcnt_lo_u32_b32 v3, v1, 0
	v_mbcnt_hi_u32_b32 v31, v2, v3
	v_cmp_ne_u64_e32 vcc, 0, v[1:2]
	v_cmp_eq_u32_e64 s[22:23], 0, v31
	s_and_b64 s[34:35], vcc, s[22:23]
	; wave barrier
	s_and_saveexec_b64 s[22:23], s[34:35]
	s_cbranch_execz .LBB5_10
; %bb.9:                                ;   in Loop: Header=BB5_4 Depth=2
	v_bcnt_u32_b32 v1, v1, 0
	v_bcnt_u32_b32 v1, v2, v1
	s_waitcnt lgkmcnt(0)
	v_add_u32_e32 v1, v29, v1
	ds_write_b32 v30, v1 offset:4
.LBB5_10:                               ;   in Loop: Header=BB5_4 Depth=2
	s_or_b64 exec, exec, s[22:23]
	v_lshrrev_b32_e32 v1, v23, v22
	v_and_b32_e32 v2, 0xff, v1
	v_lshl_add_u32 v33, v2, 2, v17
	v_and_b32_e32 v2, 1, v1
	v_add_co_u32_e32 v3, vcc, -1, v2
	v_addc_co_u32_e64 v4, s[22:23], 0, -1, vcc
	v_cmp_ne_u32_e32 vcc, 0, v2
	v_lshlrev_b32_e32 v6, 30, v1
	v_xor_b32_e32 v2, vcc_hi, v4
	v_xor_b32_e32 v3, vcc_lo, v3
	v_cmp_gt_i64_e32 vcc, 0, v[5:6]
	v_not_b32_e32 v4, v6
	v_ashrrev_i32_e32 v4, 31, v4
	v_and_b32_e32 v2, exec_hi, v2
	v_xor_b32_e32 v6, vcc_hi, v4
	v_and_b32_e32 v3, exec_lo, v3
	v_xor_b32_e32 v4, vcc_lo, v4
	v_and_b32_e32 v2, v2, v6
	v_lshlrev_b32_e32 v6, 29, v1
	v_and_b32_e32 v3, v3, v4
	v_cmp_gt_i64_e32 vcc, 0, v[5:6]
	v_not_b32_e32 v4, v6
	v_ashrrev_i32_e32 v4, 31, v4
	v_xor_b32_e32 v6, vcc_hi, v4
	v_xor_b32_e32 v4, vcc_lo, v4
	v_and_b32_e32 v2, v2, v6
	v_lshlrev_b32_e32 v6, 28, v1
	v_and_b32_e32 v3, v3, v4
	v_cmp_gt_i64_e32 vcc, 0, v[5:6]
	v_not_b32_e32 v4, v6
	v_ashrrev_i32_e32 v4, 31, v4
	v_xor_b32_e32 v6, vcc_hi, v4
	;; [unrolled: 8-line block ×5, first 2 shown]
	v_and_b32_e32 v2, v2, v6
	v_lshlrev_b32_e32 v6, 24, v1
	v_xor_b32_e32 v4, vcc_lo, v4
	v_cmp_gt_i64_e32 vcc, 0, v[5:6]
	v_not_b32_e32 v1, v6
	v_ashrrev_i32_e32 v1, 31, v1
	v_and_b32_e32 v3, v3, v4
	v_xor_b32_e32 v4, vcc_hi, v1
	v_xor_b32_e32 v1, vcc_lo, v1
	; wave barrier
	ds_read_b32 v32, v33 offset:4
	v_and_b32_e32 v1, v3, v1
	v_and_b32_e32 v2, v2, v4
	v_mbcnt_lo_u32_b32 v3, v1, 0
	v_mbcnt_hi_u32_b32 v6, v2, v3
	v_cmp_ne_u64_e32 vcc, 0, v[1:2]
	v_cmp_eq_u32_e64 s[22:23], 0, v6
	s_and_b64 s[34:35], vcc, s[22:23]
	; wave barrier
	s_and_saveexec_b64 s[22:23], s[34:35]
	s_cbranch_execz .LBB5_12
; %bb.11:                               ;   in Loop: Header=BB5_4 Depth=2
	v_bcnt_u32_b32 v1, v1, 0
	v_bcnt_u32_b32 v1, v2, v1
	s_waitcnt lgkmcnt(0)
	v_add_u32_e32 v1, v32, v1
	ds_write_b32 v33, v1 offset:4
.LBB5_12:                               ;   in Loop: Header=BB5_4 Depth=2
	s_or_b64 exec, exec, s[22:23]
	; wave barrier
	s_waitcnt lgkmcnt(0)
	; wave barrier
	ds_read2_b32 v[3:4], v10 offset0:1 offset1:2
	ds_read2_b32 v[1:2], v10 offset0:3 offset1:4
	s_waitcnt lgkmcnt(1)
	v_add_u32_e32 v34, v4, v3
	s_waitcnt lgkmcnt(0)
	v_add3_u32 v2, v34, v1, v2
	s_nop 1
	v_mov_b32_dpp v34, v2 row_shr:1 row_mask:0xf bank_mask:0xf
	v_cndmask_b32_e64 v34, v34, 0, s[12:13]
	v_add_u32_e32 v2, v34, v2
	s_nop 1
	v_mov_b32_dpp v34, v2 row_shr:2 row_mask:0xf bank_mask:0xf
	v_cndmask_b32_e64 v34, 0, v34, s[14:15]
	v_add_u32_e32 v2, v2, v34
	s_nop 1
	v_mov_b32_dpp v34, v2 row_shr:4 row_mask:0xf bank_mask:0xf
	v_cndmask_b32_e64 v34, 0, v34, s[16:17]
	v_add_u32_e32 v2, v2, v34
	s_nop 1
	v_mov_b32_dpp v34, v2 row_shr:8 row_mask:0xf bank_mask:0xf
	v_cndmask_b32_e64 v34, 0, v34, s[18:19]
	v_add_u32_e32 v2, v2, v34
	s_nop 1
	v_mov_b32_dpp v34, v2 row_bcast:15 row_mask:0xf bank_mask:0xf
	v_cndmask_b32_e64 v34, v34, 0, s[20:21]
	v_add_u32_e32 v2, v2, v34
	s_nop 1
	v_mov_b32_dpp v34, v2 row_bcast:31 row_mask:0xf bank_mask:0xf
	v_cndmask_b32_e64 v34, 0, v34, s[2:3]
	v_add_u32_e32 v2, v2, v34
	s_and_saveexec_b64 s[22:23], s[0:1]
; %bb.13:                               ;   in Loop: Header=BB5_4 Depth=2
	ds_write_b32 v5, v2
; %bb.14:                               ;   in Loop: Header=BB5_4 Depth=2
	s_or_b64 exec, exec, s[22:23]
	ds_bpermute_b32 v2, v13, v2
	s_waitcnt lgkmcnt(0)
	; wave barrier
	v_cmp_lt_u32_e32 vcc, 23, v23
	s_and_b64 vcc, exec, vcc
	v_cndmask_b32_e64 v2, v2, 0, s[24:25]
	v_add_u32_e32 v3, v2, v3
	v_add_u32_e32 v4, v3, v4
	;; [unrolled: 1-line block ×3, first 2 shown]
	ds_write2_b32 v10, v2, v3 offset0:1 offset1:2
	ds_write2_b32 v10, v4, v1 offset0:3 offset1:4
	s_waitcnt lgkmcnt(0)
	; wave barrier
	ds_read_b32 v1, v7 offset:4
	ds_read_b32 v2, v27 offset:4
	;; [unrolled: 1-line block ×4, first 2 shown]
	s_mov_b64 s[22:23], -1
	s_waitcnt lgkmcnt(3)
	v_add_u32_e32 v33, v1, v8
	s_waitcnt lgkmcnt(2)
	v_add3_u32 v30, v28, v9, v2
	s_waitcnt lgkmcnt(1)
	v_add3_u32 v28, v31, v29, v3
	;; [unrolled: 2-line block ×3, first 2 shown]
                                        ; implicit-def: $vgpr4
                                        ; implicit-def: $vgpr2
                                        ; implicit-def: $vgpr9
                                        ; implicit-def: $vgpr7
	s_cbranch_vccnz .LBB5_3
; %bb.15:                               ;   in Loop: Header=BB5_4 Depth=2
	v_lshlrev_b32_e32 v6, 2, v33
	v_lshlrev_b32_e32 v7, 2, v30
	;; [unrolled: 1-line block ×4, first 2 shown]
	; wave barrier
	ds_write_b32 v6, v26
	ds_write_b32 v7, v25
	;; [unrolled: 1-line block ×4, first 2 shown]
	s_waitcnt lgkmcnt(0)
	; wave barrier
	ds_read2st64_b32 v[1:2], v11 offset1:1
	ds_read2st64_b32 v[3:4], v11 offset0:2 offset1:3
	s_waitcnt lgkmcnt(0)
	; wave barrier
	ds_write_b32 v6, v21
	ds_write_b32 v7, v20
	;; [unrolled: 1-line block ×4, first 2 shown]
	s_waitcnt lgkmcnt(0)
	; wave barrier
	ds_read2st64_b32 v[6:7], v11 offset1:1
	ds_read2st64_b32 v[8:9], v11 offset0:2 offset1:3
	v_add_u32_e32 v23, 8, v23
	s_mov_b64 s[22:23], 0
	s_waitcnt lgkmcnt(0)
	; wave barrier
	s_branch .LBB5_3
.LBB5_16:
	s_add_u32 s0, s26, s28
	s_waitcnt lgkmcnt(0)
	v_add_u32_e32 v1, v8, v1
	s_addc_u32 s1, s27, s29
	v_lshlrev_b32_e32 v0, 2, v0
	v_add_u32_e32 v2, v9, v2
	v_add_u32_e32 v3, v7, v3
	;; [unrolled: 1-line block ×3, first 2 shown]
	global_store_dword v0, v1, s[0:1]
	global_store_dword v0, v2, s[0:1] offset:256
	global_store_dword v0, v3, s[0:1] offset:512
	;; [unrolled: 1-line block ×3, first 2 shown]
	s_endpgm
	.section	.rodata,"a",@progbits
	.p2align	6, 0x0
	.amdhsa_kernel _Z17sort_pairs_kernelI22helper_blocked_blockediLj64ELj4ELj10EEvPKT0_PS1_
		.amdhsa_group_segment_fixed_size 1040
		.amdhsa_private_segment_fixed_size 0
		.amdhsa_kernarg_size 272
		.amdhsa_user_sgpr_count 6
		.amdhsa_user_sgpr_private_segment_buffer 1
		.amdhsa_user_sgpr_dispatch_ptr 0
		.amdhsa_user_sgpr_queue_ptr 0
		.amdhsa_user_sgpr_kernarg_segment_ptr 1
		.amdhsa_user_sgpr_dispatch_id 0
		.amdhsa_user_sgpr_flat_scratch_init 0
		.amdhsa_user_sgpr_private_segment_size 0
		.amdhsa_uses_dynamic_stack 0
		.amdhsa_system_sgpr_private_segment_wavefront_offset 0
		.amdhsa_system_sgpr_workgroup_id_x 1
		.amdhsa_system_sgpr_workgroup_id_y 0
		.amdhsa_system_sgpr_workgroup_id_z 0
		.amdhsa_system_sgpr_workgroup_info 0
		.amdhsa_system_vgpr_workitem_id 2
		.amdhsa_next_free_vgpr 36
		.amdhsa_next_free_sgpr 36
		.amdhsa_reserve_vcc 1
		.amdhsa_reserve_flat_scratch 0
		.amdhsa_float_round_mode_32 0
		.amdhsa_float_round_mode_16_64 0
		.amdhsa_float_denorm_mode_32 3
		.amdhsa_float_denorm_mode_16_64 3
		.amdhsa_dx10_clamp 1
		.amdhsa_ieee_mode 1
		.amdhsa_fp16_overflow 0
		.amdhsa_exception_fp_ieee_invalid_op 0
		.amdhsa_exception_fp_denorm_src 0
		.amdhsa_exception_fp_ieee_div_zero 0
		.amdhsa_exception_fp_ieee_overflow 0
		.amdhsa_exception_fp_ieee_underflow 0
		.amdhsa_exception_fp_ieee_inexact 0
		.amdhsa_exception_int_div_zero 0
	.end_amdhsa_kernel
	.section	.text._Z17sort_pairs_kernelI22helper_blocked_blockediLj64ELj4ELj10EEvPKT0_PS1_,"axG",@progbits,_Z17sort_pairs_kernelI22helper_blocked_blockediLj64ELj4ELj10EEvPKT0_PS1_,comdat
.Lfunc_end5:
	.size	_Z17sort_pairs_kernelI22helper_blocked_blockediLj64ELj4ELj10EEvPKT0_PS1_, .Lfunc_end5-_Z17sort_pairs_kernelI22helper_blocked_blockediLj64ELj4ELj10EEvPKT0_PS1_
                                        ; -- End function
	.set _Z17sort_pairs_kernelI22helper_blocked_blockediLj64ELj4ELj10EEvPKT0_PS1_.num_vgpr, 36
	.set _Z17sort_pairs_kernelI22helper_blocked_blockediLj64ELj4ELj10EEvPKT0_PS1_.num_agpr, 0
	.set _Z17sort_pairs_kernelI22helper_blocked_blockediLj64ELj4ELj10EEvPKT0_PS1_.numbered_sgpr, 36
	.set _Z17sort_pairs_kernelI22helper_blocked_blockediLj64ELj4ELj10EEvPKT0_PS1_.num_named_barrier, 0
	.set _Z17sort_pairs_kernelI22helper_blocked_blockediLj64ELj4ELj10EEvPKT0_PS1_.private_seg_size, 0
	.set _Z17sort_pairs_kernelI22helper_blocked_blockediLj64ELj4ELj10EEvPKT0_PS1_.uses_vcc, 1
	.set _Z17sort_pairs_kernelI22helper_blocked_blockediLj64ELj4ELj10EEvPKT0_PS1_.uses_flat_scratch, 0
	.set _Z17sort_pairs_kernelI22helper_blocked_blockediLj64ELj4ELj10EEvPKT0_PS1_.has_dyn_sized_stack, 0
	.set _Z17sort_pairs_kernelI22helper_blocked_blockediLj64ELj4ELj10EEvPKT0_PS1_.has_recursion, 0
	.set _Z17sort_pairs_kernelI22helper_blocked_blockediLj64ELj4ELj10EEvPKT0_PS1_.has_indirect_call, 0
	.section	.AMDGPU.csdata,"",@progbits
; Kernel info:
; codeLenInByte = 3176
; TotalNumSgprs: 40
; NumVgprs: 36
; ScratchSize: 0
; MemoryBound: 0
; FloatMode: 240
; IeeeMode: 1
; LDSByteSize: 1040 bytes/workgroup (compile time only)
; SGPRBlocks: 4
; VGPRBlocks: 8
; NumSGPRsForWavesPerEU: 40
; NumVGPRsForWavesPerEU: 36
; Occupancy: 7
; WaveLimiterHint : 1
; COMPUTE_PGM_RSRC2:SCRATCH_EN: 0
; COMPUTE_PGM_RSRC2:USER_SGPR: 6
; COMPUTE_PGM_RSRC2:TRAP_HANDLER: 0
; COMPUTE_PGM_RSRC2:TGID_X_EN: 1
; COMPUTE_PGM_RSRC2:TGID_Y_EN: 0
; COMPUTE_PGM_RSRC2:TGID_Z_EN: 0
; COMPUTE_PGM_RSRC2:TIDIG_COMP_CNT: 2
	.section	.text._Z16sort_keys_kernelI22helper_blocked_blockediLj64ELj8ELj10EEvPKT0_PS1_,"axG",@progbits,_Z16sort_keys_kernelI22helper_blocked_blockediLj64ELj8ELj10EEvPKT0_PS1_,comdat
	.protected	_Z16sort_keys_kernelI22helper_blocked_blockediLj64ELj8ELj10EEvPKT0_PS1_ ; -- Begin function _Z16sort_keys_kernelI22helper_blocked_blockediLj64ELj8ELj10EEvPKT0_PS1_
	.globl	_Z16sort_keys_kernelI22helper_blocked_blockediLj64ELj8ELj10EEvPKT0_PS1_
	.p2align	8
	.type	_Z16sort_keys_kernelI22helper_blocked_blockediLj64ELj8ELj10EEvPKT0_PS1_,@function
_Z16sort_keys_kernelI22helper_blocked_blockediLj64ELj8ELj10EEvPKT0_PS1_: ; @_Z16sort_keys_kernelI22helper_blocked_blockediLj64ELj8ELj10EEvPKT0_PS1_
; %bb.0:
	s_load_dwordx4 s[16:19], s[4:5], 0x0
	s_load_dword s2, s[4:5], 0x1c
	s_lshl_b32 s20, s6, 9
	s_mov_b32 s21, 0
	s_lshl_b64 s[22:23], s[20:21], 2
	s_waitcnt lgkmcnt(0)
	s_add_u32 s0, s16, s22
	s_addc_u32 s1, s17, s23
	v_lshlrev_b32_e32 v3, 2, v0
	global_load_dword v4, v3, s[0:1]
	global_load_dword v5, v3, s[0:1] offset:256
	global_load_dword v6, v3, s[0:1] offset:512
	;; [unrolled: 1-line block ×7, first 2 shown]
	v_mbcnt_lo_u32_b32 v10, -1, 0
	v_mbcnt_hi_u32_b32 v13, -1, v10
	s_lshr_b32 s0, s2, 16
	s_and_b32 s1, s2, 0xffff
	v_mad_u32_u24 v1, v2, s0, v1
	v_and_b32_e32 v2, 15, v13
	v_mad_u32_u24 v1, v1, s1, v0
	v_cmp_eq_u32_e64 s[0:1], 0, v2
	v_cmp_lt_u32_e64 s[2:3], 1, v2
	v_cmp_lt_u32_e64 s[4:5], 3, v2
	;; [unrolled: 1-line block ×3, first 2 shown]
	v_and_b32_e32 v2, 16, v13
	v_cmp_eq_u32_e64 s[8:9], 0, v2
	v_subrev_co_u32_e32 v2, vcc, 1, v13
	v_and_b32_e32 v14, 64, v13
	v_cmp_lt_i32_e64 s[14:15], v2, v14
	v_lshlrev_b32_e32 v12, 4, v0
	v_cndmask_b32_e64 v2, v2, v13, s[14:15]
	v_cmp_eq_u32_e64 s[14:15], 0, v0
	v_lshrrev_b32_e32 v1, 4, v1
	v_mov_b32_e32 v3, 0
	v_lshlrev_b32_e32 v10, 5, v13
	v_lshlrev_b32_e32 v11, 2, v13
	v_cmp_lt_u32_e64 s[10:11], 31, v13
	v_cmp_eq_u32_e64 s[12:13], 63, v0
	v_lshlrev_b32_e32 v13, 2, v2
	s_or_b64 s[16:17], s[14:15], vcc
	v_and_b32_e32 v14, 0xffffffc, v1
	v_add_u32_e32 v15, v12, v12
	s_branch .LBB6_2
.LBB6_1:                                ;   in Loop: Header=BB6_2 Depth=1
	v_lshlrev_b32_e32 v1, 2, v36
	; wave barrier
	ds_write_b32 v1, v24
	v_lshlrev_b32_e32 v1, 2, v33
	ds_write_b32 v1, v23
	v_lshlrev_b32_e32 v1, 2, v30
	;; [unrolled: 2-line block ×7, first 2 shown]
	ds_write_b32 v1, v16
	s_waitcnt lgkmcnt(0)
	; wave barrier
	ds_read2_b64 v[4:7], v15 offset1:1
	ds_read2_b64 v[16:19], v15 offset0:2 offset1:3
	s_add_i32 s21, s21, 1
	s_cmp_eq_u32 s21, 10
	s_waitcnt lgkmcnt(1)
	v_xor_b32_e32 v4, 0x80000000, v4
	v_xor_b32_e32 v5, 0x80000000, v5
	;; [unrolled: 1-line block ×4, first 2 shown]
	s_waitcnt lgkmcnt(0)
	v_xor_b32_e32 v8, 0x80000000, v16
	v_xor_b32_e32 v9, 0x80000000, v17
	;; [unrolled: 1-line block ×4, first 2 shown]
	s_cbranch_scc1 .LBB6_24
.LBB6_2:                                ; =>This Loop Header: Depth=1
                                        ;     Child Loop BB6_4 Depth 2
	s_waitcnt vmcnt(7)
	v_xor_b32_e32 v1, 0x80000000, v4
	s_waitcnt vmcnt(6)
	v_xor_b32_e32 v2, 0x80000000, v5
	s_waitcnt vmcnt(5)
	v_xor_b32_e32 v4, 0x80000000, v6
	s_waitcnt vmcnt(4)
	v_xor_b32_e32 v5, 0x80000000, v7
	s_waitcnt vmcnt(3)
	v_xor_b32_e32 v6, 0x80000000, v8
	s_waitcnt vmcnt(2)
	v_xor_b32_e32 v7, 0x80000000, v9
	s_waitcnt vmcnt(1)
	v_xor_b32_e32 v8, 0x80000000, v16
	s_waitcnt vmcnt(0)
	v_xor_b32_e32 v9, 0x80000000, v17
	ds_write2_b64 v10, v[1:2], v[4:5] offset1:1
	ds_write2_b64 v10, v[6:7], v[8:9] offset0:2 offset1:3
	; wave barrier
	ds_read2st64_b32 v[1:2], v11 offset1:1
	ds_read2st64_b32 v[4:5], v11 offset0:2 offset1:3
	ds_read2st64_b32 v[6:7], v11 offset0:4 offset1:5
	;; [unrolled: 1-line block ×3, first 2 shown]
	v_mov_b32_e32 v20, v3
	s_waitcnt lgkmcnt(0)
	; wave barrier
	; wave barrier
	;; [unrolled: 1-line block ×3, first 2 shown]
	s_branch .LBB6_4
.LBB6_3:                                ;   in Loop: Header=BB6_4 Depth=2
	s_andn2_b64 vcc, exec, s[14:15]
	s_cbranch_vccz .LBB6_1
.LBB6_4:                                ;   Parent Loop BB6_2 Depth=1
                                        ; =>  This Inner Loop Header: Depth=2
	v_mov_b32_e32 v24, v1
	v_lshrrev_b32_e32 v1, v20, v24
	v_mov_b32_e32 v23, v2
	v_and_b32_e32 v2, 0xff, v1
	v_mov_b32_e32 v19, v6
	v_lshl_add_u32 v6, v2, 2, v14
	v_and_b32_e32 v2, 1, v1
	v_mov_b32_e32 v22, v4
	v_add_co_u32_e32 v4, vcc, -1, v2
	v_mov_b32_e32 v21, v5
	v_addc_co_u32_e64 v5, s[14:15], 0, -1, vcc
	v_cmp_ne_u32_e32 vcc, 0, v2
	v_xor_b32_e32 v4, vcc_lo, v4
	v_xor_b32_e32 v2, vcc_hi, v5
	v_and_b32_e32 v5, exec_lo, v4
	v_lshlrev_b32_e32 v4, 30, v1
	v_cmp_gt_i64_e32 vcc, 0, v[3:4]
	v_not_b32_e32 v4, v4
	v_ashrrev_i32_e32 v4, 31, v4
	v_mov_b32_e32 v18, v7
	v_xor_b32_e32 v7, vcc_hi, v4
	v_xor_b32_e32 v4, vcc_lo, v4
	v_and_b32_e32 v5, v5, v4
	v_lshlrev_b32_e32 v4, 29, v1
	v_cmp_gt_i64_e32 vcc, 0, v[3:4]
	v_not_b32_e32 v4, v4
	v_and_b32_e32 v2, exec_hi, v2
	v_ashrrev_i32_e32 v4, 31, v4
	v_and_b32_e32 v2, v2, v7
	v_xor_b32_e32 v7, vcc_hi, v4
	v_xor_b32_e32 v4, vcc_lo, v4
	v_and_b32_e32 v5, v5, v4
	v_lshlrev_b32_e32 v4, 28, v1
	v_cmp_gt_i64_e32 vcc, 0, v[3:4]
	v_not_b32_e32 v4, v4
	v_ashrrev_i32_e32 v4, 31, v4
	v_and_b32_e32 v2, v2, v7
	v_xor_b32_e32 v7, vcc_hi, v4
	v_xor_b32_e32 v4, vcc_lo, v4
	v_and_b32_e32 v5, v5, v4
	v_lshlrev_b32_e32 v4, 27, v1
	v_cmp_gt_i64_e32 vcc, 0, v[3:4]
	v_not_b32_e32 v4, v4
	;; [unrolled: 8-line block ×5, first 2 shown]
	v_ashrrev_i32_e32 v1, 31, v1
	v_xor_b32_e32 v4, vcc_hi, v1
	v_xor_b32_e32 v1, vcc_lo, v1
	v_and_b32_e32 v2, v2, v7
	v_and_b32_e32 v1, v5, v1
	;; [unrolled: 1-line block ×3, first 2 shown]
	v_mbcnt_lo_u32_b32 v4, v1, 0
	v_mbcnt_hi_u32_b32 v7, v2, v4
	v_cmp_ne_u64_e32 vcc, 0, v[1:2]
	v_cmp_eq_u32_e64 s[14:15], 0, v7
	v_mov_b32_e32 v16, v9
	v_mov_b32_e32 v17, v8
	s_and_b64 s[24:25], vcc, s[14:15]
	ds_write2_b32 v12, v3, v3 offset0:1 offset1:2
	ds_write2_b32 v12, v3, v3 offset0:3 offset1:4
	s_waitcnt lgkmcnt(0)
	; wave barrier
	; wave barrier
	s_and_saveexec_b64 s[14:15], s[24:25]
; %bb.5:                                ;   in Loop: Header=BB6_4 Depth=2
	v_bcnt_u32_b32 v1, v1, 0
	v_bcnt_u32_b32 v1, v2, v1
	ds_write_b32 v6, v1 offset:4
; %bb.6:                                ;   in Loop: Header=BB6_4 Depth=2
	s_or_b64 exec, exec, s[14:15]
	v_lshrrev_b32_e32 v1, v20, v23
	v_and_b32_e32 v2, 0xff, v1
	v_lshl_add_u32 v9, v2, 2, v14
	v_and_b32_e32 v2, 1, v1
	v_add_co_u32_e32 v4, vcc, -1, v2
	v_addc_co_u32_e64 v5, s[14:15], 0, -1, vcc
	v_cmp_ne_u32_e32 vcc, 0, v2
	v_xor_b32_e32 v4, vcc_lo, v4
	v_xor_b32_e32 v2, vcc_hi, v5
	v_and_b32_e32 v5, exec_lo, v4
	v_lshlrev_b32_e32 v4, 30, v1
	v_cmp_gt_i64_e32 vcc, 0, v[3:4]
	v_not_b32_e32 v4, v4
	v_ashrrev_i32_e32 v4, 31, v4
	v_xor_b32_e32 v25, vcc_hi, v4
	v_xor_b32_e32 v4, vcc_lo, v4
	v_and_b32_e32 v5, v5, v4
	v_lshlrev_b32_e32 v4, 29, v1
	v_cmp_gt_i64_e32 vcc, 0, v[3:4]
	v_not_b32_e32 v4, v4
	v_and_b32_e32 v2, exec_hi, v2
	v_ashrrev_i32_e32 v4, 31, v4
	v_and_b32_e32 v2, v2, v25
	v_xor_b32_e32 v25, vcc_hi, v4
	v_xor_b32_e32 v4, vcc_lo, v4
	v_and_b32_e32 v5, v5, v4
	v_lshlrev_b32_e32 v4, 28, v1
	v_cmp_gt_i64_e32 vcc, 0, v[3:4]
	v_not_b32_e32 v4, v4
	v_ashrrev_i32_e32 v4, 31, v4
	v_and_b32_e32 v2, v2, v25
	v_xor_b32_e32 v25, vcc_hi, v4
	v_xor_b32_e32 v4, vcc_lo, v4
	v_and_b32_e32 v5, v5, v4
	v_lshlrev_b32_e32 v4, 27, v1
	v_cmp_gt_i64_e32 vcc, 0, v[3:4]
	v_not_b32_e32 v4, v4
	;; [unrolled: 8-line block ×5, first 2 shown]
	v_ashrrev_i32_e32 v1, 31, v1
	v_xor_b32_e32 v4, vcc_hi, v1
	v_xor_b32_e32 v1, vcc_lo, v1
	; wave barrier
	ds_read_b32 v8, v9 offset:4
	v_and_b32_e32 v2, v2, v25
	v_and_b32_e32 v1, v5, v1
	;; [unrolled: 1-line block ×3, first 2 shown]
	v_mbcnt_lo_u32_b32 v4, v1, 0
	v_mbcnt_hi_u32_b32 v25, v2, v4
	v_cmp_ne_u64_e32 vcc, 0, v[1:2]
	v_cmp_eq_u32_e64 s[14:15], 0, v25
	s_and_b64 s[24:25], vcc, s[14:15]
	; wave barrier
	s_and_saveexec_b64 s[14:15], s[24:25]
	s_cbranch_execz .LBB6_8
; %bb.7:                                ;   in Loop: Header=BB6_4 Depth=2
	v_bcnt_u32_b32 v1, v1, 0
	v_bcnt_u32_b32 v1, v2, v1
	s_waitcnt lgkmcnt(0)
	v_add_u32_e32 v1, v8, v1
	ds_write_b32 v9, v1 offset:4
.LBB6_8:                                ;   in Loop: Header=BB6_4 Depth=2
	s_or_b64 exec, exec, s[14:15]
	v_lshrrev_b32_e32 v1, v20, v22
	v_and_b32_e32 v2, 0xff, v1
	v_lshl_add_u32 v27, v2, 2, v14
	v_and_b32_e32 v2, 1, v1
	v_add_co_u32_e32 v4, vcc, -1, v2
	v_addc_co_u32_e64 v5, s[14:15], 0, -1, vcc
	v_cmp_ne_u32_e32 vcc, 0, v2
	v_xor_b32_e32 v4, vcc_lo, v4
	v_xor_b32_e32 v2, vcc_hi, v5
	v_and_b32_e32 v5, exec_lo, v4
	v_lshlrev_b32_e32 v4, 30, v1
	v_cmp_gt_i64_e32 vcc, 0, v[3:4]
	v_not_b32_e32 v4, v4
	v_ashrrev_i32_e32 v4, 31, v4
	v_xor_b32_e32 v28, vcc_hi, v4
	v_xor_b32_e32 v4, vcc_lo, v4
	v_and_b32_e32 v5, v5, v4
	v_lshlrev_b32_e32 v4, 29, v1
	v_cmp_gt_i64_e32 vcc, 0, v[3:4]
	v_not_b32_e32 v4, v4
	v_and_b32_e32 v2, exec_hi, v2
	v_ashrrev_i32_e32 v4, 31, v4
	v_and_b32_e32 v2, v2, v28
	v_xor_b32_e32 v28, vcc_hi, v4
	v_xor_b32_e32 v4, vcc_lo, v4
	v_and_b32_e32 v5, v5, v4
	v_lshlrev_b32_e32 v4, 28, v1
	v_cmp_gt_i64_e32 vcc, 0, v[3:4]
	v_not_b32_e32 v4, v4
	v_ashrrev_i32_e32 v4, 31, v4
	v_and_b32_e32 v2, v2, v28
	v_xor_b32_e32 v28, vcc_hi, v4
	v_xor_b32_e32 v4, vcc_lo, v4
	v_and_b32_e32 v5, v5, v4
	v_lshlrev_b32_e32 v4, 27, v1
	v_cmp_gt_i64_e32 vcc, 0, v[3:4]
	v_not_b32_e32 v4, v4
	;; [unrolled: 8-line block ×5, first 2 shown]
	v_ashrrev_i32_e32 v1, 31, v1
	v_xor_b32_e32 v4, vcc_hi, v1
	v_xor_b32_e32 v1, vcc_lo, v1
	; wave barrier
	ds_read_b32 v26, v27 offset:4
	v_and_b32_e32 v2, v2, v28
	v_and_b32_e32 v1, v5, v1
	;; [unrolled: 1-line block ×3, first 2 shown]
	v_mbcnt_lo_u32_b32 v4, v1, 0
	v_mbcnt_hi_u32_b32 v28, v2, v4
	v_cmp_ne_u64_e32 vcc, 0, v[1:2]
	v_cmp_eq_u32_e64 s[14:15], 0, v28
	s_and_b64 s[24:25], vcc, s[14:15]
	; wave barrier
	s_and_saveexec_b64 s[14:15], s[24:25]
	s_cbranch_execz .LBB6_10
; %bb.9:                                ;   in Loop: Header=BB6_4 Depth=2
	v_bcnt_u32_b32 v1, v1, 0
	v_bcnt_u32_b32 v1, v2, v1
	s_waitcnt lgkmcnt(0)
	v_add_u32_e32 v1, v26, v1
	ds_write_b32 v27, v1 offset:4
.LBB6_10:                               ;   in Loop: Header=BB6_4 Depth=2
	s_or_b64 exec, exec, s[14:15]
	v_lshrrev_b32_e32 v1, v20, v21
	v_and_b32_e32 v2, 0xff, v1
	v_lshl_add_u32 v30, v2, 2, v14
	v_and_b32_e32 v2, 1, v1
	v_add_co_u32_e32 v4, vcc, -1, v2
	v_addc_co_u32_e64 v5, s[14:15], 0, -1, vcc
	v_cmp_ne_u32_e32 vcc, 0, v2
	v_xor_b32_e32 v4, vcc_lo, v4
	v_xor_b32_e32 v2, vcc_hi, v5
	v_and_b32_e32 v5, exec_lo, v4
	v_lshlrev_b32_e32 v4, 30, v1
	v_cmp_gt_i64_e32 vcc, 0, v[3:4]
	v_not_b32_e32 v4, v4
	v_ashrrev_i32_e32 v4, 31, v4
	v_xor_b32_e32 v31, vcc_hi, v4
	v_xor_b32_e32 v4, vcc_lo, v4
	v_and_b32_e32 v5, v5, v4
	v_lshlrev_b32_e32 v4, 29, v1
	v_cmp_gt_i64_e32 vcc, 0, v[3:4]
	v_not_b32_e32 v4, v4
	v_and_b32_e32 v2, exec_hi, v2
	v_ashrrev_i32_e32 v4, 31, v4
	v_and_b32_e32 v2, v2, v31
	v_xor_b32_e32 v31, vcc_hi, v4
	v_xor_b32_e32 v4, vcc_lo, v4
	v_and_b32_e32 v5, v5, v4
	v_lshlrev_b32_e32 v4, 28, v1
	v_cmp_gt_i64_e32 vcc, 0, v[3:4]
	v_not_b32_e32 v4, v4
	v_ashrrev_i32_e32 v4, 31, v4
	v_and_b32_e32 v2, v2, v31
	v_xor_b32_e32 v31, vcc_hi, v4
	v_xor_b32_e32 v4, vcc_lo, v4
	v_and_b32_e32 v5, v5, v4
	v_lshlrev_b32_e32 v4, 27, v1
	v_cmp_gt_i64_e32 vcc, 0, v[3:4]
	v_not_b32_e32 v4, v4
	;; [unrolled: 8-line block ×5, first 2 shown]
	v_ashrrev_i32_e32 v1, 31, v1
	v_xor_b32_e32 v4, vcc_hi, v1
	v_xor_b32_e32 v1, vcc_lo, v1
	; wave barrier
	ds_read_b32 v29, v30 offset:4
	v_and_b32_e32 v2, v2, v31
	v_and_b32_e32 v1, v5, v1
	;; [unrolled: 1-line block ×3, first 2 shown]
	v_mbcnt_lo_u32_b32 v4, v1, 0
	v_mbcnt_hi_u32_b32 v31, v2, v4
	v_cmp_ne_u64_e32 vcc, 0, v[1:2]
	v_cmp_eq_u32_e64 s[14:15], 0, v31
	s_and_b64 s[24:25], vcc, s[14:15]
	; wave barrier
	s_and_saveexec_b64 s[14:15], s[24:25]
	s_cbranch_execz .LBB6_12
; %bb.11:                               ;   in Loop: Header=BB6_4 Depth=2
	v_bcnt_u32_b32 v1, v1, 0
	v_bcnt_u32_b32 v1, v2, v1
	s_waitcnt lgkmcnt(0)
	v_add_u32_e32 v1, v29, v1
	ds_write_b32 v30, v1 offset:4
.LBB6_12:                               ;   in Loop: Header=BB6_4 Depth=2
	s_or_b64 exec, exec, s[14:15]
	v_lshrrev_b32_e32 v1, v20, v19
	v_and_b32_e32 v2, 0xff, v1
	v_lshl_add_u32 v33, v2, 2, v14
	v_and_b32_e32 v2, 1, v1
	v_add_co_u32_e32 v4, vcc, -1, v2
	v_addc_co_u32_e64 v5, s[14:15], 0, -1, vcc
	v_cmp_ne_u32_e32 vcc, 0, v2
	v_xor_b32_e32 v4, vcc_lo, v4
	v_xor_b32_e32 v2, vcc_hi, v5
	v_and_b32_e32 v5, exec_lo, v4
	v_lshlrev_b32_e32 v4, 30, v1
	v_cmp_gt_i64_e32 vcc, 0, v[3:4]
	v_not_b32_e32 v4, v4
	v_ashrrev_i32_e32 v4, 31, v4
	v_xor_b32_e32 v34, vcc_hi, v4
	v_xor_b32_e32 v4, vcc_lo, v4
	v_and_b32_e32 v5, v5, v4
	v_lshlrev_b32_e32 v4, 29, v1
	v_cmp_gt_i64_e32 vcc, 0, v[3:4]
	v_not_b32_e32 v4, v4
	v_and_b32_e32 v2, exec_hi, v2
	v_ashrrev_i32_e32 v4, 31, v4
	v_and_b32_e32 v2, v2, v34
	v_xor_b32_e32 v34, vcc_hi, v4
	v_xor_b32_e32 v4, vcc_lo, v4
	v_and_b32_e32 v5, v5, v4
	v_lshlrev_b32_e32 v4, 28, v1
	v_cmp_gt_i64_e32 vcc, 0, v[3:4]
	v_not_b32_e32 v4, v4
	v_ashrrev_i32_e32 v4, 31, v4
	v_and_b32_e32 v2, v2, v34
	v_xor_b32_e32 v34, vcc_hi, v4
	v_xor_b32_e32 v4, vcc_lo, v4
	v_and_b32_e32 v5, v5, v4
	v_lshlrev_b32_e32 v4, 27, v1
	v_cmp_gt_i64_e32 vcc, 0, v[3:4]
	v_not_b32_e32 v4, v4
	;; [unrolled: 8-line block ×5, first 2 shown]
	v_ashrrev_i32_e32 v1, 31, v1
	v_xor_b32_e32 v4, vcc_hi, v1
	v_xor_b32_e32 v1, vcc_lo, v1
	; wave barrier
	ds_read_b32 v32, v33 offset:4
	v_and_b32_e32 v2, v2, v34
	v_and_b32_e32 v1, v5, v1
	;; [unrolled: 1-line block ×3, first 2 shown]
	v_mbcnt_lo_u32_b32 v4, v1, 0
	v_mbcnt_hi_u32_b32 v34, v2, v4
	v_cmp_ne_u64_e32 vcc, 0, v[1:2]
	v_cmp_eq_u32_e64 s[14:15], 0, v34
	s_and_b64 s[24:25], vcc, s[14:15]
	; wave barrier
	s_and_saveexec_b64 s[14:15], s[24:25]
	s_cbranch_execz .LBB6_14
; %bb.13:                               ;   in Loop: Header=BB6_4 Depth=2
	v_bcnt_u32_b32 v1, v1, 0
	v_bcnt_u32_b32 v1, v2, v1
	s_waitcnt lgkmcnt(0)
	v_add_u32_e32 v1, v32, v1
	ds_write_b32 v33, v1 offset:4
.LBB6_14:                               ;   in Loop: Header=BB6_4 Depth=2
	s_or_b64 exec, exec, s[14:15]
	v_lshrrev_b32_e32 v1, v20, v18
	v_and_b32_e32 v2, 0xff, v1
	v_lshl_add_u32 v36, v2, 2, v14
	v_and_b32_e32 v2, 1, v1
	v_add_co_u32_e32 v4, vcc, -1, v2
	v_addc_co_u32_e64 v5, s[14:15], 0, -1, vcc
	v_cmp_ne_u32_e32 vcc, 0, v2
	v_xor_b32_e32 v4, vcc_lo, v4
	v_xor_b32_e32 v2, vcc_hi, v5
	v_and_b32_e32 v5, exec_lo, v4
	v_lshlrev_b32_e32 v4, 30, v1
	v_cmp_gt_i64_e32 vcc, 0, v[3:4]
	v_not_b32_e32 v4, v4
	v_ashrrev_i32_e32 v4, 31, v4
	v_xor_b32_e32 v37, vcc_hi, v4
	v_xor_b32_e32 v4, vcc_lo, v4
	v_and_b32_e32 v5, v5, v4
	v_lshlrev_b32_e32 v4, 29, v1
	v_cmp_gt_i64_e32 vcc, 0, v[3:4]
	v_not_b32_e32 v4, v4
	v_and_b32_e32 v2, exec_hi, v2
	v_ashrrev_i32_e32 v4, 31, v4
	v_and_b32_e32 v2, v2, v37
	v_xor_b32_e32 v37, vcc_hi, v4
	v_xor_b32_e32 v4, vcc_lo, v4
	v_and_b32_e32 v5, v5, v4
	v_lshlrev_b32_e32 v4, 28, v1
	v_cmp_gt_i64_e32 vcc, 0, v[3:4]
	v_not_b32_e32 v4, v4
	v_ashrrev_i32_e32 v4, 31, v4
	v_and_b32_e32 v2, v2, v37
	v_xor_b32_e32 v37, vcc_hi, v4
	v_xor_b32_e32 v4, vcc_lo, v4
	v_and_b32_e32 v5, v5, v4
	v_lshlrev_b32_e32 v4, 27, v1
	v_cmp_gt_i64_e32 vcc, 0, v[3:4]
	v_not_b32_e32 v4, v4
	;; [unrolled: 8-line block ×5, first 2 shown]
	v_ashrrev_i32_e32 v1, 31, v1
	v_xor_b32_e32 v4, vcc_hi, v1
	v_xor_b32_e32 v1, vcc_lo, v1
	; wave barrier
	ds_read_b32 v35, v36 offset:4
	v_and_b32_e32 v2, v2, v37
	v_and_b32_e32 v1, v5, v1
	;; [unrolled: 1-line block ×3, first 2 shown]
	v_mbcnt_lo_u32_b32 v4, v1, 0
	v_mbcnt_hi_u32_b32 v37, v2, v4
	v_cmp_ne_u64_e32 vcc, 0, v[1:2]
	v_cmp_eq_u32_e64 s[14:15], 0, v37
	s_and_b64 s[24:25], vcc, s[14:15]
	; wave barrier
	s_and_saveexec_b64 s[14:15], s[24:25]
	s_cbranch_execz .LBB6_16
; %bb.15:                               ;   in Loop: Header=BB6_4 Depth=2
	v_bcnt_u32_b32 v1, v1, 0
	v_bcnt_u32_b32 v1, v2, v1
	s_waitcnt lgkmcnt(0)
	v_add_u32_e32 v1, v35, v1
	ds_write_b32 v36, v1 offset:4
.LBB6_16:                               ;   in Loop: Header=BB6_4 Depth=2
	s_or_b64 exec, exec, s[14:15]
	v_lshrrev_b32_e32 v1, v20, v17
	v_and_b32_e32 v2, 0xff, v1
	v_lshl_add_u32 v39, v2, 2, v14
	v_and_b32_e32 v2, 1, v1
	v_add_co_u32_e32 v4, vcc, -1, v2
	v_addc_co_u32_e64 v5, s[14:15], 0, -1, vcc
	v_cmp_ne_u32_e32 vcc, 0, v2
	v_xor_b32_e32 v4, vcc_lo, v4
	v_xor_b32_e32 v2, vcc_hi, v5
	v_and_b32_e32 v5, exec_lo, v4
	v_lshlrev_b32_e32 v4, 30, v1
	v_cmp_gt_i64_e32 vcc, 0, v[3:4]
	v_not_b32_e32 v4, v4
	v_ashrrev_i32_e32 v4, 31, v4
	v_xor_b32_e32 v40, vcc_hi, v4
	v_xor_b32_e32 v4, vcc_lo, v4
	v_and_b32_e32 v5, v5, v4
	v_lshlrev_b32_e32 v4, 29, v1
	v_cmp_gt_i64_e32 vcc, 0, v[3:4]
	v_not_b32_e32 v4, v4
	v_and_b32_e32 v2, exec_hi, v2
	v_ashrrev_i32_e32 v4, 31, v4
	v_and_b32_e32 v2, v2, v40
	v_xor_b32_e32 v40, vcc_hi, v4
	v_xor_b32_e32 v4, vcc_lo, v4
	v_and_b32_e32 v5, v5, v4
	v_lshlrev_b32_e32 v4, 28, v1
	v_cmp_gt_i64_e32 vcc, 0, v[3:4]
	v_not_b32_e32 v4, v4
	v_ashrrev_i32_e32 v4, 31, v4
	v_and_b32_e32 v2, v2, v40
	v_xor_b32_e32 v40, vcc_hi, v4
	v_xor_b32_e32 v4, vcc_lo, v4
	v_and_b32_e32 v5, v5, v4
	v_lshlrev_b32_e32 v4, 27, v1
	v_cmp_gt_i64_e32 vcc, 0, v[3:4]
	v_not_b32_e32 v4, v4
	;; [unrolled: 8-line block ×5, first 2 shown]
	v_ashrrev_i32_e32 v1, 31, v1
	v_xor_b32_e32 v4, vcc_hi, v1
	v_xor_b32_e32 v1, vcc_lo, v1
	; wave barrier
	ds_read_b32 v38, v39 offset:4
	v_and_b32_e32 v2, v2, v40
	v_and_b32_e32 v1, v5, v1
	;; [unrolled: 1-line block ×3, first 2 shown]
	v_mbcnt_lo_u32_b32 v4, v1, 0
	v_mbcnt_hi_u32_b32 v40, v2, v4
	v_cmp_ne_u64_e32 vcc, 0, v[1:2]
	v_cmp_eq_u32_e64 s[14:15], 0, v40
	s_and_b64 s[24:25], vcc, s[14:15]
	; wave barrier
	s_and_saveexec_b64 s[14:15], s[24:25]
	s_cbranch_execz .LBB6_18
; %bb.17:                               ;   in Loop: Header=BB6_4 Depth=2
	v_bcnt_u32_b32 v1, v1, 0
	v_bcnt_u32_b32 v1, v2, v1
	s_waitcnt lgkmcnt(0)
	v_add_u32_e32 v1, v38, v1
	ds_write_b32 v39, v1 offset:4
.LBB6_18:                               ;   in Loop: Header=BB6_4 Depth=2
	s_or_b64 exec, exec, s[14:15]
	v_lshrrev_b32_e32 v1, v20, v16
	v_and_b32_e32 v2, 0xff, v1
	v_lshl_add_u32 v42, v2, 2, v14
	v_and_b32_e32 v2, 1, v1
	v_add_co_u32_e32 v4, vcc, -1, v2
	v_addc_co_u32_e64 v5, s[14:15], 0, -1, vcc
	v_cmp_ne_u32_e32 vcc, 0, v2
	v_xor_b32_e32 v4, vcc_lo, v4
	v_xor_b32_e32 v2, vcc_hi, v5
	v_and_b32_e32 v5, exec_lo, v4
	v_lshlrev_b32_e32 v4, 30, v1
	v_cmp_gt_i64_e32 vcc, 0, v[3:4]
	v_not_b32_e32 v4, v4
	v_ashrrev_i32_e32 v4, 31, v4
	v_xor_b32_e32 v43, vcc_hi, v4
	v_xor_b32_e32 v4, vcc_lo, v4
	v_and_b32_e32 v5, v5, v4
	v_lshlrev_b32_e32 v4, 29, v1
	v_cmp_gt_i64_e32 vcc, 0, v[3:4]
	v_not_b32_e32 v4, v4
	v_and_b32_e32 v2, exec_hi, v2
	v_ashrrev_i32_e32 v4, 31, v4
	v_and_b32_e32 v2, v2, v43
	v_xor_b32_e32 v43, vcc_hi, v4
	v_xor_b32_e32 v4, vcc_lo, v4
	v_and_b32_e32 v5, v5, v4
	v_lshlrev_b32_e32 v4, 28, v1
	v_cmp_gt_i64_e32 vcc, 0, v[3:4]
	v_not_b32_e32 v4, v4
	v_ashrrev_i32_e32 v4, 31, v4
	v_and_b32_e32 v2, v2, v43
	v_xor_b32_e32 v43, vcc_hi, v4
	v_xor_b32_e32 v4, vcc_lo, v4
	v_and_b32_e32 v5, v5, v4
	v_lshlrev_b32_e32 v4, 27, v1
	v_cmp_gt_i64_e32 vcc, 0, v[3:4]
	v_not_b32_e32 v4, v4
	;; [unrolled: 8-line block ×5, first 2 shown]
	v_ashrrev_i32_e32 v1, 31, v1
	v_xor_b32_e32 v4, vcc_hi, v1
	v_xor_b32_e32 v1, vcc_lo, v1
	; wave barrier
	ds_read_b32 v41, v42 offset:4
	v_and_b32_e32 v2, v2, v43
	v_and_b32_e32 v1, v5, v1
	;; [unrolled: 1-line block ×3, first 2 shown]
	v_mbcnt_lo_u32_b32 v4, v1, 0
	v_mbcnt_hi_u32_b32 v43, v2, v4
	v_cmp_ne_u64_e32 vcc, 0, v[1:2]
	v_cmp_eq_u32_e64 s[14:15], 0, v43
	s_and_b64 s[24:25], vcc, s[14:15]
	; wave barrier
	s_and_saveexec_b64 s[14:15], s[24:25]
	s_cbranch_execz .LBB6_20
; %bb.19:                               ;   in Loop: Header=BB6_4 Depth=2
	v_bcnt_u32_b32 v1, v1, 0
	v_bcnt_u32_b32 v1, v2, v1
	s_waitcnt lgkmcnt(0)
	v_add_u32_e32 v1, v41, v1
	ds_write_b32 v42, v1 offset:4
.LBB6_20:                               ;   in Loop: Header=BB6_4 Depth=2
	s_or_b64 exec, exec, s[14:15]
	; wave barrier
	s_waitcnt lgkmcnt(0)
	; wave barrier
	ds_read2_b32 v[4:5], v12 offset0:1 offset1:2
	ds_read2_b32 v[1:2], v12 offset0:3 offset1:4
	s_waitcnt lgkmcnt(1)
	v_add_u32_e32 v44, v5, v4
	s_waitcnt lgkmcnt(0)
	v_add3_u32 v2, v44, v1, v2
	s_nop 1
	v_mov_b32_dpp v44, v2 row_shr:1 row_mask:0xf bank_mask:0xf
	v_cndmask_b32_e64 v44, v44, 0, s[0:1]
	v_add_u32_e32 v2, v44, v2
	s_nop 1
	v_mov_b32_dpp v44, v2 row_shr:2 row_mask:0xf bank_mask:0xf
	v_cndmask_b32_e64 v44, 0, v44, s[2:3]
	v_add_u32_e32 v2, v2, v44
	;; [unrolled: 4-line block ×4, first 2 shown]
	s_nop 1
	v_mov_b32_dpp v44, v2 row_bcast:15 row_mask:0xf bank_mask:0xf
	v_cndmask_b32_e64 v44, v44, 0, s[8:9]
	v_add_u32_e32 v2, v2, v44
	s_nop 1
	v_mov_b32_dpp v44, v2 row_bcast:31 row_mask:0xf bank_mask:0xf
	v_cndmask_b32_e64 v44, 0, v44, s[10:11]
	v_add_u32_e32 v2, v2, v44
	s_and_saveexec_b64 s[14:15], s[12:13]
; %bb.21:                               ;   in Loop: Header=BB6_4 Depth=2
	ds_write_b32 v3, v2
; %bb.22:                               ;   in Loop: Header=BB6_4 Depth=2
	s_or_b64 exec, exec, s[14:15]
	ds_bpermute_b32 v2, v13, v2
	s_waitcnt lgkmcnt(0)
	; wave barrier
	v_cmp_lt_u32_e32 vcc, 23, v20
	s_and_b64 vcc, exec, vcc
	v_cndmask_b32_e64 v2, v2, 0, s[16:17]
	v_add_u32_e32 v4, v2, v4
	v_add_u32_e32 v5, v4, v5
	;; [unrolled: 1-line block ×3, first 2 shown]
	ds_write2_b32 v12, v2, v4 offset0:1 offset1:2
	ds_write2_b32 v12, v5, v1 offset0:3 offset1:4
	s_waitcnt lgkmcnt(0)
	; wave barrier
	ds_read_b32 v1, v6 offset:4
	ds_read_b32 v2, v9 offset:4
	;; [unrolled: 1-line block ×8, first 2 shown]
	s_waitcnt lgkmcnt(7)
	v_add_u32_e32 v36, v1, v7
	s_waitcnt lgkmcnt(6)
	v_add3_u32 v33, v25, v8, v2
	s_waitcnt lgkmcnt(5)
	v_add3_u32 v30, v28, v26, v4
	;; [unrolled: 2-line block ×7, first 2 shown]
	s_mov_b64 s[14:15], -1
                                        ; implicit-def: $vgpr9
                                        ; implicit-def: $vgpr7
                                        ; implicit-def: $vgpr5
                                        ; implicit-def: $vgpr2
	s_cbranch_vccnz .LBB6_3
; %bb.23:                               ;   in Loop: Header=BB6_4 Depth=2
	v_lshlrev_b32_e32 v1, 2, v36
	; wave barrier
	ds_write_b32 v1, v24
	v_lshlrev_b32_e32 v1, 2, v33
	ds_write_b32 v1, v23
	v_lshlrev_b32_e32 v1, 2, v30
	;; [unrolled: 2-line block ×7, first 2 shown]
	ds_write_b32 v1, v16
	s_waitcnt lgkmcnt(0)
	; wave barrier
	ds_read2st64_b32 v[1:2], v11 offset1:1
	ds_read2st64_b32 v[4:5], v11 offset0:2 offset1:3
	ds_read2st64_b32 v[6:7], v11 offset0:4 offset1:5
	;; [unrolled: 1-line block ×3, first 2 shown]
	v_add_u32_e32 v20, 8, v20
	s_mov_b64 s[14:15], 0
	s_waitcnt lgkmcnt(0)
	; wave barrier
	s_branch .LBB6_3
.LBB6_24:
	s_add_u32 s0, s18, s22
	s_addc_u32 s1, s19, s23
	v_lshlrev_b32_e32 v0, 2, v0
	global_store_dword v0, v4, s[0:1]
	global_store_dword v0, v5, s[0:1] offset:256
	global_store_dword v0, v6, s[0:1] offset:512
	;; [unrolled: 1-line block ×7, first 2 shown]
	s_endpgm
	.section	.rodata,"a",@progbits
	.p2align	6, 0x0
	.amdhsa_kernel _Z16sort_keys_kernelI22helper_blocked_blockediLj64ELj8ELj10EEvPKT0_PS1_
		.amdhsa_group_segment_fixed_size 2048
		.amdhsa_private_segment_fixed_size 0
		.amdhsa_kernarg_size 272
		.amdhsa_user_sgpr_count 6
		.amdhsa_user_sgpr_private_segment_buffer 1
		.amdhsa_user_sgpr_dispatch_ptr 0
		.amdhsa_user_sgpr_queue_ptr 0
		.amdhsa_user_sgpr_kernarg_segment_ptr 1
		.amdhsa_user_sgpr_dispatch_id 0
		.amdhsa_user_sgpr_flat_scratch_init 0
		.amdhsa_user_sgpr_private_segment_size 0
		.amdhsa_uses_dynamic_stack 0
		.amdhsa_system_sgpr_private_segment_wavefront_offset 0
		.amdhsa_system_sgpr_workgroup_id_x 1
		.amdhsa_system_sgpr_workgroup_id_y 0
		.amdhsa_system_sgpr_workgroup_id_z 0
		.amdhsa_system_sgpr_workgroup_info 0
		.amdhsa_system_vgpr_workitem_id 2
		.amdhsa_next_free_vgpr 45
		.amdhsa_next_free_sgpr 61
		.amdhsa_reserve_vcc 1
		.amdhsa_reserve_flat_scratch 0
		.amdhsa_float_round_mode_32 0
		.amdhsa_float_round_mode_16_64 0
		.amdhsa_float_denorm_mode_32 3
		.amdhsa_float_denorm_mode_16_64 3
		.amdhsa_dx10_clamp 1
		.amdhsa_ieee_mode 1
		.amdhsa_fp16_overflow 0
		.amdhsa_exception_fp_ieee_invalid_op 0
		.amdhsa_exception_fp_denorm_src 0
		.amdhsa_exception_fp_ieee_div_zero 0
		.amdhsa_exception_fp_ieee_overflow 0
		.amdhsa_exception_fp_ieee_underflow 0
		.amdhsa_exception_fp_ieee_inexact 0
		.amdhsa_exception_int_div_zero 0
	.end_amdhsa_kernel
	.section	.text._Z16sort_keys_kernelI22helper_blocked_blockediLj64ELj8ELj10EEvPKT0_PS1_,"axG",@progbits,_Z16sort_keys_kernelI22helper_blocked_blockediLj64ELj8ELj10EEvPKT0_PS1_,comdat
.Lfunc_end6:
	.size	_Z16sort_keys_kernelI22helper_blocked_blockediLj64ELj8ELj10EEvPKT0_PS1_, .Lfunc_end6-_Z16sort_keys_kernelI22helper_blocked_blockediLj64ELj8ELj10EEvPKT0_PS1_
                                        ; -- End function
	.set _Z16sort_keys_kernelI22helper_blocked_blockediLj64ELj8ELj10EEvPKT0_PS1_.num_vgpr, 45
	.set _Z16sort_keys_kernelI22helper_blocked_blockediLj64ELj8ELj10EEvPKT0_PS1_.num_agpr, 0
	.set _Z16sort_keys_kernelI22helper_blocked_blockediLj64ELj8ELj10EEvPKT0_PS1_.numbered_sgpr, 26
	.set _Z16sort_keys_kernelI22helper_blocked_blockediLj64ELj8ELj10EEvPKT0_PS1_.num_named_barrier, 0
	.set _Z16sort_keys_kernelI22helper_blocked_blockediLj64ELj8ELj10EEvPKT0_PS1_.private_seg_size, 0
	.set _Z16sort_keys_kernelI22helper_blocked_blockediLj64ELj8ELj10EEvPKT0_PS1_.uses_vcc, 1
	.set _Z16sort_keys_kernelI22helper_blocked_blockediLj64ELj8ELj10EEvPKT0_PS1_.uses_flat_scratch, 0
	.set _Z16sort_keys_kernelI22helper_blocked_blockediLj64ELj8ELj10EEvPKT0_PS1_.has_dyn_sized_stack, 0
	.set _Z16sort_keys_kernelI22helper_blocked_blockediLj64ELj8ELj10EEvPKT0_PS1_.has_recursion, 0
	.set _Z16sort_keys_kernelI22helper_blocked_blockediLj64ELj8ELj10EEvPKT0_PS1_.has_indirect_call, 0
	.section	.AMDGPU.csdata,"",@progbits
; Kernel info:
; codeLenInByte = 4252
; TotalNumSgprs: 30
; NumVgprs: 45
; ScratchSize: 0
; MemoryBound: 0
; FloatMode: 240
; IeeeMode: 1
; LDSByteSize: 2048 bytes/workgroup (compile time only)
; SGPRBlocks: 8
; VGPRBlocks: 11
; NumSGPRsForWavesPerEU: 65
; NumVGPRsForWavesPerEU: 45
; Occupancy: 5
; WaveLimiterHint : 1
; COMPUTE_PGM_RSRC2:SCRATCH_EN: 0
; COMPUTE_PGM_RSRC2:USER_SGPR: 6
; COMPUTE_PGM_RSRC2:TRAP_HANDLER: 0
; COMPUTE_PGM_RSRC2:TGID_X_EN: 1
; COMPUTE_PGM_RSRC2:TGID_Y_EN: 0
; COMPUTE_PGM_RSRC2:TGID_Z_EN: 0
; COMPUTE_PGM_RSRC2:TIDIG_COMP_CNT: 2
	.section	.text._Z17sort_pairs_kernelI22helper_blocked_blockediLj64ELj8ELj10EEvPKT0_PS1_,"axG",@progbits,_Z17sort_pairs_kernelI22helper_blocked_blockediLj64ELj8ELj10EEvPKT0_PS1_,comdat
	.protected	_Z17sort_pairs_kernelI22helper_blocked_blockediLj64ELj8ELj10EEvPKT0_PS1_ ; -- Begin function _Z17sort_pairs_kernelI22helper_blocked_blockediLj64ELj8ELj10EEvPKT0_PS1_
	.globl	_Z17sort_pairs_kernelI22helper_blocked_blockediLj64ELj8ELj10EEvPKT0_PS1_
	.p2align	8
	.type	_Z17sort_pairs_kernelI22helper_blocked_blockediLj64ELj8ELj10EEvPKT0_PS1_,@function
_Z17sort_pairs_kernelI22helper_blocked_blockediLj64ELj8ELj10EEvPKT0_PS1_: ; @_Z17sort_pairs_kernelI22helper_blocked_blockediLj64ELj8ELj10EEvPKT0_PS1_
; %bb.0:
	s_load_dwordx4 s[16:19], s[4:5], 0x0
	s_load_dword s24, s[4:5], 0x1c
	s_lshl_b32 s22, s6, 9
	s_mov_b32 s23, 0
	s_lshl_b64 s[20:21], s[22:23], 2
	s_waitcnt lgkmcnt(0)
	s_add_u32 s0, s16, s20
	s_addc_u32 s1, s17, s21
	v_lshlrev_b32_e32 v3, 2, v0
	global_load_dword v10, v3, s[0:1]
	global_load_dword v11, v3, s[0:1] offset:256
	global_load_dword v12, v3, s[0:1] offset:512
	global_load_dword v13, v3, s[0:1] offset:768
	global_load_dword v14, v3, s[0:1] offset:1024
	global_load_dword v15, v3, s[0:1] offset:1280
	global_load_dword v16, v3, s[0:1] offset:1536
	global_load_dword v17, v3, s[0:1] offset:1792
	v_mbcnt_lo_u32_b32 v3, -1, 0
	v_mbcnt_hi_u32_b32 v3, -1, v3
	s_lshr_b32 s22, s24, 16
	v_subrev_co_u32_e64 v6, s[14:15], 1, v3
	v_and_b32_e32 v7, 64, v3
	s_and_b32 s24, s24, 0xffff
	v_mad_u32_u24 v1, v2, s22, v1
	v_cmp_lt_i32_e64 s[16:17], v6, v7
	v_mad_u32_u24 v1, v1, s24, v0
	v_lshlrev_b32_e32 v18, 4, v0
	v_cmp_eq_u32_e32 vcc, 0, v0
	v_lshlrev_b32_e32 v19, 5, v3
	v_lshlrev_b32_e32 v20, 2, v3
	v_and_b32_e32 v4, 15, v3
	v_and_b32_e32 v5, 16, v3
	v_cmp_lt_u32_e64 s[2:3], 31, v3
	v_cndmask_b32_e64 v3, v6, v3, s[16:17]
	v_lshrrev_b32_e32 v1, 4, v1
	v_mov_b32_e32 v9, 0
	v_cmp_eq_u32_e64 s[0:1], 63, v0
	v_cmp_eq_u32_e64 s[4:5], 0, v4
	v_cmp_lt_u32_e64 s[6:7], 1, v4
	v_cmp_lt_u32_e64 s[8:9], 3, v4
	v_cmp_lt_u32_e64 s[10:11], 7, v4
	v_cmp_eq_u32_e64 s[12:13], 0, v5
	v_lshlrev_b32_e32 v21, 2, v3
	s_or_b64 s[16:17], vcc, s[14:15]
	v_and_b32_e32 v22, 0xffffffc, v1
	v_add_u32_e32 v23, v18, v18
	s_waitcnt vmcnt(7)
	v_add_u32_e32 v5, 1, v10
	s_waitcnt vmcnt(6)
	;; [unrolled: 2-line block ×8, first 2 shown]
	v_add_u32_e32 v4, 1, v17
	s_branch .LBB7_2
.LBB7_1:                                ;   in Loop: Header=BB7_2 Depth=1
	v_lshlrev_b32_e32 v1, 2, v53
	v_lshlrev_b32_e32 v2, 2, v52
	;; [unrolled: 1-line block ×8, first 2 shown]
	; wave barrier
	ds_write_b32 v1, v40
	ds_write_b32 v2, v39
	;; [unrolled: 1-line block ×8, first 2 shown]
	s_waitcnt lgkmcnt(0)
	; wave barrier
	ds_read2_b64 v[10:13], v23 offset1:1
	ds_read2_b64 v[14:17], v23 offset0:2 offset1:3
	s_waitcnt lgkmcnt(0)
	; wave barrier
	ds_write_b32 v1, v34
	ds_write_b32 v2, v33
	;; [unrolled: 1-line block ×8, first 2 shown]
	s_waitcnt lgkmcnt(0)
	; wave barrier
	ds_read2_b64 v[5:8], v23 offset1:1
	ds_read2_b64 v[1:4], v23 offset0:2 offset1:3
	s_add_i32 s23, s23, 1
	v_xor_b32_e32 v10, 0x80000000, v10
	v_xor_b32_e32 v11, 0x80000000, v11
	v_xor_b32_e32 v12, 0x80000000, v12
	v_xor_b32_e32 v13, 0x80000000, v13
	v_xor_b32_e32 v14, 0x80000000, v14
	v_xor_b32_e32 v15, 0x80000000, v15
	v_xor_b32_e32 v16, 0x80000000, v16
	s_cmp_eq_u32 s23, 10
	v_xor_b32_e32 v17, 0x80000000, v17
	s_cbranch_scc1 .LBB7_24
.LBB7_2:                                ; =>This Loop Header: Depth=1
                                        ;     Child Loop BB7_4 Depth 2
	v_xor_b32_e32 v10, 0x80000000, v10
	v_xor_b32_e32 v11, 0x80000000, v11
	;; [unrolled: 1-line block ×8, first 2 shown]
	ds_write2_b64 v19, v[10:11], v[12:13] offset1:1
	ds_write2_b64 v19, v[14:15], v[16:17] offset0:2 offset1:3
	; wave barrier
	ds_read2st64_b32 v[10:11], v20 offset1:1
	ds_read2st64_b32 v[12:13], v20 offset0:2 offset1:3
	ds_read2st64_b32 v[14:15], v20 offset0:4 offset1:5
	;; [unrolled: 1-line block ×3, first 2 shown]
	; wave barrier
	s_waitcnt lgkmcnt(7)
	ds_write2_b64 v19, v[5:6], v[7:8] offset1:1
	s_waitcnt lgkmcnt(7)
	ds_write2_b64 v19, v[1:2], v[3:4] offset0:2 offset1:3
	; wave barrier
	ds_read2st64_b32 v[1:2], v20 offset1:1
	ds_read2st64_b32 v[3:4], v20 offset0:2 offset1:3
	ds_read2st64_b32 v[5:6], v20 offset0:4 offset1:5
	ds_read2st64_b32 v[7:8], v20 offset0:6 offset1:7
	v_mov_b32_e32 v30, v9
	s_waitcnt lgkmcnt(0)
	; wave barrier
	s_branch .LBB7_4
.LBB7_3:                                ;   in Loop: Header=BB7_4 Depth=2
	s_andn2_b64 vcc, exec, s[14:15]
	s_cbranch_vccz .LBB7_1
.LBB7_4:                                ;   Parent Loop BB7_2 Depth=1
                                        ; =>  This Inner Loop Header: Depth=2
	v_mov_b32_e32 v40, v10
	v_mov_b32_e32 v34, v1
	v_lshrrev_b32_e32 v1, v30, v40
	v_mov_b32_e32 v33, v2
	v_and_b32_e32 v2, 0xff, v1
	v_mov_b32_e32 v27, v5
	v_lshl_add_u32 v5, v2, 2, v22
	v_and_b32_e32 v2, 1, v1
	v_mov_b32_e32 v31, v3
	v_add_co_u32_e32 v3, vcc, -1, v2
	v_mov_b32_e32 v28, v4
	v_addc_co_u32_e64 v4, s[14:15], 0, -1, vcc
	v_cmp_ne_u32_e32 vcc, 0, v2
	v_lshlrev_b32_e32 v10, 30, v1
	v_xor_b32_e32 v2, vcc_hi, v4
	v_xor_b32_e32 v3, vcc_lo, v3
	v_cmp_gt_i64_e32 vcc, 0, v[9:10]
	v_not_b32_e32 v4, v10
	v_ashrrev_i32_e32 v4, 31, v4
	v_mov_b32_e32 v26, v6
	v_and_b32_e32 v3, exec_lo, v3
	v_xor_b32_e32 v6, vcc_hi, v4
	v_xor_b32_e32 v4, vcc_lo, v4
	v_lshlrev_b32_e32 v10, 29, v1
	v_and_b32_e32 v3, v3, v4
	v_cmp_gt_i64_e32 vcc, 0, v[9:10]
	v_not_b32_e32 v4, v10
	v_and_b32_e32 v2, exec_hi, v2
	v_ashrrev_i32_e32 v4, 31, v4
	v_and_b32_e32 v2, v2, v6
	v_xor_b32_e32 v6, vcc_hi, v4
	v_xor_b32_e32 v4, vcc_lo, v4
	v_lshlrev_b32_e32 v10, 28, v1
	v_and_b32_e32 v3, v3, v4
	v_cmp_gt_i64_e32 vcc, 0, v[9:10]
	v_not_b32_e32 v4, v10
	v_ashrrev_i32_e32 v4, 31, v4
	v_and_b32_e32 v2, v2, v6
	v_xor_b32_e32 v6, vcc_hi, v4
	v_xor_b32_e32 v4, vcc_lo, v4
	v_lshlrev_b32_e32 v10, 27, v1
	v_and_b32_e32 v3, v3, v4
	v_cmp_gt_i64_e32 vcc, 0, v[9:10]
	v_not_b32_e32 v4, v10
	;; [unrolled: 8-line block ×4, first 2 shown]
	v_ashrrev_i32_e32 v4, 31, v4
	v_lshlrev_b32_e32 v10, 24, v1
	v_and_b32_e32 v2, v2, v6
	v_xor_b32_e32 v6, vcc_hi, v4
	v_xor_b32_e32 v4, vcc_lo, v4
	v_cmp_gt_i64_e32 vcc, 0, v[9:10]
	v_not_b32_e32 v1, v10
	v_ashrrev_i32_e32 v1, 31, v1
	v_and_b32_e32 v3, v3, v4
	v_xor_b32_e32 v4, vcc_hi, v1
	v_xor_b32_e32 v1, vcc_lo, v1
	v_and_b32_e32 v2, v2, v6
	v_and_b32_e32 v1, v3, v1
	;; [unrolled: 1-line block ×3, first 2 shown]
	v_mbcnt_lo_u32_b32 v3, v1, 0
	v_mbcnt_hi_u32_b32 v6, v2, v3
	v_cmp_ne_u64_e32 vcc, 0, v[1:2]
	v_cmp_eq_u32_e64 s[14:15], 0, v6
	v_mov_b32_e32 v29, v17
	v_mov_b32_e32 v32, v16
	;; [unrolled: 1-line block ×9, first 2 shown]
	s_and_b64 s[24:25], vcc, s[14:15]
	ds_write2_b32 v18, v9, v9 offset0:1 offset1:2
	ds_write2_b32 v18, v9, v9 offset0:3 offset1:4
	s_waitcnt lgkmcnt(0)
	; wave barrier
	; wave barrier
	s_and_saveexec_b64 s[14:15], s[24:25]
; %bb.5:                                ;   in Loop: Header=BB7_4 Depth=2
	v_bcnt_u32_b32 v1, v1, 0
	v_bcnt_u32_b32 v1, v2, v1
	ds_write_b32 v5, v1 offset:4
; %bb.6:                                ;   in Loop: Header=BB7_4 Depth=2
	s_or_b64 exec, exec, s[14:15]
	v_lshrrev_b32_e32 v1, v30, v39
	v_and_b32_e32 v2, 0xff, v1
	v_lshl_add_u32 v8, v2, 2, v22
	v_and_b32_e32 v2, 1, v1
	v_add_co_u32_e32 v3, vcc, -1, v2
	v_addc_co_u32_e64 v4, s[14:15], 0, -1, vcc
	v_cmp_ne_u32_e32 vcc, 0, v2
	v_lshlrev_b32_e32 v10, 30, v1
	v_xor_b32_e32 v2, vcc_hi, v4
	v_xor_b32_e32 v3, vcc_lo, v3
	v_cmp_gt_i64_e32 vcc, 0, v[9:10]
	v_not_b32_e32 v4, v10
	v_ashrrev_i32_e32 v4, 31, v4
	v_and_b32_e32 v2, exec_hi, v2
	v_xor_b32_e32 v10, vcc_hi, v4
	v_and_b32_e32 v3, exec_lo, v3
	v_xor_b32_e32 v4, vcc_lo, v4
	v_and_b32_e32 v2, v2, v10
	v_lshlrev_b32_e32 v10, 29, v1
	v_and_b32_e32 v3, v3, v4
	v_cmp_gt_i64_e32 vcc, 0, v[9:10]
	v_not_b32_e32 v4, v10
	v_ashrrev_i32_e32 v4, 31, v4
	v_xor_b32_e32 v10, vcc_hi, v4
	v_xor_b32_e32 v4, vcc_lo, v4
	v_and_b32_e32 v2, v2, v10
	v_lshlrev_b32_e32 v10, 28, v1
	v_and_b32_e32 v3, v3, v4
	v_cmp_gt_i64_e32 vcc, 0, v[9:10]
	v_not_b32_e32 v4, v10
	v_ashrrev_i32_e32 v4, 31, v4
	v_xor_b32_e32 v10, vcc_hi, v4
	;; [unrolled: 8-line block ×5, first 2 shown]
	v_and_b32_e32 v2, v2, v10
	v_lshlrev_b32_e32 v10, 24, v1
	v_xor_b32_e32 v4, vcc_lo, v4
	v_cmp_gt_i64_e32 vcc, 0, v[9:10]
	v_not_b32_e32 v1, v10
	v_ashrrev_i32_e32 v1, 31, v1
	v_and_b32_e32 v3, v3, v4
	v_xor_b32_e32 v4, vcc_hi, v1
	v_xor_b32_e32 v1, vcc_lo, v1
	; wave barrier
	ds_read_b32 v7, v8 offset:4
	v_and_b32_e32 v1, v3, v1
	v_and_b32_e32 v2, v2, v4
	v_mbcnt_lo_u32_b32 v3, v1, 0
	v_mbcnt_hi_u32_b32 v11, v2, v3
	v_cmp_ne_u64_e32 vcc, 0, v[1:2]
	v_cmp_eq_u32_e64 s[14:15], 0, v11
	s_and_b64 s[24:25], vcc, s[14:15]
	; wave barrier
	s_and_saveexec_b64 s[14:15], s[24:25]
	s_cbranch_execz .LBB7_8
; %bb.7:                                ;   in Loop: Header=BB7_4 Depth=2
	v_bcnt_u32_b32 v1, v1, 0
	v_bcnt_u32_b32 v1, v2, v1
	s_waitcnt lgkmcnt(0)
	v_add_u32_e32 v1, v7, v1
	ds_write_b32 v8, v1 offset:4
.LBB7_8:                                ;   in Loop: Header=BB7_4 Depth=2
	s_or_b64 exec, exec, s[14:15]
	v_lshrrev_b32_e32 v1, v30, v38
	v_and_b32_e32 v2, 0xff, v1
	v_lshl_add_u32 v13, v2, 2, v22
	v_and_b32_e32 v2, 1, v1
	v_add_co_u32_e32 v3, vcc, -1, v2
	v_addc_co_u32_e64 v4, s[14:15], 0, -1, vcc
	v_cmp_ne_u32_e32 vcc, 0, v2
	v_lshlrev_b32_e32 v10, 30, v1
	v_xor_b32_e32 v2, vcc_hi, v4
	v_xor_b32_e32 v3, vcc_lo, v3
	v_cmp_gt_i64_e32 vcc, 0, v[9:10]
	v_not_b32_e32 v4, v10
	v_ashrrev_i32_e32 v4, 31, v4
	v_and_b32_e32 v2, exec_hi, v2
	v_xor_b32_e32 v10, vcc_hi, v4
	v_and_b32_e32 v3, exec_lo, v3
	v_xor_b32_e32 v4, vcc_lo, v4
	v_and_b32_e32 v2, v2, v10
	v_lshlrev_b32_e32 v10, 29, v1
	v_and_b32_e32 v3, v3, v4
	v_cmp_gt_i64_e32 vcc, 0, v[9:10]
	v_not_b32_e32 v4, v10
	v_ashrrev_i32_e32 v4, 31, v4
	v_xor_b32_e32 v10, vcc_hi, v4
	v_xor_b32_e32 v4, vcc_lo, v4
	v_and_b32_e32 v2, v2, v10
	v_lshlrev_b32_e32 v10, 28, v1
	v_and_b32_e32 v3, v3, v4
	v_cmp_gt_i64_e32 vcc, 0, v[9:10]
	v_not_b32_e32 v4, v10
	v_ashrrev_i32_e32 v4, 31, v4
	v_xor_b32_e32 v10, vcc_hi, v4
	;; [unrolled: 8-line block ×5, first 2 shown]
	v_and_b32_e32 v2, v2, v10
	v_lshlrev_b32_e32 v10, 24, v1
	v_xor_b32_e32 v4, vcc_lo, v4
	v_cmp_gt_i64_e32 vcc, 0, v[9:10]
	v_not_b32_e32 v1, v10
	v_ashrrev_i32_e32 v1, 31, v1
	v_and_b32_e32 v3, v3, v4
	v_xor_b32_e32 v4, vcc_hi, v1
	v_xor_b32_e32 v1, vcc_lo, v1
	; wave barrier
	ds_read_b32 v12, v13 offset:4
	v_and_b32_e32 v1, v3, v1
	v_and_b32_e32 v2, v2, v4
	v_mbcnt_lo_u32_b32 v3, v1, 0
	v_mbcnt_hi_u32_b32 v14, v2, v3
	v_cmp_ne_u64_e32 vcc, 0, v[1:2]
	v_cmp_eq_u32_e64 s[14:15], 0, v14
	s_and_b64 s[24:25], vcc, s[14:15]
	; wave barrier
	s_and_saveexec_b64 s[14:15], s[24:25]
	s_cbranch_execz .LBB7_10
; %bb.9:                                ;   in Loop: Header=BB7_4 Depth=2
	v_bcnt_u32_b32 v1, v1, 0
	v_bcnt_u32_b32 v1, v2, v1
	s_waitcnt lgkmcnt(0)
	v_add_u32_e32 v1, v12, v1
	ds_write_b32 v13, v1 offset:4
.LBB7_10:                               ;   in Loop: Header=BB7_4 Depth=2
	s_or_b64 exec, exec, s[14:15]
	v_lshrrev_b32_e32 v1, v30, v37
	v_and_b32_e32 v2, 0xff, v1
	v_lshl_add_u32 v16, v2, 2, v22
	v_and_b32_e32 v2, 1, v1
	v_add_co_u32_e32 v3, vcc, -1, v2
	v_addc_co_u32_e64 v4, s[14:15], 0, -1, vcc
	v_cmp_ne_u32_e32 vcc, 0, v2
	v_lshlrev_b32_e32 v10, 30, v1
	v_xor_b32_e32 v2, vcc_hi, v4
	v_xor_b32_e32 v3, vcc_lo, v3
	v_cmp_gt_i64_e32 vcc, 0, v[9:10]
	v_not_b32_e32 v4, v10
	v_ashrrev_i32_e32 v4, 31, v4
	v_and_b32_e32 v2, exec_hi, v2
	v_xor_b32_e32 v10, vcc_hi, v4
	v_and_b32_e32 v3, exec_lo, v3
	v_xor_b32_e32 v4, vcc_lo, v4
	v_and_b32_e32 v2, v2, v10
	v_lshlrev_b32_e32 v10, 29, v1
	v_and_b32_e32 v3, v3, v4
	v_cmp_gt_i64_e32 vcc, 0, v[9:10]
	v_not_b32_e32 v4, v10
	v_ashrrev_i32_e32 v4, 31, v4
	v_xor_b32_e32 v10, vcc_hi, v4
	v_xor_b32_e32 v4, vcc_lo, v4
	v_and_b32_e32 v2, v2, v10
	v_lshlrev_b32_e32 v10, 28, v1
	v_and_b32_e32 v3, v3, v4
	v_cmp_gt_i64_e32 vcc, 0, v[9:10]
	v_not_b32_e32 v4, v10
	v_ashrrev_i32_e32 v4, 31, v4
	v_xor_b32_e32 v10, vcc_hi, v4
	;; [unrolled: 8-line block ×5, first 2 shown]
	v_and_b32_e32 v2, v2, v10
	v_lshlrev_b32_e32 v10, 24, v1
	v_xor_b32_e32 v4, vcc_lo, v4
	v_cmp_gt_i64_e32 vcc, 0, v[9:10]
	v_not_b32_e32 v1, v10
	v_ashrrev_i32_e32 v1, 31, v1
	v_and_b32_e32 v3, v3, v4
	v_xor_b32_e32 v4, vcc_hi, v1
	v_xor_b32_e32 v1, vcc_lo, v1
	; wave barrier
	ds_read_b32 v15, v16 offset:4
	v_and_b32_e32 v1, v3, v1
	v_and_b32_e32 v2, v2, v4
	v_mbcnt_lo_u32_b32 v3, v1, 0
	v_mbcnt_hi_u32_b32 v17, v2, v3
	v_cmp_ne_u64_e32 vcc, 0, v[1:2]
	v_cmp_eq_u32_e64 s[14:15], 0, v17
	s_and_b64 s[24:25], vcc, s[14:15]
	; wave barrier
	s_and_saveexec_b64 s[14:15], s[24:25]
	s_cbranch_execz .LBB7_12
; %bb.11:                               ;   in Loop: Header=BB7_4 Depth=2
	v_bcnt_u32_b32 v1, v1, 0
	v_bcnt_u32_b32 v1, v2, v1
	s_waitcnt lgkmcnt(0)
	v_add_u32_e32 v1, v15, v1
	ds_write_b32 v16, v1 offset:4
.LBB7_12:                               ;   in Loop: Header=BB7_4 Depth=2
	s_or_b64 exec, exec, s[14:15]
	v_lshrrev_b32_e32 v1, v30, v36
	v_and_b32_e32 v2, 0xff, v1
	v_lshl_add_u32 v42, v2, 2, v22
	v_and_b32_e32 v2, 1, v1
	v_add_co_u32_e32 v3, vcc, -1, v2
	v_addc_co_u32_e64 v4, s[14:15], 0, -1, vcc
	v_cmp_ne_u32_e32 vcc, 0, v2
	v_lshlrev_b32_e32 v10, 30, v1
	v_xor_b32_e32 v2, vcc_hi, v4
	v_xor_b32_e32 v3, vcc_lo, v3
	v_cmp_gt_i64_e32 vcc, 0, v[9:10]
	v_not_b32_e32 v4, v10
	v_ashrrev_i32_e32 v4, 31, v4
	v_and_b32_e32 v2, exec_hi, v2
	v_xor_b32_e32 v10, vcc_hi, v4
	v_and_b32_e32 v3, exec_lo, v3
	v_xor_b32_e32 v4, vcc_lo, v4
	v_and_b32_e32 v2, v2, v10
	v_lshlrev_b32_e32 v10, 29, v1
	v_and_b32_e32 v3, v3, v4
	v_cmp_gt_i64_e32 vcc, 0, v[9:10]
	v_not_b32_e32 v4, v10
	v_ashrrev_i32_e32 v4, 31, v4
	v_xor_b32_e32 v10, vcc_hi, v4
	v_xor_b32_e32 v4, vcc_lo, v4
	v_and_b32_e32 v2, v2, v10
	v_lshlrev_b32_e32 v10, 28, v1
	v_and_b32_e32 v3, v3, v4
	v_cmp_gt_i64_e32 vcc, 0, v[9:10]
	v_not_b32_e32 v4, v10
	v_ashrrev_i32_e32 v4, 31, v4
	v_xor_b32_e32 v10, vcc_hi, v4
	;; [unrolled: 8-line block ×5, first 2 shown]
	v_and_b32_e32 v2, v2, v10
	v_lshlrev_b32_e32 v10, 24, v1
	v_xor_b32_e32 v4, vcc_lo, v4
	v_cmp_gt_i64_e32 vcc, 0, v[9:10]
	v_not_b32_e32 v1, v10
	v_ashrrev_i32_e32 v1, 31, v1
	v_and_b32_e32 v3, v3, v4
	v_xor_b32_e32 v4, vcc_hi, v1
	v_xor_b32_e32 v1, vcc_lo, v1
	; wave barrier
	ds_read_b32 v41, v42 offset:4
	v_and_b32_e32 v1, v3, v1
	v_and_b32_e32 v2, v2, v4
	v_mbcnt_lo_u32_b32 v3, v1, 0
	v_mbcnt_hi_u32_b32 v43, v2, v3
	v_cmp_ne_u64_e32 vcc, 0, v[1:2]
	v_cmp_eq_u32_e64 s[14:15], 0, v43
	s_and_b64 s[24:25], vcc, s[14:15]
	; wave barrier
	s_and_saveexec_b64 s[14:15], s[24:25]
	s_cbranch_execz .LBB7_14
; %bb.13:                               ;   in Loop: Header=BB7_4 Depth=2
	v_bcnt_u32_b32 v1, v1, 0
	v_bcnt_u32_b32 v1, v2, v1
	s_waitcnt lgkmcnt(0)
	v_add_u32_e32 v1, v41, v1
	ds_write_b32 v42, v1 offset:4
.LBB7_14:                               ;   in Loop: Header=BB7_4 Depth=2
	s_or_b64 exec, exec, s[14:15]
	v_lshrrev_b32_e32 v1, v30, v35
	v_and_b32_e32 v2, 0xff, v1
	v_lshl_add_u32 v45, v2, 2, v22
	v_and_b32_e32 v2, 1, v1
	v_add_co_u32_e32 v3, vcc, -1, v2
	v_addc_co_u32_e64 v4, s[14:15], 0, -1, vcc
	v_cmp_ne_u32_e32 vcc, 0, v2
	v_lshlrev_b32_e32 v10, 30, v1
	v_xor_b32_e32 v2, vcc_hi, v4
	v_xor_b32_e32 v3, vcc_lo, v3
	v_cmp_gt_i64_e32 vcc, 0, v[9:10]
	v_not_b32_e32 v4, v10
	v_ashrrev_i32_e32 v4, 31, v4
	v_and_b32_e32 v2, exec_hi, v2
	v_xor_b32_e32 v10, vcc_hi, v4
	v_and_b32_e32 v3, exec_lo, v3
	v_xor_b32_e32 v4, vcc_lo, v4
	v_and_b32_e32 v2, v2, v10
	v_lshlrev_b32_e32 v10, 29, v1
	v_and_b32_e32 v3, v3, v4
	v_cmp_gt_i64_e32 vcc, 0, v[9:10]
	v_not_b32_e32 v4, v10
	v_ashrrev_i32_e32 v4, 31, v4
	v_xor_b32_e32 v10, vcc_hi, v4
	v_xor_b32_e32 v4, vcc_lo, v4
	v_and_b32_e32 v2, v2, v10
	v_lshlrev_b32_e32 v10, 28, v1
	v_and_b32_e32 v3, v3, v4
	v_cmp_gt_i64_e32 vcc, 0, v[9:10]
	v_not_b32_e32 v4, v10
	v_ashrrev_i32_e32 v4, 31, v4
	v_xor_b32_e32 v10, vcc_hi, v4
	;; [unrolled: 8-line block ×5, first 2 shown]
	v_and_b32_e32 v2, v2, v10
	v_lshlrev_b32_e32 v10, 24, v1
	v_xor_b32_e32 v4, vcc_lo, v4
	v_cmp_gt_i64_e32 vcc, 0, v[9:10]
	v_not_b32_e32 v1, v10
	v_ashrrev_i32_e32 v1, 31, v1
	v_and_b32_e32 v3, v3, v4
	v_xor_b32_e32 v4, vcc_hi, v1
	v_xor_b32_e32 v1, vcc_lo, v1
	; wave barrier
	ds_read_b32 v44, v45 offset:4
	v_and_b32_e32 v1, v3, v1
	v_and_b32_e32 v2, v2, v4
	v_mbcnt_lo_u32_b32 v3, v1, 0
	v_mbcnt_hi_u32_b32 v46, v2, v3
	v_cmp_ne_u64_e32 vcc, 0, v[1:2]
	v_cmp_eq_u32_e64 s[14:15], 0, v46
	s_and_b64 s[24:25], vcc, s[14:15]
	; wave barrier
	s_and_saveexec_b64 s[14:15], s[24:25]
	s_cbranch_execz .LBB7_16
; %bb.15:                               ;   in Loop: Header=BB7_4 Depth=2
	v_bcnt_u32_b32 v1, v1, 0
	v_bcnt_u32_b32 v1, v2, v1
	s_waitcnt lgkmcnt(0)
	v_add_u32_e32 v1, v44, v1
	ds_write_b32 v45, v1 offset:4
.LBB7_16:                               ;   in Loop: Header=BB7_4 Depth=2
	s_or_b64 exec, exec, s[14:15]
	v_lshrrev_b32_e32 v1, v30, v32
	v_and_b32_e32 v2, 0xff, v1
	v_lshl_add_u32 v48, v2, 2, v22
	v_and_b32_e32 v2, 1, v1
	v_add_co_u32_e32 v3, vcc, -1, v2
	v_addc_co_u32_e64 v4, s[14:15], 0, -1, vcc
	v_cmp_ne_u32_e32 vcc, 0, v2
	v_lshlrev_b32_e32 v10, 30, v1
	v_xor_b32_e32 v2, vcc_hi, v4
	v_xor_b32_e32 v3, vcc_lo, v3
	v_cmp_gt_i64_e32 vcc, 0, v[9:10]
	v_not_b32_e32 v4, v10
	v_ashrrev_i32_e32 v4, 31, v4
	v_and_b32_e32 v2, exec_hi, v2
	v_xor_b32_e32 v10, vcc_hi, v4
	v_and_b32_e32 v3, exec_lo, v3
	v_xor_b32_e32 v4, vcc_lo, v4
	v_and_b32_e32 v2, v2, v10
	v_lshlrev_b32_e32 v10, 29, v1
	v_and_b32_e32 v3, v3, v4
	v_cmp_gt_i64_e32 vcc, 0, v[9:10]
	v_not_b32_e32 v4, v10
	v_ashrrev_i32_e32 v4, 31, v4
	v_xor_b32_e32 v10, vcc_hi, v4
	v_xor_b32_e32 v4, vcc_lo, v4
	v_and_b32_e32 v2, v2, v10
	v_lshlrev_b32_e32 v10, 28, v1
	v_and_b32_e32 v3, v3, v4
	v_cmp_gt_i64_e32 vcc, 0, v[9:10]
	v_not_b32_e32 v4, v10
	v_ashrrev_i32_e32 v4, 31, v4
	v_xor_b32_e32 v10, vcc_hi, v4
	;; [unrolled: 8-line block ×5, first 2 shown]
	v_and_b32_e32 v2, v2, v10
	v_lshlrev_b32_e32 v10, 24, v1
	v_xor_b32_e32 v4, vcc_lo, v4
	v_cmp_gt_i64_e32 vcc, 0, v[9:10]
	v_not_b32_e32 v1, v10
	v_ashrrev_i32_e32 v1, 31, v1
	v_and_b32_e32 v3, v3, v4
	v_xor_b32_e32 v4, vcc_hi, v1
	v_xor_b32_e32 v1, vcc_lo, v1
	; wave barrier
	ds_read_b32 v47, v48 offset:4
	v_and_b32_e32 v1, v3, v1
	v_and_b32_e32 v2, v2, v4
	v_mbcnt_lo_u32_b32 v3, v1, 0
	v_mbcnt_hi_u32_b32 v49, v2, v3
	v_cmp_ne_u64_e32 vcc, 0, v[1:2]
	v_cmp_eq_u32_e64 s[14:15], 0, v49
	s_and_b64 s[24:25], vcc, s[14:15]
	; wave barrier
	s_and_saveexec_b64 s[14:15], s[24:25]
	s_cbranch_execz .LBB7_18
; %bb.17:                               ;   in Loop: Header=BB7_4 Depth=2
	v_bcnt_u32_b32 v1, v1, 0
	v_bcnt_u32_b32 v1, v2, v1
	s_waitcnt lgkmcnt(0)
	v_add_u32_e32 v1, v47, v1
	ds_write_b32 v48, v1 offset:4
.LBB7_18:                               ;   in Loop: Header=BB7_4 Depth=2
	s_or_b64 exec, exec, s[14:15]
	v_lshrrev_b32_e32 v1, v30, v29
	v_and_b32_e32 v2, 0xff, v1
	v_lshl_add_u32 v51, v2, 2, v22
	v_and_b32_e32 v2, 1, v1
	v_add_co_u32_e32 v3, vcc, -1, v2
	v_addc_co_u32_e64 v4, s[14:15], 0, -1, vcc
	v_cmp_ne_u32_e32 vcc, 0, v2
	v_lshlrev_b32_e32 v10, 30, v1
	v_xor_b32_e32 v2, vcc_hi, v4
	v_xor_b32_e32 v3, vcc_lo, v3
	v_cmp_gt_i64_e32 vcc, 0, v[9:10]
	v_not_b32_e32 v4, v10
	v_ashrrev_i32_e32 v4, 31, v4
	v_and_b32_e32 v2, exec_hi, v2
	v_xor_b32_e32 v10, vcc_hi, v4
	v_and_b32_e32 v3, exec_lo, v3
	v_xor_b32_e32 v4, vcc_lo, v4
	v_and_b32_e32 v2, v2, v10
	v_lshlrev_b32_e32 v10, 29, v1
	v_and_b32_e32 v3, v3, v4
	v_cmp_gt_i64_e32 vcc, 0, v[9:10]
	v_not_b32_e32 v4, v10
	v_ashrrev_i32_e32 v4, 31, v4
	v_xor_b32_e32 v10, vcc_hi, v4
	v_xor_b32_e32 v4, vcc_lo, v4
	v_and_b32_e32 v2, v2, v10
	v_lshlrev_b32_e32 v10, 28, v1
	v_and_b32_e32 v3, v3, v4
	v_cmp_gt_i64_e32 vcc, 0, v[9:10]
	v_not_b32_e32 v4, v10
	v_ashrrev_i32_e32 v4, 31, v4
	v_xor_b32_e32 v10, vcc_hi, v4
	;; [unrolled: 8-line block ×5, first 2 shown]
	v_and_b32_e32 v2, v2, v10
	v_lshlrev_b32_e32 v10, 24, v1
	v_xor_b32_e32 v4, vcc_lo, v4
	v_cmp_gt_i64_e32 vcc, 0, v[9:10]
	v_not_b32_e32 v1, v10
	v_ashrrev_i32_e32 v1, 31, v1
	v_and_b32_e32 v3, v3, v4
	v_xor_b32_e32 v4, vcc_hi, v1
	v_xor_b32_e32 v1, vcc_lo, v1
	; wave barrier
	ds_read_b32 v50, v51 offset:4
	v_and_b32_e32 v1, v3, v1
	v_and_b32_e32 v2, v2, v4
	v_mbcnt_lo_u32_b32 v3, v1, 0
	v_mbcnt_hi_u32_b32 v10, v2, v3
	v_cmp_ne_u64_e32 vcc, 0, v[1:2]
	v_cmp_eq_u32_e64 s[14:15], 0, v10
	s_and_b64 s[24:25], vcc, s[14:15]
	; wave barrier
	s_and_saveexec_b64 s[14:15], s[24:25]
	s_cbranch_execz .LBB7_20
; %bb.19:                               ;   in Loop: Header=BB7_4 Depth=2
	v_bcnt_u32_b32 v1, v1, 0
	v_bcnt_u32_b32 v1, v2, v1
	s_waitcnt lgkmcnt(0)
	v_add_u32_e32 v1, v50, v1
	ds_write_b32 v51, v1 offset:4
.LBB7_20:                               ;   in Loop: Header=BB7_4 Depth=2
	s_or_b64 exec, exec, s[14:15]
	; wave barrier
	s_waitcnt lgkmcnt(0)
	; wave barrier
	ds_read2_b32 v[3:4], v18 offset0:1 offset1:2
	ds_read2_b32 v[1:2], v18 offset0:3 offset1:4
	s_waitcnt lgkmcnt(1)
	v_add_u32_e32 v52, v4, v3
	s_waitcnt lgkmcnt(0)
	v_add3_u32 v2, v52, v1, v2
	s_nop 1
	v_mov_b32_dpp v52, v2 row_shr:1 row_mask:0xf bank_mask:0xf
	v_cndmask_b32_e64 v52, v52, 0, s[4:5]
	v_add_u32_e32 v2, v52, v2
	s_nop 1
	v_mov_b32_dpp v52, v2 row_shr:2 row_mask:0xf bank_mask:0xf
	v_cndmask_b32_e64 v52, 0, v52, s[6:7]
	v_add_u32_e32 v2, v2, v52
	;; [unrolled: 4-line block ×4, first 2 shown]
	s_nop 1
	v_mov_b32_dpp v52, v2 row_bcast:15 row_mask:0xf bank_mask:0xf
	v_cndmask_b32_e64 v52, v52, 0, s[12:13]
	v_add_u32_e32 v2, v2, v52
	s_nop 1
	v_mov_b32_dpp v52, v2 row_bcast:31 row_mask:0xf bank_mask:0xf
	v_cndmask_b32_e64 v52, 0, v52, s[2:3]
	v_add_u32_e32 v2, v2, v52
	s_and_saveexec_b64 s[14:15], s[0:1]
; %bb.21:                               ;   in Loop: Header=BB7_4 Depth=2
	ds_write_b32 v9, v2
; %bb.22:                               ;   in Loop: Header=BB7_4 Depth=2
	s_or_b64 exec, exec, s[14:15]
	ds_bpermute_b32 v2, v21, v2
	s_waitcnt lgkmcnt(0)
	; wave barrier
	v_cmp_lt_u32_e32 vcc, 23, v30
	s_and_b64 vcc, exec, vcc
	v_cndmask_b32_e64 v2, v2, 0, s[16:17]
	v_add_u32_e32 v3, v2, v3
	v_add_u32_e32 v4, v3, v4
	;; [unrolled: 1-line block ×3, first 2 shown]
	ds_write2_b32 v18, v2, v3 offset0:1 offset1:2
	ds_write2_b32 v18, v4, v1 offset0:3 offset1:4
	s_waitcnt lgkmcnt(0)
	; wave barrier
	ds_read_b32 v1, v5 offset:4
	ds_read_b32 v2, v8 offset:4
	;; [unrolled: 1-line block ×8, first 2 shown]
	s_waitcnt lgkmcnt(7)
	v_add_u32_e32 v53, v1, v6
	s_waitcnt lgkmcnt(6)
	v_add3_u32 v52, v11, v7, v2
	s_waitcnt lgkmcnt(5)
	v_add3_u32 v51, v14, v12, v3
	;; [unrolled: 2-line block ×7, first 2 shown]
	s_mov_b64 s[14:15], -1
                                        ; implicit-def: $vgpr17
                                        ; implicit-def: $vgpr15
                                        ; implicit-def: $vgpr13
                                        ; implicit-def: $vgpr11
                                        ; implicit-def: $vgpr8
                                        ; implicit-def: $vgpr6
                                        ; implicit-def: $vgpr4
                                        ; implicit-def: $vgpr2
	s_cbranch_vccnz .LBB7_3
; %bb.23:                               ;   in Loop: Header=BB7_4 Depth=2
	v_lshlrev_b32_e32 v1, 2, v53
	v_lshlrev_b32_e32 v2, 2, v52
	;; [unrolled: 1-line block ×8, first 2 shown]
	; wave barrier
	ds_write_b32 v1, v40
	ds_write_b32 v2, v39
	;; [unrolled: 1-line block ×8, first 2 shown]
	s_waitcnt lgkmcnt(0)
	; wave barrier
	ds_read2st64_b32 v[10:11], v20 offset1:1
	ds_read2st64_b32 v[12:13], v20 offset0:2 offset1:3
	ds_read2st64_b32 v[14:15], v20 offset0:4 offset1:5
	;; [unrolled: 1-line block ×3, first 2 shown]
	s_waitcnt lgkmcnt(0)
	; wave barrier
	ds_write_b32 v1, v34
	ds_write_b32 v2, v33
	ds_write_b32 v3, v31
	ds_write_b32 v4, v28
	ds_write_b32 v5, v27
	ds_write_b32 v6, v26
	ds_write_b32 v7, v25
	ds_write_b32 v8, v24
	s_waitcnt lgkmcnt(0)
	; wave barrier
	ds_read2st64_b32 v[1:2], v20 offset1:1
	ds_read2st64_b32 v[3:4], v20 offset0:2 offset1:3
	ds_read2st64_b32 v[5:6], v20 offset0:4 offset1:5
	;; [unrolled: 1-line block ×3, first 2 shown]
	v_add_u32_e32 v30, 8, v30
	s_mov_b64 s[14:15], 0
	s_waitcnt lgkmcnt(0)
	; wave barrier
	s_branch .LBB7_3
.LBB7_24:
	s_add_u32 s0, s18, s20
	s_waitcnt lgkmcnt(1)
	v_add_u32_e32 v5, v10, v5
	s_addc_u32 s1, s19, s21
	v_lshlrev_b32_e32 v0, 2, v0
	v_add_u32_e32 v6, v11, v6
	v_add_u32_e32 v7, v12, v7
	;; [unrolled: 1-line block ×3, first 2 shown]
	s_waitcnt lgkmcnt(0)
	v_add_u32_e32 v1, v14, v1
	v_add_u32_e32 v2, v15, v2
	;; [unrolled: 1-line block ×4, first 2 shown]
	global_store_dword v0, v5, s[0:1]
	global_store_dword v0, v6, s[0:1] offset:256
	global_store_dword v0, v7, s[0:1] offset:512
	;; [unrolled: 1-line block ×7, first 2 shown]
	s_endpgm
	.section	.rodata,"a",@progbits
	.p2align	6, 0x0
	.amdhsa_kernel _Z17sort_pairs_kernelI22helper_blocked_blockediLj64ELj8ELj10EEvPKT0_PS1_
		.amdhsa_group_segment_fixed_size 2048
		.amdhsa_private_segment_fixed_size 0
		.amdhsa_kernarg_size 272
		.amdhsa_user_sgpr_count 6
		.amdhsa_user_sgpr_private_segment_buffer 1
		.amdhsa_user_sgpr_dispatch_ptr 0
		.amdhsa_user_sgpr_queue_ptr 0
		.amdhsa_user_sgpr_kernarg_segment_ptr 1
		.amdhsa_user_sgpr_dispatch_id 0
		.amdhsa_user_sgpr_flat_scratch_init 0
		.amdhsa_user_sgpr_private_segment_size 0
		.amdhsa_uses_dynamic_stack 0
		.amdhsa_system_sgpr_private_segment_wavefront_offset 0
		.amdhsa_system_sgpr_workgroup_id_x 1
		.amdhsa_system_sgpr_workgroup_id_y 0
		.amdhsa_system_sgpr_workgroup_id_z 0
		.amdhsa_system_sgpr_workgroup_info 0
		.amdhsa_system_vgpr_workitem_id 2
		.amdhsa_next_free_vgpr 54
		.amdhsa_next_free_sgpr 61
		.amdhsa_reserve_vcc 1
		.amdhsa_reserve_flat_scratch 0
		.amdhsa_float_round_mode_32 0
		.amdhsa_float_round_mode_16_64 0
		.amdhsa_float_denorm_mode_32 3
		.amdhsa_float_denorm_mode_16_64 3
		.amdhsa_dx10_clamp 1
		.amdhsa_ieee_mode 1
		.amdhsa_fp16_overflow 0
		.amdhsa_exception_fp_ieee_invalid_op 0
		.amdhsa_exception_fp_denorm_src 0
		.amdhsa_exception_fp_ieee_div_zero 0
		.amdhsa_exception_fp_ieee_overflow 0
		.amdhsa_exception_fp_ieee_underflow 0
		.amdhsa_exception_fp_ieee_inexact 0
		.amdhsa_exception_int_div_zero 0
	.end_amdhsa_kernel
	.section	.text._Z17sort_pairs_kernelI22helper_blocked_blockediLj64ELj8ELj10EEvPKT0_PS1_,"axG",@progbits,_Z17sort_pairs_kernelI22helper_blocked_blockediLj64ELj8ELj10EEvPKT0_PS1_,comdat
.Lfunc_end7:
	.size	_Z17sort_pairs_kernelI22helper_blocked_blockediLj64ELj8ELj10EEvPKT0_PS1_, .Lfunc_end7-_Z17sort_pairs_kernelI22helper_blocked_blockediLj64ELj8ELj10EEvPKT0_PS1_
                                        ; -- End function
	.set _Z17sort_pairs_kernelI22helper_blocked_blockediLj64ELj8ELj10EEvPKT0_PS1_.num_vgpr, 54
	.set _Z17sort_pairs_kernelI22helper_blocked_blockediLj64ELj8ELj10EEvPKT0_PS1_.num_agpr, 0
	.set _Z17sort_pairs_kernelI22helper_blocked_blockediLj64ELj8ELj10EEvPKT0_PS1_.numbered_sgpr, 26
	.set _Z17sort_pairs_kernelI22helper_blocked_blockediLj64ELj8ELj10EEvPKT0_PS1_.num_named_barrier, 0
	.set _Z17sort_pairs_kernelI22helper_blocked_blockediLj64ELj8ELj10EEvPKT0_PS1_.private_seg_size, 0
	.set _Z17sort_pairs_kernelI22helper_blocked_blockediLj64ELj8ELj10EEvPKT0_PS1_.uses_vcc, 1
	.set _Z17sort_pairs_kernelI22helper_blocked_blockediLj64ELj8ELj10EEvPKT0_PS1_.uses_flat_scratch, 0
	.set _Z17sort_pairs_kernelI22helper_blocked_blockediLj64ELj8ELj10EEvPKT0_PS1_.has_dyn_sized_stack, 0
	.set _Z17sort_pairs_kernelI22helper_blocked_blockediLj64ELj8ELj10EEvPKT0_PS1_.has_recursion, 0
	.set _Z17sort_pairs_kernelI22helper_blocked_blockediLj64ELj8ELj10EEvPKT0_PS1_.has_indirect_call, 0
	.section	.AMDGPU.csdata,"",@progbits
; Kernel info:
; codeLenInByte = 4596
; TotalNumSgprs: 30
; NumVgprs: 54
; ScratchSize: 0
; MemoryBound: 0
; FloatMode: 240
; IeeeMode: 1
; LDSByteSize: 2048 bytes/workgroup (compile time only)
; SGPRBlocks: 8
; VGPRBlocks: 13
; NumSGPRsForWavesPerEU: 65
; NumVGPRsForWavesPerEU: 54
; Occupancy: 4
; WaveLimiterHint : 1
; COMPUTE_PGM_RSRC2:SCRATCH_EN: 0
; COMPUTE_PGM_RSRC2:USER_SGPR: 6
; COMPUTE_PGM_RSRC2:TRAP_HANDLER: 0
; COMPUTE_PGM_RSRC2:TGID_X_EN: 1
; COMPUTE_PGM_RSRC2:TGID_Y_EN: 0
; COMPUTE_PGM_RSRC2:TGID_Z_EN: 0
; COMPUTE_PGM_RSRC2:TIDIG_COMP_CNT: 2
	.section	.text._Z16sort_keys_kernelI22helper_blocked_blockediLj128ELj1ELj10EEvPKT0_PS1_,"axG",@progbits,_Z16sort_keys_kernelI22helper_blocked_blockediLj128ELj1ELj10EEvPKT0_PS1_,comdat
	.protected	_Z16sort_keys_kernelI22helper_blocked_blockediLj128ELj1ELj10EEvPKT0_PS1_ ; -- Begin function _Z16sort_keys_kernelI22helper_blocked_blockediLj128ELj1ELj10EEvPKT0_PS1_
	.globl	_Z16sort_keys_kernelI22helper_blocked_blockediLj128ELj1ELj10EEvPKT0_PS1_
	.p2align	8
	.type	_Z16sort_keys_kernelI22helper_blocked_blockediLj128ELj1ELj10EEvPKT0_PS1_,@function
_Z16sort_keys_kernelI22helper_blocked_blockediLj128ELj1ELj10EEvPKT0_PS1_: ; @_Z16sort_keys_kernelI22helper_blocked_blockediLj128ELj1ELj10EEvPKT0_PS1_
; %bb.0:
	s_load_dwordx4 s[24:27], s[4:5], 0x0
	s_load_dword s22, s[4:5], 0x1c
	s_lshl_b32 s28, s6, 7
	s_mov_b32 s29, 0
	s_lshl_b64 s[30:31], s[28:29], 2
	s_waitcnt lgkmcnt(0)
	s_add_u32 s0, s24, s30
	s_addc_u32 s1, s25, s31
	v_lshlrev_b32_e32 v3, 2, v0
	global_load_dword v3, v3, s[0:1]
	v_mbcnt_lo_u32_b32 v4, -1, 0
	v_mbcnt_hi_u32_b32 v4, -1, v4
	s_lshr_b32 s23, s22, 16
	v_subrev_co_u32_e64 v24, s[6:7], 1, v4
	v_and_b32_e32 v25, 64, v4
	s_and_b32 s22, s22, 0xffff
	v_mad_u32_u24 v1, v2, s23, v1
	v_lshlrev_b32_e32 v19, 4, v0
	v_and_b32_e32 v6, 64, v0
	v_lshrrev_b32_e32 v7, 4, v0
	v_mul_i32_i24_e32 v9, -12, v0
	s_mov_b32 s34, s29
	v_and_b32_e32 v10, 15, v4
	s_mov_b32 s28, s29
	v_cmp_lt_i32_e64 s[20:21], v24, v25
	v_mad_u32_u24 v1, v1, s22, v0
	s_mov_b32 s35, s29
	v_and_b32_e32 v22, 16, v4
	v_or_b32_e32 v23, 63, v6
	v_and_b32_e32 v20, 4, v7
	v_and_b32_e32 v26, 1, v4
	v_lshlrev_b32_e32 v6, 2, v6
	v_mov_b32_e32 v7, s34
	v_add_u32_e32 v21, v19, v9
	v_cmp_eq_u32_e64 s[8:9], 0, v10
	v_cmp_lt_u32_e64 s[10:11], 1, v10
	v_cmp_lt_u32_e64 s[12:13], 3, v10
	;; [unrolled: 1-line block ×3, first 2 shown]
	v_cndmask_b32_e64 v24, v24, v4, s[20:21]
	v_mov_b32_e32 v9, s28
	v_lshrrev_b32_e32 v1, 4, v1
	v_mov_b32_e32 v5, 0
	s_mov_b32 s33, 10
	s_movk_i32 s36, 0xff
	v_mov_b32_e32 v11, 3
	v_mov_b32_e32 v12, 1
	;; [unrolled: 1-line block ×8, first 2 shown]
	v_cmp_gt_u32_e32 vcc, 2, v0
	v_cmp_lt_u32_e64 s[0:1], 63, v0
	v_cmp_eq_u32_e64 s[2:3], 0, v0
	v_cmp_lt_u32_e64 s[4:5], 31, v4
	v_mov_b32_e32 v8, s35
	v_cmp_eq_u32_e64 s[16:17], 0, v22
	v_cmp_eq_u32_e64 s[18:19], v0, v23
	;; [unrolled: 1-line block ×3, first 2 shown]
	v_add_u32_e32 v22, -4, v20
	v_lshl_add_u32 v23, v4, 2, v6
	v_mov_b32_e32 v10, s29
	v_lshlrev_b32_e32 v24, 2, v24
	v_and_b32_e32 v25, 0xffffffc, v1
	v_mov_b32_e32 v26, 24
	s_waitcnt vmcnt(0)
	v_xor_b32_e32 v27, 0x80000000, v3
	s_branch .LBB8_2
.LBB8_1:                                ;   in Loop: Header=BB8_2 Depth=1
	s_or_b64 exec, exec, s[22:23]
	s_waitcnt lgkmcnt(0)
	v_add_u32_e32 v4, v29, v4
	ds_bpermute_b32 v4, v24, v4
	s_add_i32 s33, s33, -1
	s_cmp_eq_u32 s33, 0
	s_waitcnt lgkmcnt(0)
	v_cndmask_b32_e64 v4, v4, v29, s[6:7]
	v_cndmask_b32_e64 v29, v4, 0, s[2:3]
	v_add_u32_e32 v30, v29, v1
	v_add_u32_e32 v1, v30, v2
	;; [unrolled: 1-line block ×3, first 2 shown]
	ds_write2_b64 v19, v[29:30], v[1:2] offset0:1 offset1:2
	s_waitcnt lgkmcnt(0)
	s_barrier
	ds_read_b32 v1, v28 offset:8
	v_lshlrev_b32_e32 v2, 2, v6
	s_waitcnt lgkmcnt(0)
	s_barrier
	v_lshl_add_u32 v1, v1, 2, v2
	ds_write_b32 v1, v27
	s_waitcnt lgkmcnt(0)
	s_barrier
	ds_read_b32 v27, v21
	s_cbranch_scc1 .LBB8_34
.LBB8_2:                                ; =>This Inner Loop Header: Depth=1
	s_waitcnt lgkmcnt(0)
	v_and_b32_e32 v1, 1, v27
	v_add_co_u32_e64 v2, s[22:23], -1, v1
	v_addc_co_u32_e64 v4, s[22:23], 0, -1, s[22:23]
	v_cmp_ne_u32_e64 s[22:23], 0, v1
	v_lshlrev_b32_e32 v6, 30, v27
	v_xor_b32_e32 v1, s23, v4
	v_xor_b32_e32 v2, s22, v2
	v_cmp_gt_i64_e64 s[22:23], 0, v[5:6]
	v_not_b32_e32 v4, v6
	v_ashrrev_i32_e32 v4, 31, v4
	v_and_b32_e32 v1, exec_hi, v1
	v_xor_b32_e32 v6, s23, v4
	v_and_b32_e32 v2, exec_lo, v2
	v_xor_b32_e32 v4, s22, v4
	v_and_b32_e32 v1, v1, v6
	v_lshlrev_b32_e32 v6, 29, v27
	v_and_b32_e32 v2, v2, v4
	v_cmp_gt_i64_e64 s[22:23], 0, v[5:6]
	v_not_b32_e32 v4, v6
	v_ashrrev_i32_e32 v4, 31, v4
	v_xor_b32_e32 v6, s23, v4
	v_xor_b32_e32 v4, s22, v4
	v_and_b32_e32 v1, v1, v6
	v_lshlrev_b32_e32 v6, 28, v27
	v_and_b32_e32 v2, v2, v4
	v_cmp_gt_i64_e64 s[22:23], 0, v[5:6]
	v_not_b32_e32 v4, v6
	v_ashrrev_i32_e32 v4, 31, v4
	v_xor_b32_e32 v6, s23, v4
	;; [unrolled: 8-line block ×6, first 2 shown]
	v_xor_b32_e32 v28, s22, v2
	v_and_b32_e32 v2, v1, v6
	v_and_b32_e32 v1, v4, v28
	v_mbcnt_lo_u32_b32 v4, v1, 0
	v_mbcnt_hi_u32_b32 v6, v2, v4
	v_cmp_ne_u64_e64 s[22:23], 0, v[1:2]
	v_lshlrev_b32_sdwa v3, v11, v27 dst_sel:DWORD dst_unused:UNUSED_PAD src0_sel:DWORD src1_sel:BYTE_0
	v_cmp_eq_u32_e64 s[24:25], 0, v6
	s_and_b64 s[24:25], s[22:23], s[24:25]
	v_add_u32_e32 v28, v25, v3
	ds_write2_b64 v19, v[9:10], v[7:8] offset0:1 offset1:2
	s_waitcnt lgkmcnt(0)
	s_barrier
	; wave barrier
	s_and_saveexec_b64 s[22:23], s[24:25]
; %bb.3:                                ;   in Loop: Header=BB8_2 Depth=1
	v_bcnt_u32_b32 v1, v1, 0
	v_bcnt_u32_b32 v1, v2, v1
	ds_write_b32 v28, v1 offset:8
; %bb.4:                                ;   in Loop: Header=BB8_2 Depth=1
	s_or_b64 exec, exec, s[22:23]
	; wave barrier
	s_waitcnt lgkmcnt(0)
	s_barrier
	ds_read2_b64 v[1:4], v19 offset0:1 offset1:2
	s_waitcnt lgkmcnt(0)
	v_add_u32_e32 v29, v2, v1
	v_add3_u32 v4, v29, v3, v4
	s_nop 1
	v_mov_b32_dpp v29, v4 row_shr:1 row_mask:0xf bank_mask:0xf
	v_cndmask_b32_e64 v29, v29, 0, s[8:9]
	v_add_u32_e32 v4, v29, v4
	s_nop 1
	v_mov_b32_dpp v29, v4 row_shr:2 row_mask:0xf bank_mask:0xf
	v_cndmask_b32_e64 v29, 0, v29, s[10:11]
	v_add_u32_e32 v4, v4, v29
	s_nop 1
	v_mov_b32_dpp v29, v4 row_shr:4 row_mask:0xf bank_mask:0xf
	v_cndmask_b32_e64 v29, 0, v29, s[12:13]
	v_add_u32_e32 v4, v4, v29
	s_nop 1
	v_mov_b32_dpp v29, v4 row_shr:8 row_mask:0xf bank_mask:0xf
	v_cndmask_b32_e64 v29, 0, v29, s[14:15]
	v_add_u32_e32 v4, v4, v29
	s_nop 1
	v_mov_b32_dpp v29, v4 row_bcast:15 row_mask:0xf bank_mask:0xf
	v_cndmask_b32_e64 v29, v29, 0, s[16:17]
	v_add_u32_e32 v4, v4, v29
	s_nop 1
	v_mov_b32_dpp v29, v4 row_bcast:31 row_mask:0xf bank_mask:0xf
	v_cndmask_b32_e64 v29, 0, v29, s[4:5]
	v_add_u32_e32 v4, v4, v29
	s_and_saveexec_b64 s[22:23], s[18:19]
; %bb.5:                                ;   in Loop: Header=BB8_2 Depth=1
	ds_write_b32 v20, v4
; %bb.6:                                ;   in Loop: Header=BB8_2 Depth=1
	s_or_b64 exec, exec, s[22:23]
	s_waitcnt lgkmcnt(0)
	s_barrier
	s_and_saveexec_b64 s[22:23], vcc
	s_cbranch_execz .LBB8_8
; %bb.7:                                ;   in Loop: Header=BB8_2 Depth=1
	ds_read_b32 v29, v21
	s_waitcnt lgkmcnt(0)
	s_nop 0
	v_mov_b32_dpp v30, v29 row_shr:1 row_mask:0xf bank_mask:0xf
	v_cndmask_b32_e64 v30, v30, 0, s[20:21]
	v_add_u32_e32 v29, v30, v29
	ds_write_b32 v21, v29
.LBB8_8:                                ;   in Loop: Header=BB8_2 Depth=1
	s_or_b64 exec, exec, s[22:23]
	v_mov_b32_e32 v29, 0
	s_waitcnt lgkmcnt(0)
	s_barrier
	s_and_saveexec_b64 s[22:23], s[0:1]
; %bb.9:                                ;   in Loop: Header=BB8_2 Depth=1
	ds_read_b32 v29, v22
; %bb.10:                               ;   in Loop: Header=BB8_2 Depth=1
	s_or_b64 exec, exec, s[22:23]
	s_waitcnt lgkmcnt(0)
	v_add_u32_e32 v4, v29, v4
	ds_bpermute_b32 v4, v24, v4
	s_waitcnt lgkmcnt(0)
	v_cndmask_b32_e64 v4, v4, v29, s[6:7]
	v_cndmask_b32_e64 v29, v4, 0, s[2:3]
	v_add_u32_e32 v30, v29, v1
	v_add_u32_e32 v1, v30, v2
	;; [unrolled: 1-line block ×3, first 2 shown]
	ds_write2_b64 v19, v[29:30], v[1:2] offset0:1 offset1:2
	s_waitcnt lgkmcnt(0)
	s_barrier
	ds_read_b32 v1, v28 offset:8
	v_lshlrev_b32_e32 v2, 2, v6
	s_waitcnt lgkmcnt(0)
	s_barrier
	v_lshl_add_u32 v1, v1, 2, v2
	ds_write_b32 v1, v27
	s_waitcnt lgkmcnt(0)
	s_barrier
	ds_read_b32 v27, v23
	v_mov_b32_e32 v1, s28
	v_mov_b32_e32 v3, s34
	;; [unrolled: 1-line block ×4, first 2 shown]
	s_waitcnt lgkmcnt(0)
	s_barrier
	ds_write2_b64 v19, v[1:2], v[3:4] offset0:1 offset1:2
	v_lshrrev_b32_e32 v1, 8, v27
	v_and_b32_e32 v2, 1, v1
	v_add_co_u32_e64 v4, s[22:23], -1, v2
	v_addc_co_u32_e64 v6, s[22:23], 0, -1, s[22:23]
	v_cmp_ne_u32_e64 s[22:23], 0, v2
	v_xor_b32_e32 v2, s23, v6
	v_lshlrev_b32_e32 v6, 30, v1
	v_xor_b32_e32 v4, s22, v4
	v_cmp_gt_i64_e64 s[22:23], 0, v[5:6]
	v_not_b32_e32 v6, v6
	v_ashrrev_i32_e32 v6, 31, v6
	v_and_b32_e32 v4, exec_lo, v4
	v_xor_b32_e32 v28, s23, v6
	v_xor_b32_e32 v6, s22, v6
	v_and_b32_e32 v4, v4, v6
	v_lshlrev_b32_e32 v6, 29, v1
	v_cmp_gt_i64_e64 s[22:23], 0, v[5:6]
	v_not_b32_e32 v6, v6
	v_and_b32_e32 v2, exec_hi, v2
	v_ashrrev_i32_e32 v6, 31, v6
	v_and_b32_e32 v2, v2, v28
	v_xor_b32_e32 v28, s23, v6
	v_xor_b32_e32 v6, s22, v6
	v_and_b32_e32 v4, v4, v6
	v_lshlrev_b32_e32 v6, 28, v1
	v_cmp_gt_i64_e64 s[22:23], 0, v[5:6]
	v_not_b32_e32 v6, v6
	v_ashrrev_i32_e32 v6, 31, v6
	v_and_b32_e32 v2, v2, v28
	v_xor_b32_e32 v28, s23, v6
	v_xor_b32_e32 v6, s22, v6
	v_and_b32_e32 v4, v4, v6
	v_lshlrev_b32_e32 v6, 27, v1
	v_cmp_gt_i64_e64 s[22:23], 0, v[5:6]
	v_not_b32_e32 v6, v6
	;; [unrolled: 8-line block ×4, first 2 shown]
	v_ashrrev_i32_e32 v6, 31, v6
	v_and_b32_e32 v2, v2, v28
	v_xor_b32_e32 v28, s23, v6
	v_xor_b32_e32 v6, s22, v6
	v_and_b32_e32 v4, v4, v6
	v_lshlrev_b32_e32 v6, 24, v1
	v_lshlrev_b32_sdwa v3, v11, v1 dst_sel:DWORD dst_unused:UNUSED_PAD src0_sel:DWORD src1_sel:BYTE_0
	v_cmp_gt_i64_e64 s[22:23], 0, v[5:6]
	v_not_b32_e32 v1, v6
	v_ashrrev_i32_e32 v1, 31, v1
	v_xor_b32_e32 v6, s23, v1
	v_xor_b32_e32 v1, s22, v1
	v_and_b32_e32 v2, v2, v28
	v_and_b32_e32 v1, v4, v1
	;; [unrolled: 1-line block ×3, first 2 shown]
	v_mbcnt_lo_u32_b32 v4, v1, 0
	v_mbcnt_hi_u32_b32 v6, v2, v4
	v_cmp_ne_u64_e64 s[22:23], 0, v[1:2]
	v_cmp_eq_u32_e64 s[24:25], 0, v6
	s_and_b64 s[24:25], s[22:23], s[24:25]
	v_add_u32_e32 v28, v25, v3
	s_waitcnt lgkmcnt(0)
	s_barrier
	; wave barrier
	s_and_saveexec_b64 s[22:23], s[24:25]
; %bb.11:                               ;   in Loop: Header=BB8_2 Depth=1
	v_bcnt_u32_b32 v1, v1, 0
	v_bcnt_u32_b32 v1, v2, v1
	ds_write_b32 v28, v1 offset:8
; %bb.12:                               ;   in Loop: Header=BB8_2 Depth=1
	s_or_b64 exec, exec, s[22:23]
	; wave barrier
	s_waitcnt lgkmcnt(0)
	s_barrier
	ds_read2_b64 v[1:4], v19 offset0:1 offset1:2
	s_waitcnt lgkmcnt(0)
	v_add_u32_e32 v29, v2, v1
	v_add3_u32 v4, v29, v3, v4
	s_nop 1
	v_mov_b32_dpp v29, v4 row_shr:1 row_mask:0xf bank_mask:0xf
	v_cndmask_b32_e64 v29, v29, 0, s[8:9]
	v_add_u32_e32 v4, v29, v4
	s_nop 1
	v_mov_b32_dpp v29, v4 row_shr:2 row_mask:0xf bank_mask:0xf
	v_cndmask_b32_e64 v29, 0, v29, s[10:11]
	v_add_u32_e32 v4, v4, v29
	;; [unrolled: 4-line block ×4, first 2 shown]
	s_nop 1
	v_mov_b32_dpp v29, v4 row_bcast:15 row_mask:0xf bank_mask:0xf
	v_cndmask_b32_e64 v29, v29, 0, s[16:17]
	v_add_u32_e32 v4, v4, v29
	s_nop 1
	v_mov_b32_dpp v29, v4 row_bcast:31 row_mask:0xf bank_mask:0xf
	v_cndmask_b32_e64 v29, 0, v29, s[4:5]
	v_add_u32_e32 v4, v4, v29
	s_and_saveexec_b64 s[22:23], s[18:19]
; %bb.13:                               ;   in Loop: Header=BB8_2 Depth=1
	ds_write_b32 v20, v4
; %bb.14:                               ;   in Loop: Header=BB8_2 Depth=1
	s_or_b64 exec, exec, s[22:23]
	s_waitcnt lgkmcnt(0)
	s_barrier
	s_and_saveexec_b64 s[22:23], vcc
	s_cbranch_execz .LBB8_16
; %bb.15:                               ;   in Loop: Header=BB8_2 Depth=1
	ds_read_b32 v29, v21
	s_waitcnt lgkmcnt(0)
	s_nop 0
	v_mov_b32_dpp v30, v29 row_shr:1 row_mask:0xf bank_mask:0xf
	v_cndmask_b32_e64 v30, v30, 0, s[20:21]
	v_add_u32_e32 v29, v30, v29
	ds_write_b32 v21, v29
.LBB8_16:                               ;   in Loop: Header=BB8_2 Depth=1
	s_or_b64 exec, exec, s[22:23]
	v_mov_b32_e32 v29, 0
	s_waitcnt lgkmcnt(0)
	s_barrier
	s_and_saveexec_b64 s[22:23], s[0:1]
; %bb.17:                               ;   in Loop: Header=BB8_2 Depth=1
	ds_read_b32 v29, v22
; %bb.18:                               ;   in Loop: Header=BB8_2 Depth=1
	s_or_b64 exec, exec, s[22:23]
	s_waitcnt lgkmcnt(0)
	v_add_u32_e32 v4, v29, v4
	ds_bpermute_b32 v4, v24, v4
	s_waitcnt lgkmcnt(0)
	v_cndmask_b32_e64 v4, v4, v29, s[6:7]
	v_cndmask_b32_e64 v29, v4, 0, s[2:3]
	v_add_u32_e32 v30, v29, v1
	v_add_u32_e32 v1, v30, v2
	;; [unrolled: 1-line block ×3, first 2 shown]
	ds_write2_b64 v19, v[29:30], v[1:2] offset0:1 offset1:2
	s_waitcnt lgkmcnt(0)
	s_barrier
	ds_read_b32 v1, v28 offset:8
	v_lshlrev_b32_e32 v2, 2, v6
	s_waitcnt lgkmcnt(0)
	s_barrier
	v_lshl_add_u32 v1, v1, 2, v2
	ds_write_b32 v1, v27
	s_waitcnt lgkmcnt(0)
	s_barrier
	ds_read_b32 v27, v23
	v_mov_b32_e32 v1, s28
	v_mov_b32_e32 v3, s34
	;; [unrolled: 1-line block ×4, first 2 shown]
	s_waitcnt lgkmcnt(0)
	s_barrier
	ds_write2_b64 v19, v[1:2], v[3:4] offset0:1 offset1:2
	v_and_b32_sdwa v1, v27, s36 dst_sel:DWORD dst_unused:UNUSED_PAD src0_sel:WORD_1 src1_sel:DWORD
	v_lshlrev_b32_e32 v3, 3, v1
	v_and_b32_sdwa v1, v27, v12 dst_sel:DWORD dst_unused:UNUSED_PAD src0_sel:WORD_1 src1_sel:DWORD
	v_add_co_u32_e64 v2, s[22:23], -1, v1
	v_addc_co_u32_e64 v4, s[22:23], 0, -1, s[22:23]
	v_cmp_ne_u32_e64 s[22:23], 0, v1
	v_lshlrev_b32_sdwa v6, v13, v27 dst_sel:DWORD dst_unused:UNUSED_PAD src0_sel:DWORD src1_sel:WORD_1
	v_xor_b32_e32 v1, s23, v4
	v_xor_b32_e32 v2, s22, v2
	v_cmp_gt_i64_e64 s[22:23], 0, v[5:6]
	v_not_b32_e32 v4, v6
	v_ashrrev_i32_e32 v4, 31, v4
	v_and_b32_e32 v1, exec_hi, v1
	v_xor_b32_e32 v6, s23, v4
	v_and_b32_e32 v2, exec_lo, v2
	v_xor_b32_e32 v4, s22, v4
	v_and_b32_e32 v1, v1, v6
	v_lshlrev_b32_sdwa v6, v14, v27 dst_sel:DWORD dst_unused:UNUSED_PAD src0_sel:DWORD src1_sel:WORD_1
	v_and_b32_e32 v2, v2, v4
	v_cmp_gt_i64_e64 s[22:23], 0, v[5:6]
	v_not_b32_e32 v4, v6
	v_ashrrev_i32_e32 v4, 31, v4
	v_xor_b32_e32 v6, s23, v4
	v_xor_b32_e32 v4, s22, v4
	v_and_b32_e32 v1, v1, v6
	v_lshlrev_b32_sdwa v6, v15, v27 dst_sel:DWORD dst_unused:UNUSED_PAD src0_sel:DWORD src1_sel:WORD_1
	v_and_b32_e32 v2, v2, v4
	v_cmp_gt_i64_e64 s[22:23], 0, v[5:6]
	v_not_b32_e32 v4, v6
	v_ashrrev_i32_e32 v4, 31, v4
	v_xor_b32_e32 v6, s23, v4
	;; [unrolled: 8-line block ×6, first 2 shown]
	v_xor_b32_e32 v28, s22, v2
	v_and_b32_e32 v2, v1, v6
	v_and_b32_e32 v1, v4, v28
	v_mbcnt_lo_u32_b32 v4, v1, 0
	v_mbcnt_hi_u32_b32 v6, v2, v4
	v_cmp_ne_u64_e64 s[22:23], 0, v[1:2]
	v_cmp_eq_u32_e64 s[24:25], 0, v6
	s_and_b64 s[24:25], s[22:23], s[24:25]
	v_add_u32_e32 v28, v25, v3
	s_waitcnt lgkmcnt(0)
	s_barrier
	; wave barrier
	s_and_saveexec_b64 s[22:23], s[24:25]
; %bb.19:                               ;   in Loop: Header=BB8_2 Depth=1
	v_bcnt_u32_b32 v1, v1, 0
	v_bcnt_u32_b32 v1, v2, v1
	ds_write_b32 v28, v1 offset:8
; %bb.20:                               ;   in Loop: Header=BB8_2 Depth=1
	s_or_b64 exec, exec, s[22:23]
	; wave barrier
	s_waitcnt lgkmcnt(0)
	s_barrier
	ds_read2_b64 v[1:4], v19 offset0:1 offset1:2
	s_waitcnt lgkmcnt(0)
	v_add_u32_e32 v29, v2, v1
	v_add3_u32 v4, v29, v3, v4
	s_nop 1
	v_mov_b32_dpp v29, v4 row_shr:1 row_mask:0xf bank_mask:0xf
	v_cndmask_b32_e64 v29, v29, 0, s[8:9]
	v_add_u32_e32 v4, v29, v4
	s_nop 1
	v_mov_b32_dpp v29, v4 row_shr:2 row_mask:0xf bank_mask:0xf
	v_cndmask_b32_e64 v29, 0, v29, s[10:11]
	v_add_u32_e32 v4, v4, v29
	;; [unrolled: 4-line block ×4, first 2 shown]
	s_nop 1
	v_mov_b32_dpp v29, v4 row_bcast:15 row_mask:0xf bank_mask:0xf
	v_cndmask_b32_e64 v29, v29, 0, s[16:17]
	v_add_u32_e32 v4, v4, v29
	s_nop 1
	v_mov_b32_dpp v29, v4 row_bcast:31 row_mask:0xf bank_mask:0xf
	v_cndmask_b32_e64 v29, 0, v29, s[4:5]
	v_add_u32_e32 v4, v4, v29
	s_and_saveexec_b64 s[22:23], s[18:19]
; %bb.21:                               ;   in Loop: Header=BB8_2 Depth=1
	ds_write_b32 v20, v4
; %bb.22:                               ;   in Loop: Header=BB8_2 Depth=1
	s_or_b64 exec, exec, s[22:23]
	s_waitcnt lgkmcnt(0)
	s_barrier
	s_and_saveexec_b64 s[22:23], vcc
	s_cbranch_execz .LBB8_24
; %bb.23:                               ;   in Loop: Header=BB8_2 Depth=1
	ds_read_b32 v29, v21
	s_waitcnt lgkmcnt(0)
	s_nop 0
	v_mov_b32_dpp v30, v29 row_shr:1 row_mask:0xf bank_mask:0xf
	v_cndmask_b32_e64 v30, v30, 0, s[20:21]
	v_add_u32_e32 v29, v30, v29
	ds_write_b32 v21, v29
.LBB8_24:                               ;   in Loop: Header=BB8_2 Depth=1
	s_or_b64 exec, exec, s[22:23]
	v_mov_b32_e32 v29, 0
	s_waitcnt lgkmcnt(0)
	s_barrier
	s_and_saveexec_b64 s[22:23], s[0:1]
; %bb.25:                               ;   in Loop: Header=BB8_2 Depth=1
	ds_read_b32 v29, v22
; %bb.26:                               ;   in Loop: Header=BB8_2 Depth=1
	s_or_b64 exec, exec, s[22:23]
	s_waitcnt lgkmcnt(0)
	v_add_u32_e32 v4, v29, v4
	ds_bpermute_b32 v4, v24, v4
	s_waitcnt lgkmcnt(0)
	v_cndmask_b32_e64 v4, v4, v29, s[6:7]
	v_cndmask_b32_e64 v29, v4, 0, s[2:3]
	v_add_u32_e32 v30, v29, v1
	v_add_u32_e32 v1, v30, v2
	;; [unrolled: 1-line block ×3, first 2 shown]
	ds_write2_b64 v19, v[29:30], v[1:2] offset0:1 offset1:2
	s_waitcnt lgkmcnt(0)
	s_barrier
	ds_read_b32 v1, v28 offset:8
	v_lshlrev_b32_e32 v2, 2, v6
	s_waitcnt lgkmcnt(0)
	s_barrier
	v_lshl_add_u32 v1, v1, 2, v2
	ds_write_b32 v1, v27
	s_waitcnt lgkmcnt(0)
	s_barrier
	ds_read_b32 v27, v23
	v_mov_b32_e32 v1, s28
	v_mov_b32_e32 v3, s34
	;; [unrolled: 1-line block ×4, first 2 shown]
	s_waitcnt lgkmcnt(0)
	s_barrier
	ds_write2_b64 v19, v[1:2], v[3:4] offset0:1 offset1:2
	v_and_b32_sdwa v1, v27, v12 dst_sel:DWORD dst_unused:UNUSED_PAD src0_sel:BYTE_3 src1_sel:DWORD
	v_add_co_u32_e64 v2, s[22:23], -1, v1
	v_addc_co_u32_e64 v4, s[22:23], 0, -1, s[22:23]
	v_cmp_ne_u32_e64 s[22:23], 0, v1
	v_lshlrev_b32_sdwa v6, v13, v27 dst_sel:DWORD dst_unused:UNUSED_PAD src0_sel:DWORD src1_sel:BYTE_3
	v_xor_b32_e32 v1, s23, v4
	v_xor_b32_e32 v2, s22, v2
	v_cmp_gt_i64_e64 s[22:23], 0, v[5:6]
	v_not_b32_e32 v4, v6
	v_ashrrev_i32_e32 v4, 31, v4
	v_and_b32_e32 v1, exec_hi, v1
	v_xor_b32_e32 v6, s23, v4
	v_and_b32_e32 v2, exec_lo, v2
	v_xor_b32_e32 v4, s22, v4
	v_and_b32_e32 v1, v1, v6
	v_lshlrev_b32_sdwa v6, v14, v27 dst_sel:DWORD dst_unused:UNUSED_PAD src0_sel:DWORD src1_sel:BYTE_3
	v_and_b32_e32 v2, v2, v4
	v_cmp_gt_i64_e64 s[22:23], 0, v[5:6]
	v_not_b32_e32 v4, v6
	v_ashrrev_i32_e32 v4, 31, v4
	v_xor_b32_e32 v6, s23, v4
	v_xor_b32_e32 v4, s22, v4
	v_and_b32_e32 v1, v1, v6
	v_lshlrev_b32_sdwa v6, v15, v27 dst_sel:DWORD dst_unused:UNUSED_PAD src0_sel:DWORD src1_sel:BYTE_3
	v_and_b32_e32 v2, v2, v4
	v_cmp_gt_i64_e64 s[22:23], 0, v[5:6]
	v_not_b32_e32 v4, v6
	v_ashrrev_i32_e32 v4, 31, v4
	v_xor_b32_e32 v6, s23, v4
	;; [unrolled: 8-line block ×6, first 2 shown]
	v_xor_b32_e32 v28, s22, v2
	v_and_b32_e32 v2, v1, v6
	v_and_b32_e32 v1, v4, v28
	v_mbcnt_lo_u32_b32 v4, v1, 0
	v_mbcnt_hi_u32_b32 v6, v2, v4
	v_cmp_ne_u64_e64 s[22:23], 0, v[1:2]
	v_lshlrev_b32_sdwa v3, v11, v27 dst_sel:DWORD dst_unused:UNUSED_PAD src0_sel:DWORD src1_sel:BYTE_3
	v_cmp_eq_u32_e64 s[24:25], 0, v6
	s_and_b64 s[24:25], s[22:23], s[24:25]
	v_add_u32_e32 v28, v25, v3
	s_waitcnt lgkmcnt(0)
	s_barrier
	; wave barrier
	s_and_saveexec_b64 s[22:23], s[24:25]
; %bb.27:                               ;   in Loop: Header=BB8_2 Depth=1
	v_bcnt_u32_b32 v1, v1, 0
	v_bcnt_u32_b32 v1, v2, v1
	ds_write_b32 v28, v1 offset:8
; %bb.28:                               ;   in Loop: Header=BB8_2 Depth=1
	s_or_b64 exec, exec, s[22:23]
	; wave barrier
	s_waitcnt lgkmcnt(0)
	s_barrier
	ds_read2_b64 v[1:4], v19 offset0:1 offset1:2
	s_waitcnt lgkmcnt(0)
	v_add_u32_e32 v29, v2, v1
	v_add3_u32 v4, v29, v3, v4
	s_nop 1
	v_mov_b32_dpp v29, v4 row_shr:1 row_mask:0xf bank_mask:0xf
	v_cndmask_b32_e64 v29, v29, 0, s[8:9]
	v_add_u32_e32 v4, v29, v4
	s_nop 1
	v_mov_b32_dpp v29, v4 row_shr:2 row_mask:0xf bank_mask:0xf
	v_cndmask_b32_e64 v29, 0, v29, s[10:11]
	v_add_u32_e32 v4, v4, v29
	;; [unrolled: 4-line block ×4, first 2 shown]
	s_nop 1
	v_mov_b32_dpp v29, v4 row_bcast:15 row_mask:0xf bank_mask:0xf
	v_cndmask_b32_e64 v29, v29, 0, s[16:17]
	v_add_u32_e32 v4, v4, v29
	s_nop 1
	v_mov_b32_dpp v29, v4 row_bcast:31 row_mask:0xf bank_mask:0xf
	v_cndmask_b32_e64 v29, 0, v29, s[4:5]
	v_add_u32_e32 v4, v4, v29
	s_and_saveexec_b64 s[22:23], s[18:19]
; %bb.29:                               ;   in Loop: Header=BB8_2 Depth=1
	ds_write_b32 v20, v4
; %bb.30:                               ;   in Loop: Header=BB8_2 Depth=1
	s_or_b64 exec, exec, s[22:23]
	s_waitcnt lgkmcnt(0)
	s_barrier
	s_and_saveexec_b64 s[22:23], vcc
	s_cbranch_execz .LBB8_32
; %bb.31:                               ;   in Loop: Header=BB8_2 Depth=1
	ds_read_b32 v29, v21
	s_waitcnt lgkmcnt(0)
	s_nop 0
	v_mov_b32_dpp v30, v29 row_shr:1 row_mask:0xf bank_mask:0xf
	v_cndmask_b32_e64 v30, v30, 0, s[20:21]
	v_add_u32_e32 v29, v30, v29
	ds_write_b32 v21, v29
.LBB8_32:                               ;   in Loop: Header=BB8_2 Depth=1
	s_or_b64 exec, exec, s[22:23]
	v_mov_b32_e32 v29, 0
	s_waitcnt lgkmcnt(0)
	s_barrier
	s_and_saveexec_b64 s[22:23], s[0:1]
	s_cbranch_execz .LBB8_1
; %bb.33:                               ;   in Loop: Header=BB8_2 Depth=1
	ds_read_b32 v29, v22
	s_branch .LBB8_1
.LBB8_34:
	s_add_u32 s0, s26, s30
	s_waitcnt lgkmcnt(0)
	v_xor_b32_e32 v1, 0x80000000, v27
	s_addc_u32 s1, s27, s31
	v_lshlrev_b32_e32 v0, 2, v0
	global_store_dword v0, v1, s[0:1]
	s_endpgm
	.section	.rodata,"a",@progbits
	.p2align	6, 0x0
	.amdhsa_kernel _Z16sort_keys_kernelI22helper_blocked_blockediLj128ELj1ELj10EEvPKT0_PS1_
		.amdhsa_group_segment_fixed_size 2064
		.amdhsa_private_segment_fixed_size 0
		.amdhsa_kernarg_size 272
		.amdhsa_user_sgpr_count 6
		.amdhsa_user_sgpr_private_segment_buffer 1
		.amdhsa_user_sgpr_dispatch_ptr 0
		.amdhsa_user_sgpr_queue_ptr 0
		.amdhsa_user_sgpr_kernarg_segment_ptr 1
		.amdhsa_user_sgpr_dispatch_id 0
		.amdhsa_user_sgpr_flat_scratch_init 0
		.amdhsa_user_sgpr_private_segment_size 0
		.amdhsa_uses_dynamic_stack 0
		.amdhsa_system_sgpr_private_segment_wavefront_offset 0
		.amdhsa_system_sgpr_workgroup_id_x 1
		.amdhsa_system_sgpr_workgroup_id_y 0
		.amdhsa_system_sgpr_workgroup_id_z 0
		.amdhsa_system_sgpr_workgroup_info 0
		.amdhsa_system_vgpr_workitem_id 2
		.amdhsa_next_free_vgpr 31
		.amdhsa_next_free_sgpr 61
		.amdhsa_reserve_vcc 1
		.amdhsa_reserve_flat_scratch 0
		.amdhsa_float_round_mode_32 0
		.amdhsa_float_round_mode_16_64 0
		.amdhsa_float_denorm_mode_32 3
		.amdhsa_float_denorm_mode_16_64 3
		.amdhsa_dx10_clamp 1
		.amdhsa_ieee_mode 1
		.amdhsa_fp16_overflow 0
		.amdhsa_exception_fp_ieee_invalid_op 0
		.amdhsa_exception_fp_denorm_src 0
		.amdhsa_exception_fp_ieee_div_zero 0
		.amdhsa_exception_fp_ieee_overflow 0
		.amdhsa_exception_fp_ieee_underflow 0
		.amdhsa_exception_fp_ieee_inexact 0
		.amdhsa_exception_int_div_zero 0
	.end_amdhsa_kernel
	.section	.text._Z16sort_keys_kernelI22helper_blocked_blockediLj128ELj1ELj10EEvPKT0_PS1_,"axG",@progbits,_Z16sort_keys_kernelI22helper_blocked_blockediLj128ELj1ELj10EEvPKT0_PS1_,comdat
.Lfunc_end8:
	.size	_Z16sort_keys_kernelI22helper_blocked_blockediLj128ELj1ELj10EEvPKT0_PS1_, .Lfunc_end8-_Z16sort_keys_kernelI22helper_blocked_blockediLj128ELj1ELj10EEvPKT0_PS1_
                                        ; -- End function
	.set _Z16sort_keys_kernelI22helper_blocked_blockediLj128ELj1ELj10EEvPKT0_PS1_.num_vgpr, 31
	.set _Z16sort_keys_kernelI22helper_blocked_blockediLj128ELj1ELj10EEvPKT0_PS1_.num_agpr, 0
	.set _Z16sort_keys_kernelI22helper_blocked_blockediLj128ELj1ELj10EEvPKT0_PS1_.numbered_sgpr, 37
	.set _Z16sort_keys_kernelI22helper_blocked_blockediLj128ELj1ELj10EEvPKT0_PS1_.num_named_barrier, 0
	.set _Z16sort_keys_kernelI22helper_blocked_blockediLj128ELj1ELj10EEvPKT0_PS1_.private_seg_size, 0
	.set _Z16sort_keys_kernelI22helper_blocked_blockediLj128ELj1ELj10EEvPKT0_PS1_.uses_vcc, 1
	.set _Z16sort_keys_kernelI22helper_blocked_blockediLj128ELj1ELj10EEvPKT0_PS1_.uses_flat_scratch, 0
	.set _Z16sort_keys_kernelI22helper_blocked_blockediLj128ELj1ELj10EEvPKT0_PS1_.has_dyn_sized_stack, 0
	.set _Z16sort_keys_kernelI22helper_blocked_blockediLj128ELj1ELj10EEvPKT0_PS1_.has_recursion, 0
	.set _Z16sort_keys_kernelI22helper_blocked_blockediLj128ELj1ELj10EEvPKT0_PS1_.has_indirect_call, 0
	.section	.AMDGPU.csdata,"",@progbits
; Kernel info:
; codeLenInByte = 3744
; TotalNumSgprs: 41
; NumVgprs: 31
; ScratchSize: 0
; MemoryBound: 0
; FloatMode: 240
; IeeeMode: 1
; LDSByteSize: 2064 bytes/workgroup (compile time only)
; SGPRBlocks: 8
; VGPRBlocks: 7
; NumSGPRsForWavesPerEU: 65
; NumVGPRsForWavesPerEU: 31
; Occupancy: 8
; WaveLimiterHint : 0
; COMPUTE_PGM_RSRC2:SCRATCH_EN: 0
; COMPUTE_PGM_RSRC2:USER_SGPR: 6
; COMPUTE_PGM_RSRC2:TRAP_HANDLER: 0
; COMPUTE_PGM_RSRC2:TGID_X_EN: 1
; COMPUTE_PGM_RSRC2:TGID_Y_EN: 0
; COMPUTE_PGM_RSRC2:TGID_Z_EN: 0
; COMPUTE_PGM_RSRC2:TIDIG_COMP_CNT: 2
	.section	.text._Z17sort_pairs_kernelI22helper_blocked_blockediLj128ELj1ELj10EEvPKT0_PS1_,"axG",@progbits,_Z17sort_pairs_kernelI22helper_blocked_blockediLj128ELj1ELj10EEvPKT0_PS1_,comdat
	.protected	_Z17sort_pairs_kernelI22helper_blocked_blockediLj128ELj1ELj10EEvPKT0_PS1_ ; -- Begin function _Z17sort_pairs_kernelI22helper_blocked_blockediLj128ELj1ELj10EEvPKT0_PS1_
	.globl	_Z17sort_pairs_kernelI22helper_blocked_blockediLj128ELj1ELj10EEvPKT0_PS1_
	.p2align	8
	.type	_Z17sort_pairs_kernelI22helper_blocked_blockediLj128ELj1ELj10EEvPKT0_PS1_,@function
_Z17sort_pairs_kernelI22helper_blocked_blockediLj128ELj1ELj10EEvPKT0_PS1_: ; @_Z17sort_pairs_kernelI22helper_blocked_blockediLj128ELj1ELj10EEvPKT0_PS1_
; %bb.0:
	s_load_dwordx4 s[24:27], s[4:5], 0x0
	s_load_dword s22, s[4:5], 0x1c
	s_lshl_b32 s30, s6, 7
	s_mov_b32 s31, 0
	s_lshl_b64 s[28:29], s[30:31], 2
	s_waitcnt lgkmcnt(0)
	s_add_u32 s0, s24, s28
	s_addc_u32 s1, s25, s29
	v_lshlrev_b32_e32 v3, 2, v0
	global_load_dword v3, v3, s[0:1]
	v_mbcnt_lo_u32_b32 v4, -1, 0
	v_mbcnt_hi_u32_b32 v4, -1, v4
	s_lshr_b32 s23, s22, 16
	v_subrev_co_u32_e64 v24, s[6:7], 1, v4
	v_and_b32_e32 v25, 64, v4
	s_and_b32 s22, s22, 0xffff
	v_mad_u32_u24 v1, v2, s23, v1
	v_lshlrev_b32_e32 v19, 4, v0
	v_and_b32_e32 v6, 64, v0
	v_lshrrev_b32_e32 v7, 4, v0
	v_mul_i32_i24_e32 v9, -12, v0
	s_mov_b32 s34, s31
	v_and_b32_e32 v10, 15, v4
	s_mov_b32 s30, s31
	v_cmp_lt_i32_e64 s[20:21], v24, v25
	v_mad_u32_u24 v1, v1, s22, v0
	s_mov_b32 s35, s31
	v_and_b32_e32 v22, 16, v4
	v_or_b32_e32 v23, 63, v6
	v_and_b32_e32 v20, 4, v7
	v_and_b32_e32 v26, 1, v4
	v_lshlrev_b32_e32 v6, 2, v6
	v_mov_b32_e32 v7, s34
	v_add_u32_e32 v21, v19, v9
	v_cmp_eq_u32_e64 s[8:9], 0, v10
	v_cmp_lt_u32_e64 s[10:11], 1, v10
	v_cmp_lt_u32_e64 s[12:13], 3, v10
	;; [unrolled: 1-line block ×3, first 2 shown]
	v_cndmask_b32_e64 v24, v24, v4, s[20:21]
	v_mov_b32_e32 v9, s30
	v_lshrrev_b32_e32 v1, 4, v1
	v_mov_b32_e32 v5, 0
	s_mov_b32 s33, 10
	s_movk_i32 s36, 0xff
	v_mov_b32_e32 v11, 3
	v_mov_b32_e32 v12, 1
	;; [unrolled: 1-line block ×8, first 2 shown]
	v_cmp_gt_u32_e32 vcc, 2, v0
	v_cmp_lt_u32_e64 s[0:1], 63, v0
	v_cmp_eq_u32_e64 s[2:3], 0, v0
	v_cmp_lt_u32_e64 s[4:5], 31, v4
	v_mov_b32_e32 v8, s35
	v_cmp_eq_u32_e64 s[16:17], 0, v22
	v_cmp_eq_u32_e64 s[18:19], v0, v23
	v_cmp_eq_u32_e64 s[20:21], 0, v26
	v_add_u32_e32 v22, -4, v20
	v_lshl_add_u32 v23, v4, 2, v6
	v_mov_b32_e32 v10, s31
	v_lshlrev_b32_e32 v24, 2, v24
	v_and_b32_e32 v25, 0xffffffc, v1
	v_mov_b32_e32 v26, 24
	s_waitcnt vmcnt(0)
	v_add_u32_e32 v27, 1, v3
	v_xor_b32_e32 v28, 0x80000000, v3
	s_branch .LBB9_2
.LBB9_1:                                ;   in Loop: Header=BB9_2 Depth=1
	s_or_b64 exec, exec, s[22:23]
	s_waitcnt lgkmcnt(0)
	v_add_u32_e32 v4, v30, v4
	ds_bpermute_b32 v4, v24, v4
	s_add_i32 s33, s33, -1
	s_cmp_eq_u32 s33, 0
	s_waitcnt lgkmcnt(0)
	v_cndmask_b32_e64 v4, v4, v30, s[6:7]
	v_cndmask_b32_e64 v30, v4, 0, s[2:3]
	v_add_u32_e32 v31, v30, v1
	v_add_u32_e32 v1, v31, v2
	;; [unrolled: 1-line block ×3, first 2 shown]
	ds_write2_b64 v19, v[30:31], v[1:2] offset0:1 offset1:2
	s_waitcnt lgkmcnt(0)
	s_barrier
	ds_read_b32 v1, v29 offset:8
	v_lshlrev_b32_e32 v2, 2, v6
	s_waitcnt lgkmcnt(0)
	s_barrier
	v_lshl_add_u32 v1, v1, 2, v2
	ds_write_b32 v1, v28
	s_waitcnt lgkmcnt(0)
	s_barrier
	ds_read_b32 v28, v21
	s_waitcnt lgkmcnt(0)
	s_barrier
	ds_write_b32 v1, v27
	s_waitcnt lgkmcnt(0)
	s_barrier
	ds_read_b32 v27, v21
	s_cbranch_scc1 .LBB9_34
.LBB9_2:                                ; =>This Inner Loop Header: Depth=1
	v_and_b32_e32 v1, 1, v28
	v_add_co_u32_e64 v2, s[22:23], -1, v1
	v_addc_co_u32_e64 v4, s[22:23], 0, -1, s[22:23]
	v_cmp_ne_u32_e64 s[22:23], 0, v1
	v_lshlrev_b32_e32 v6, 30, v28
	v_xor_b32_e32 v1, s23, v4
	v_xor_b32_e32 v2, s22, v2
	v_cmp_gt_i64_e64 s[22:23], 0, v[5:6]
	v_not_b32_e32 v4, v6
	v_ashrrev_i32_e32 v4, 31, v4
	v_and_b32_e32 v1, exec_hi, v1
	v_xor_b32_e32 v6, s23, v4
	v_and_b32_e32 v2, exec_lo, v2
	v_xor_b32_e32 v4, s22, v4
	v_and_b32_e32 v1, v1, v6
	v_lshlrev_b32_e32 v6, 29, v28
	v_and_b32_e32 v2, v2, v4
	v_cmp_gt_i64_e64 s[22:23], 0, v[5:6]
	v_not_b32_e32 v4, v6
	v_ashrrev_i32_e32 v4, 31, v4
	v_xor_b32_e32 v6, s23, v4
	v_xor_b32_e32 v4, s22, v4
	v_and_b32_e32 v1, v1, v6
	v_lshlrev_b32_e32 v6, 28, v28
	v_and_b32_e32 v2, v2, v4
	v_cmp_gt_i64_e64 s[22:23], 0, v[5:6]
	v_not_b32_e32 v4, v6
	v_ashrrev_i32_e32 v4, 31, v4
	v_xor_b32_e32 v6, s23, v4
	;; [unrolled: 8-line block ×6, first 2 shown]
	v_xor_b32_e32 v29, s22, v2
	v_and_b32_e32 v2, v1, v6
	v_and_b32_e32 v1, v4, v29
	v_mbcnt_lo_u32_b32 v4, v1, 0
	v_mbcnt_hi_u32_b32 v6, v2, v4
	v_cmp_ne_u64_e64 s[22:23], 0, v[1:2]
	v_lshlrev_b32_sdwa v3, v11, v28 dst_sel:DWORD dst_unused:UNUSED_PAD src0_sel:DWORD src1_sel:BYTE_0
	v_cmp_eq_u32_e64 s[24:25], 0, v6
	s_and_b64 s[24:25], s[22:23], s[24:25]
	v_add_u32_e32 v29, v25, v3
	ds_write2_b64 v19, v[9:10], v[7:8] offset0:1 offset1:2
	s_waitcnt lgkmcnt(0)
	s_barrier
	; wave barrier
	s_and_saveexec_b64 s[22:23], s[24:25]
; %bb.3:                                ;   in Loop: Header=BB9_2 Depth=1
	v_bcnt_u32_b32 v1, v1, 0
	v_bcnt_u32_b32 v1, v2, v1
	ds_write_b32 v29, v1 offset:8
; %bb.4:                                ;   in Loop: Header=BB9_2 Depth=1
	s_or_b64 exec, exec, s[22:23]
	; wave barrier
	s_waitcnt lgkmcnt(0)
	s_barrier
	ds_read2_b64 v[1:4], v19 offset0:1 offset1:2
	s_waitcnt lgkmcnt(0)
	v_add_u32_e32 v30, v2, v1
	v_add3_u32 v4, v30, v3, v4
	s_nop 1
	v_mov_b32_dpp v30, v4 row_shr:1 row_mask:0xf bank_mask:0xf
	v_cndmask_b32_e64 v30, v30, 0, s[8:9]
	v_add_u32_e32 v4, v30, v4
	s_nop 1
	v_mov_b32_dpp v30, v4 row_shr:2 row_mask:0xf bank_mask:0xf
	v_cndmask_b32_e64 v30, 0, v30, s[10:11]
	v_add_u32_e32 v4, v4, v30
	;; [unrolled: 4-line block ×4, first 2 shown]
	s_nop 1
	v_mov_b32_dpp v30, v4 row_bcast:15 row_mask:0xf bank_mask:0xf
	v_cndmask_b32_e64 v30, v30, 0, s[16:17]
	v_add_u32_e32 v4, v4, v30
	s_nop 1
	v_mov_b32_dpp v30, v4 row_bcast:31 row_mask:0xf bank_mask:0xf
	v_cndmask_b32_e64 v30, 0, v30, s[4:5]
	v_add_u32_e32 v4, v4, v30
	s_and_saveexec_b64 s[22:23], s[18:19]
; %bb.5:                                ;   in Loop: Header=BB9_2 Depth=1
	ds_write_b32 v20, v4
; %bb.6:                                ;   in Loop: Header=BB9_2 Depth=1
	s_or_b64 exec, exec, s[22:23]
	s_waitcnt lgkmcnt(0)
	s_barrier
	s_and_saveexec_b64 s[22:23], vcc
	s_cbranch_execz .LBB9_8
; %bb.7:                                ;   in Loop: Header=BB9_2 Depth=1
	ds_read_b32 v30, v21
	s_waitcnt lgkmcnt(0)
	s_nop 0
	v_mov_b32_dpp v31, v30 row_shr:1 row_mask:0xf bank_mask:0xf
	v_cndmask_b32_e64 v31, v31, 0, s[20:21]
	v_add_u32_e32 v30, v31, v30
	ds_write_b32 v21, v30
.LBB9_8:                                ;   in Loop: Header=BB9_2 Depth=1
	s_or_b64 exec, exec, s[22:23]
	v_mov_b32_e32 v30, 0
	s_waitcnt lgkmcnt(0)
	s_barrier
	s_and_saveexec_b64 s[22:23], s[0:1]
; %bb.9:                                ;   in Loop: Header=BB9_2 Depth=1
	ds_read_b32 v30, v22
; %bb.10:                               ;   in Loop: Header=BB9_2 Depth=1
	s_or_b64 exec, exec, s[22:23]
	s_waitcnt lgkmcnt(0)
	v_add_u32_e32 v4, v30, v4
	ds_bpermute_b32 v4, v24, v4
	s_waitcnt lgkmcnt(0)
	v_cndmask_b32_e64 v4, v4, v30, s[6:7]
	v_cndmask_b32_e64 v30, v4, 0, s[2:3]
	v_add_u32_e32 v31, v30, v1
	v_add_u32_e32 v1, v31, v2
	;; [unrolled: 1-line block ×3, first 2 shown]
	ds_write2_b64 v19, v[30:31], v[1:2] offset0:1 offset1:2
	s_waitcnt lgkmcnt(0)
	s_barrier
	ds_read_b32 v1, v29 offset:8
	v_lshlrev_b32_e32 v2, 2, v6
	s_waitcnt lgkmcnt(0)
	s_barrier
	v_lshl_add_u32 v1, v1, 2, v2
	ds_write_b32 v1, v28
	s_waitcnt lgkmcnt(0)
	s_barrier
	ds_read_b32 v28, v23
	s_waitcnt lgkmcnt(0)
	s_barrier
	ds_write_b32 v1, v27
	v_mov_b32_e32 v1, s30
	v_mov_b32_e32 v3, s34
	;; [unrolled: 1-line block ×4, first 2 shown]
	s_waitcnt lgkmcnt(0)
	s_barrier
	ds_read_b32 v27, v23
	s_waitcnt lgkmcnt(0)
	s_barrier
	ds_write2_b64 v19, v[1:2], v[3:4] offset0:1 offset1:2
	v_lshrrev_b32_e32 v1, 8, v28
	v_and_b32_e32 v2, 1, v1
	v_add_co_u32_e64 v4, s[22:23], -1, v2
	v_addc_co_u32_e64 v6, s[22:23], 0, -1, s[22:23]
	v_cmp_ne_u32_e64 s[22:23], 0, v2
	v_xor_b32_e32 v2, s23, v6
	v_lshlrev_b32_e32 v6, 30, v1
	v_xor_b32_e32 v4, s22, v4
	v_cmp_gt_i64_e64 s[22:23], 0, v[5:6]
	v_not_b32_e32 v6, v6
	v_ashrrev_i32_e32 v6, 31, v6
	v_and_b32_e32 v4, exec_lo, v4
	v_xor_b32_e32 v29, s23, v6
	v_xor_b32_e32 v6, s22, v6
	v_and_b32_e32 v4, v4, v6
	v_lshlrev_b32_e32 v6, 29, v1
	v_cmp_gt_i64_e64 s[22:23], 0, v[5:6]
	v_not_b32_e32 v6, v6
	v_and_b32_e32 v2, exec_hi, v2
	v_ashrrev_i32_e32 v6, 31, v6
	v_and_b32_e32 v2, v2, v29
	v_xor_b32_e32 v29, s23, v6
	v_xor_b32_e32 v6, s22, v6
	v_and_b32_e32 v4, v4, v6
	v_lshlrev_b32_e32 v6, 28, v1
	v_cmp_gt_i64_e64 s[22:23], 0, v[5:6]
	v_not_b32_e32 v6, v6
	v_ashrrev_i32_e32 v6, 31, v6
	v_and_b32_e32 v2, v2, v29
	v_xor_b32_e32 v29, s23, v6
	v_xor_b32_e32 v6, s22, v6
	v_and_b32_e32 v4, v4, v6
	v_lshlrev_b32_e32 v6, 27, v1
	v_cmp_gt_i64_e64 s[22:23], 0, v[5:6]
	v_not_b32_e32 v6, v6
	;; [unrolled: 8-line block ×4, first 2 shown]
	v_ashrrev_i32_e32 v6, 31, v6
	v_and_b32_e32 v2, v2, v29
	v_xor_b32_e32 v29, s23, v6
	v_xor_b32_e32 v6, s22, v6
	v_and_b32_e32 v4, v4, v6
	v_lshlrev_b32_e32 v6, 24, v1
	v_lshlrev_b32_sdwa v3, v11, v1 dst_sel:DWORD dst_unused:UNUSED_PAD src0_sel:DWORD src1_sel:BYTE_0
	v_cmp_gt_i64_e64 s[22:23], 0, v[5:6]
	v_not_b32_e32 v1, v6
	v_ashrrev_i32_e32 v1, 31, v1
	v_xor_b32_e32 v6, s23, v1
	v_xor_b32_e32 v1, s22, v1
	v_and_b32_e32 v2, v2, v29
	v_and_b32_e32 v1, v4, v1
	;; [unrolled: 1-line block ×3, first 2 shown]
	v_mbcnt_lo_u32_b32 v4, v1, 0
	v_mbcnt_hi_u32_b32 v6, v2, v4
	v_cmp_ne_u64_e64 s[22:23], 0, v[1:2]
	v_cmp_eq_u32_e64 s[24:25], 0, v6
	s_and_b64 s[24:25], s[22:23], s[24:25]
	v_add_u32_e32 v29, v25, v3
	s_waitcnt lgkmcnt(0)
	s_barrier
	; wave barrier
	s_and_saveexec_b64 s[22:23], s[24:25]
; %bb.11:                               ;   in Loop: Header=BB9_2 Depth=1
	v_bcnt_u32_b32 v1, v1, 0
	v_bcnt_u32_b32 v1, v2, v1
	ds_write_b32 v29, v1 offset:8
; %bb.12:                               ;   in Loop: Header=BB9_2 Depth=1
	s_or_b64 exec, exec, s[22:23]
	; wave barrier
	s_waitcnt lgkmcnt(0)
	s_barrier
	ds_read2_b64 v[1:4], v19 offset0:1 offset1:2
	s_waitcnt lgkmcnt(0)
	v_add_u32_e32 v30, v2, v1
	v_add3_u32 v4, v30, v3, v4
	s_nop 1
	v_mov_b32_dpp v30, v4 row_shr:1 row_mask:0xf bank_mask:0xf
	v_cndmask_b32_e64 v30, v30, 0, s[8:9]
	v_add_u32_e32 v4, v30, v4
	s_nop 1
	v_mov_b32_dpp v30, v4 row_shr:2 row_mask:0xf bank_mask:0xf
	v_cndmask_b32_e64 v30, 0, v30, s[10:11]
	v_add_u32_e32 v4, v4, v30
	;; [unrolled: 4-line block ×4, first 2 shown]
	s_nop 1
	v_mov_b32_dpp v30, v4 row_bcast:15 row_mask:0xf bank_mask:0xf
	v_cndmask_b32_e64 v30, v30, 0, s[16:17]
	v_add_u32_e32 v4, v4, v30
	s_nop 1
	v_mov_b32_dpp v30, v4 row_bcast:31 row_mask:0xf bank_mask:0xf
	v_cndmask_b32_e64 v30, 0, v30, s[4:5]
	v_add_u32_e32 v4, v4, v30
	s_and_saveexec_b64 s[22:23], s[18:19]
; %bb.13:                               ;   in Loop: Header=BB9_2 Depth=1
	ds_write_b32 v20, v4
; %bb.14:                               ;   in Loop: Header=BB9_2 Depth=1
	s_or_b64 exec, exec, s[22:23]
	s_waitcnt lgkmcnt(0)
	s_barrier
	s_and_saveexec_b64 s[22:23], vcc
	s_cbranch_execz .LBB9_16
; %bb.15:                               ;   in Loop: Header=BB9_2 Depth=1
	ds_read_b32 v30, v21
	s_waitcnt lgkmcnt(0)
	s_nop 0
	v_mov_b32_dpp v31, v30 row_shr:1 row_mask:0xf bank_mask:0xf
	v_cndmask_b32_e64 v31, v31, 0, s[20:21]
	v_add_u32_e32 v30, v31, v30
	ds_write_b32 v21, v30
.LBB9_16:                               ;   in Loop: Header=BB9_2 Depth=1
	s_or_b64 exec, exec, s[22:23]
	v_mov_b32_e32 v30, 0
	s_waitcnt lgkmcnt(0)
	s_barrier
	s_and_saveexec_b64 s[22:23], s[0:1]
; %bb.17:                               ;   in Loop: Header=BB9_2 Depth=1
	ds_read_b32 v30, v22
; %bb.18:                               ;   in Loop: Header=BB9_2 Depth=1
	s_or_b64 exec, exec, s[22:23]
	s_waitcnt lgkmcnt(0)
	v_add_u32_e32 v4, v30, v4
	ds_bpermute_b32 v4, v24, v4
	s_waitcnt lgkmcnt(0)
	v_cndmask_b32_e64 v4, v4, v30, s[6:7]
	v_cndmask_b32_e64 v30, v4, 0, s[2:3]
	v_add_u32_e32 v31, v30, v1
	v_add_u32_e32 v1, v31, v2
	;; [unrolled: 1-line block ×3, first 2 shown]
	ds_write2_b64 v19, v[30:31], v[1:2] offset0:1 offset1:2
	s_waitcnt lgkmcnt(0)
	s_barrier
	ds_read_b32 v1, v29 offset:8
	v_lshlrev_b32_e32 v2, 2, v6
	s_waitcnt lgkmcnt(0)
	s_barrier
	v_lshl_add_u32 v1, v1, 2, v2
	ds_write_b32 v1, v28
	s_waitcnt lgkmcnt(0)
	s_barrier
	ds_read_b32 v28, v23
	s_waitcnt lgkmcnt(0)
	s_barrier
	ds_write_b32 v1, v27
	v_mov_b32_e32 v1, s30
	v_mov_b32_e32 v3, s34
	;; [unrolled: 1-line block ×4, first 2 shown]
	s_waitcnt lgkmcnt(0)
	s_barrier
	ds_read_b32 v27, v23
	s_waitcnt lgkmcnt(0)
	s_barrier
	ds_write2_b64 v19, v[1:2], v[3:4] offset0:1 offset1:2
	v_and_b32_sdwa v1, v28, s36 dst_sel:DWORD dst_unused:UNUSED_PAD src0_sel:WORD_1 src1_sel:DWORD
	v_lshlrev_b32_e32 v3, 3, v1
	v_and_b32_sdwa v1, v28, v12 dst_sel:DWORD dst_unused:UNUSED_PAD src0_sel:WORD_1 src1_sel:DWORD
	v_add_co_u32_e64 v2, s[22:23], -1, v1
	v_addc_co_u32_e64 v4, s[22:23], 0, -1, s[22:23]
	v_cmp_ne_u32_e64 s[22:23], 0, v1
	v_lshlrev_b32_sdwa v6, v13, v28 dst_sel:DWORD dst_unused:UNUSED_PAD src0_sel:DWORD src1_sel:WORD_1
	v_xor_b32_e32 v1, s23, v4
	v_xor_b32_e32 v2, s22, v2
	v_cmp_gt_i64_e64 s[22:23], 0, v[5:6]
	v_not_b32_e32 v4, v6
	v_ashrrev_i32_e32 v4, 31, v4
	v_and_b32_e32 v1, exec_hi, v1
	v_xor_b32_e32 v6, s23, v4
	v_and_b32_e32 v2, exec_lo, v2
	v_xor_b32_e32 v4, s22, v4
	v_and_b32_e32 v1, v1, v6
	v_lshlrev_b32_sdwa v6, v14, v28 dst_sel:DWORD dst_unused:UNUSED_PAD src0_sel:DWORD src1_sel:WORD_1
	v_and_b32_e32 v2, v2, v4
	v_cmp_gt_i64_e64 s[22:23], 0, v[5:6]
	v_not_b32_e32 v4, v6
	v_ashrrev_i32_e32 v4, 31, v4
	v_xor_b32_e32 v6, s23, v4
	v_xor_b32_e32 v4, s22, v4
	v_and_b32_e32 v1, v1, v6
	v_lshlrev_b32_sdwa v6, v15, v28 dst_sel:DWORD dst_unused:UNUSED_PAD src0_sel:DWORD src1_sel:WORD_1
	v_and_b32_e32 v2, v2, v4
	v_cmp_gt_i64_e64 s[22:23], 0, v[5:6]
	v_not_b32_e32 v4, v6
	v_ashrrev_i32_e32 v4, 31, v4
	v_xor_b32_e32 v6, s23, v4
	;; [unrolled: 8-line block ×6, first 2 shown]
	v_xor_b32_e32 v29, s22, v2
	v_and_b32_e32 v2, v1, v6
	v_and_b32_e32 v1, v4, v29
	v_mbcnt_lo_u32_b32 v4, v1, 0
	v_mbcnt_hi_u32_b32 v6, v2, v4
	v_cmp_ne_u64_e64 s[22:23], 0, v[1:2]
	v_cmp_eq_u32_e64 s[24:25], 0, v6
	s_and_b64 s[24:25], s[22:23], s[24:25]
	v_add_u32_e32 v29, v25, v3
	s_waitcnt lgkmcnt(0)
	s_barrier
	; wave barrier
	s_and_saveexec_b64 s[22:23], s[24:25]
; %bb.19:                               ;   in Loop: Header=BB9_2 Depth=1
	v_bcnt_u32_b32 v1, v1, 0
	v_bcnt_u32_b32 v1, v2, v1
	ds_write_b32 v29, v1 offset:8
; %bb.20:                               ;   in Loop: Header=BB9_2 Depth=1
	s_or_b64 exec, exec, s[22:23]
	; wave barrier
	s_waitcnt lgkmcnt(0)
	s_barrier
	ds_read2_b64 v[1:4], v19 offset0:1 offset1:2
	s_waitcnt lgkmcnt(0)
	v_add_u32_e32 v30, v2, v1
	v_add3_u32 v4, v30, v3, v4
	s_nop 1
	v_mov_b32_dpp v30, v4 row_shr:1 row_mask:0xf bank_mask:0xf
	v_cndmask_b32_e64 v30, v30, 0, s[8:9]
	v_add_u32_e32 v4, v30, v4
	s_nop 1
	v_mov_b32_dpp v30, v4 row_shr:2 row_mask:0xf bank_mask:0xf
	v_cndmask_b32_e64 v30, 0, v30, s[10:11]
	v_add_u32_e32 v4, v4, v30
	;; [unrolled: 4-line block ×4, first 2 shown]
	s_nop 1
	v_mov_b32_dpp v30, v4 row_bcast:15 row_mask:0xf bank_mask:0xf
	v_cndmask_b32_e64 v30, v30, 0, s[16:17]
	v_add_u32_e32 v4, v4, v30
	s_nop 1
	v_mov_b32_dpp v30, v4 row_bcast:31 row_mask:0xf bank_mask:0xf
	v_cndmask_b32_e64 v30, 0, v30, s[4:5]
	v_add_u32_e32 v4, v4, v30
	s_and_saveexec_b64 s[22:23], s[18:19]
; %bb.21:                               ;   in Loop: Header=BB9_2 Depth=1
	ds_write_b32 v20, v4
; %bb.22:                               ;   in Loop: Header=BB9_2 Depth=1
	s_or_b64 exec, exec, s[22:23]
	s_waitcnt lgkmcnt(0)
	s_barrier
	s_and_saveexec_b64 s[22:23], vcc
	s_cbranch_execz .LBB9_24
; %bb.23:                               ;   in Loop: Header=BB9_2 Depth=1
	ds_read_b32 v30, v21
	s_waitcnt lgkmcnt(0)
	s_nop 0
	v_mov_b32_dpp v31, v30 row_shr:1 row_mask:0xf bank_mask:0xf
	v_cndmask_b32_e64 v31, v31, 0, s[20:21]
	v_add_u32_e32 v30, v31, v30
	ds_write_b32 v21, v30
.LBB9_24:                               ;   in Loop: Header=BB9_2 Depth=1
	s_or_b64 exec, exec, s[22:23]
	v_mov_b32_e32 v30, 0
	s_waitcnt lgkmcnt(0)
	s_barrier
	s_and_saveexec_b64 s[22:23], s[0:1]
; %bb.25:                               ;   in Loop: Header=BB9_2 Depth=1
	ds_read_b32 v30, v22
; %bb.26:                               ;   in Loop: Header=BB9_2 Depth=1
	s_or_b64 exec, exec, s[22:23]
	s_waitcnt lgkmcnt(0)
	v_add_u32_e32 v4, v30, v4
	ds_bpermute_b32 v4, v24, v4
	s_waitcnt lgkmcnt(0)
	v_cndmask_b32_e64 v4, v4, v30, s[6:7]
	v_cndmask_b32_e64 v30, v4, 0, s[2:3]
	v_add_u32_e32 v31, v30, v1
	v_add_u32_e32 v1, v31, v2
	;; [unrolled: 1-line block ×3, first 2 shown]
	ds_write2_b64 v19, v[30:31], v[1:2] offset0:1 offset1:2
	s_waitcnt lgkmcnt(0)
	s_barrier
	ds_read_b32 v1, v29 offset:8
	v_lshlrev_b32_e32 v2, 2, v6
	s_waitcnt lgkmcnt(0)
	s_barrier
	v_lshl_add_u32 v1, v1, 2, v2
	ds_write_b32 v1, v28
	s_waitcnt lgkmcnt(0)
	s_barrier
	ds_read_b32 v28, v23
	s_waitcnt lgkmcnt(0)
	s_barrier
	ds_write_b32 v1, v27
	v_mov_b32_e32 v1, s30
	v_mov_b32_e32 v3, s34
	;; [unrolled: 1-line block ×4, first 2 shown]
	s_waitcnt lgkmcnt(0)
	s_barrier
	ds_read_b32 v27, v23
	s_waitcnt lgkmcnt(0)
	s_barrier
	ds_write2_b64 v19, v[1:2], v[3:4] offset0:1 offset1:2
	v_and_b32_sdwa v1, v28, v12 dst_sel:DWORD dst_unused:UNUSED_PAD src0_sel:BYTE_3 src1_sel:DWORD
	v_add_co_u32_e64 v2, s[22:23], -1, v1
	v_addc_co_u32_e64 v4, s[22:23], 0, -1, s[22:23]
	v_cmp_ne_u32_e64 s[22:23], 0, v1
	v_lshlrev_b32_sdwa v6, v13, v28 dst_sel:DWORD dst_unused:UNUSED_PAD src0_sel:DWORD src1_sel:BYTE_3
	v_xor_b32_e32 v1, s23, v4
	v_xor_b32_e32 v2, s22, v2
	v_cmp_gt_i64_e64 s[22:23], 0, v[5:6]
	v_not_b32_e32 v4, v6
	v_ashrrev_i32_e32 v4, 31, v4
	v_and_b32_e32 v1, exec_hi, v1
	v_xor_b32_e32 v6, s23, v4
	v_and_b32_e32 v2, exec_lo, v2
	v_xor_b32_e32 v4, s22, v4
	v_and_b32_e32 v1, v1, v6
	v_lshlrev_b32_sdwa v6, v14, v28 dst_sel:DWORD dst_unused:UNUSED_PAD src0_sel:DWORD src1_sel:BYTE_3
	v_and_b32_e32 v2, v2, v4
	v_cmp_gt_i64_e64 s[22:23], 0, v[5:6]
	v_not_b32_e32 v4, v6
	v_ashrrev_i32_e32 v4, 31, v4
	v_xor_b32_e32 v6, s23, v4
	v_xor_b32_e32 v4, s22, v4
	v_and_b32_e32 v1, v1, v6
	v_lshlrev_b32_sdwa v6, v15, v28 dst_sel:DWORD dst_unused:UNUSED_PAD src0_sel:DWORD src1_sel:BYTE_3
	v_and_b32_e32 v2, v2, v4
	v_cmp_gt_i64_e64 s[22:23], 0, v[5:6]
	v_not_b32_e32 v4, v6
	v_ashrrev_i32_e32 v4, 31, v4
	v_xor_b32_e32 v6, s23, v4
	;; [unrolled: 8-line block ×6, first 2 shown]
	v_xor_b32_e32 v29, s22, v2
	v_and_b32_e32 v2, v1, v6
	v_and_b32_e32 v1, v4, v29
	v_mbcnt_lo_u32_b32 v4, v1, 0
	v_mbcnt_hi_u32_b32 v6, v2, v4
	v_cmp_ne_u64_e64 s[22:23], 0, v[1:2]
	v_lshlrev_b32_sdwa v3, v11, v28 dst_sel:DWORD dst_unused:UNUSED_PAD src0_sel:DWORD src1_sel:BYTE_3
	v_cmp_eq_u32_e64 s[24:25], 0, v6
	s_and_b64 s[24:25], s[22:23], s[24:25]
	v_add_u32_e32 v29, v25, v3
	s_waitcnt lgkmcnt(0)
	s_barrier
	; wave barrier
	s_and_saveexec_b64 s[22:23], s[24:25]
; %bb.27:                               ;   in Loop: Header=BB9_2 Depth=1
	v_bcnt_u32_b32 v1, v1, 0
	v_bcnt_u32_b32 v1, v2, v1
	ds_write_b32 v29, v1 offset:8
; %bb.28:                               ;   in Loop: Header=BB9_2 Depth=1
	s_or_b64 exec, exec, s[22:23]
	; wave barrier
	s_waitcnt lgkmcnt(0)
	s_barrier
	ds_read2_b64 v[1:4], v19 offset0:1 offset1:2
	s_waitcnt lgkmcnt(0)
	v_add_u32_e32 v30, v2, v1
	v_add3_u32 v4, v30, v3, v4
	s_nop 1
	v_mov_b32_dpp v30, v4 row_shr:1 row_mask:0xf bank_mask:0xf
	v_cndmask_b32_e64 v30, v30, 0, s[8:9]
	v_add_u32_e32 v4, v30, v4
	s_nop 1
	v_mov_b32_dpp v30, v4 row_shr:2 row_mask:0xf bank_mask:0xf
	v_cndmask_b32_e64 v30, 0, v30, s[10:11]
	v_add_u32_e32 v4, v4, v30
	;; [unrolled: 4-line block ×4, first 2 shown]
	s_nop 1
	v_mov_b32_dpp v30, v4 row_bcast:15 row_mask:0xf bank_mask:0xf
	v_cndmask_b32_e64 v30, v30, 0, s[16:17]
	v_add_u32_e32 v4, v4, v30
	s_nop 1
	v_mov_b32_dpp v30, v4 row_bcast:31 row_mask:0xf bank_mask:0xf
	v_cndmask_b32_e64 v30, 0, v30, s[4:5]
	v_add_u32_e32 v4, v4, v30
	s_and_saveexec_b64 s[22:23], s[18:19]
; %bb.29:                               ;   in Loop: Header=BB9_2 Depth=1
	ds_write_b32 v20, v4
; %bb.30:                               ;   in Loop: Header=BB9_2 Depth=1
	s_or_b64 exec, exec, s[22:23]
	s_waitcnt lgkmcnt(0)
	s_barrier
	s_and_saveexec_b64 s[22:23], vcc
	s_cbranch_execz .LBB9_32
; %bb.31:                               ;   in Loop: Header=BB9_2 Depth=1
	ds_read_b32 v30, v21
	s_waitcnt lgkmcnt(0)
	s_nop 0
	v_mov_b32_dpp v31, v30 row_shr:1 row_mask:0xf bank_mask:0xf
	v_cndmask_b32_e64 v31, v31, 0, s[20:21]
	v_add_u32_e32 v30, v31, v30
	ds_write_b32 v21, v30
.LBB9_32:                               ;   in Loop: Header=BB9_2 Depth=1
	s_or_b64 exec, exec, s[22:23]
	v_mov_b32_e32 v30, 0
	s_waitcnt lgkmcnt(0)
	s_barrier
	s_and_saveexec_b64 s[22:23], s[0:1]
	s_cbranch_execz .LBB9_1
; %bb.33:                               ;   in Loop: Header=BB9_2 Depth=1
	ds_read_b32 v30, v22
	s_branch .LBB9_1
.LBB9_34:
	s_brev_b32 s0, 1
	s_waitcnt lgkmcnt(0)
	v_add3_u32 v1, v27, v28, s0
	s_add_u32 s0, s26, s28
	s_addc_u32 s1, s27, s29
	v_lshlrev_b32_e32 v0, 2, v0
	global_store_dword v0, v1, s[0:1]
	s_endpgm
	.section	.rodata,"a",@progbits
	.p2align	6, 0x0
	.amdhsa_kernel _Z17sort_pairs_kernelI22helper_blocked_blockediLj128ELj1ELj10EEvPKT0_PS1_
		.amdhsa_group_segment_fixed_size 2064
		.amdhsa_private_segment_fixed_size 0
		.amdhsa_kernarg_size 272
		.amdhsa_user_sgpr_count 6
		.amdhsa_user_sgpr_private_segment_buffer 1
		.amdhsa_user_sgpr_dispatch_ptr 0
		.amdhsa_user_sgpr_queue_ptr 0
		.amdhsa_user_sgpr_kernarg_segment_ptr 1
		.amdhsa_user_sgpr_dispatch_id 0
		.amdhsa_user_sgpr_flat_scratch_init 0
		.amdhsa_user_sgpr_private_segment_size 0
		.amdhsa_uses_dynamic_stack 0
		.amdhsa_system_sgpr_private_segment_wavefront_offset 0
		.amdhsa_system_sgpr_workgroup_id_x 1
		.amdhsa_system_sgpr_workgroup_id_y 0
		.amdhsa_system_sgpr_workgroup_id_z 0
		.amdhsa_system_sgpr_workgroup_info 0
		.amdhsa_system_vgpr_workitem_id 2
		.amdhsa_next_free_vgpr 32
		.amdhsa_next_free_sgpr 61
		.amdhsa_reserve_vcc 1
		.amdhsa_reserve_flat_scratch 0
		.amdhsa_float_round_mode_32 0
		.amdhsa_float_round_mode_16_64 0
		.amdhsa_float_denorm_mode_32 3
		.amdhsa_float_denorm_mode_16_64 3
		.amdhsa_dx10_clamp 1
		.amdhsa_ieee_mode 1
		.amdhsa_fp16_overflow 0
		.amdhsa_exception_fp_ieee_invalid_op 0
		.amdhsa_exception_fp_denorm_src 0
		.amdhsa_exception_fp_ieee_div_zero 0
		.amdhsa_exception_fp_ieee_overflow 0
		.amdhsa_exception_fp_ieee_underflow 0
		.amdhsa_exception_fp_ieee_inexact 0
		.amdhsa_exception_int_div_zero 0
	.end_amdhsa_kernel
	.section	.text._Z17sort_pairs_kernelI22helper_blocked_blockediLj128ELj1ELj10EEvPKT0_PS1_,"axG",@progbits,_Z17sort_pairs_kernelI22helper_blocked_blockediLj128ELj1ELj10EEvPKT0_PS1_,comdat
.Lfunc_end9:
	.size	_Z17sort_pairs_kernelI22helper_blocked_blockediLj128ELj1ELj10EEvPKT0_PS1_, .Lfunc_end9-_Z17sort_pairs_kernelI22helper_blocked_blockediLj128ELj1ELj10EEvPKT0_PS1_
                                        ; -- End function
	.set _Z17sort_pairs_kernelI22helper_blocked_blockediLj128ELj1ELj10EEvPKT0_PS1_.num_vgpr, 32
	.set _Z17sort_pairs_kernelI22helper_blocked_blockediLj128ELj1ELj10EEvPKT0_PS1_.num_agpr, 0
	.set _Z17sort_pairs_kernelI22helper_blocked_blockediLj128ELj1ELj10EEvPKT0_PS1_.numbered_sgpr, 37
	.set _Z17sort_pairs_kernelI22helper_blocked_blockediLj128ELj1ELj10EEvPKT0_PS1_.num_named_barrier, 0
	.set _Z17sort_pairs_kernelI22helper_blocked_blockediLj128ELj1ELj10EEvPKT0_PS1_.private_seg_size, 0
	.set _Z17sort_pairs_kernelI22helper_blocked_blockediLj128ELj1ELj10EEvPKT0_PS1_.uses_vcc, 1
	.set _Z17sort_pairs_kernelI22helper_blocked_blockediLj128ELj1ELj10EEvPKT0_PS1_.uses_flat_scratch, 0
	.set _Z17sort_pairs_kernelI22helper_blocked_blockediLj128ELj1ELj10EEvPKT0_PS1_.has_dyn_sized_stack, 0
	.set _Z17sort_pairs_kernelI22helper_blocked_blockediLj128ELj1ELj10EEvPKT0_PS1_.has_recursion, 0
	.set _Z17sort_pairs_kernelI22helper_blocked_blockediLj128ELj1ELj10EEvPKT0_PS1_.has_indirect_call, 0
	.section	.AMDGPU.csdata,"",@progbits
; Kernel info:
; codeLenInByte = 3876
; TotalNumSgprs: 41
; NumVgprs: 32
; ScratchSize: 0
; MemoryBound: 0
; FloatMode: 240
; IeeeMode: 1
; LDSByteSize: 2064 bytes/workgroup (compile time only)
; SGPRBlocks: 8
; VGPRBlocks: 7
; NumSGPRsForWavesPerEU: 65
; NumVGPRsForWavesPerEU: 32
; Occupancy: 8
; WaveLimiterHint : 0
; COMPUTE_PGM_RSRC2:SCRATCH_EN: 0
; COMPUTE_PGM_RSRC2:USER_SGPR: 6
; COMPUTE_PGM_RSRC2:TRAP_HANDLER: 0
; COMPUTE_PGM_RSRC2:TGID_X_EN: 1
; COMPUTE_PGM_RSRC2:TGID_Y_EN: 0
; COMPUTE_PGM_RSRC2:TGID_Z_EN: 0
; COMPUTE_PGM_RSRC2:TIDIG_COMP_CNT: 2
	.section	.text._Z16sort_keys_kernelI22helper_blocked_blockediLj128ELj3ELj10EEvPKT0_PS1_,"axG",@progbits,_Z16sort_keys_kernelI22helper_blocked_blockediLj128ELj3ELj10EEvPKT0_PS1_,comdat
	.protected	_Z16sort_keys_kernelI22helper_blocked_blockediLj128ELj3ELj10EEvPKT0_PS1_ ; -- Begin function _Z16sort_keys_kernelI22helper_blocked_blockediLj128ELj3ELj10EEvPKT0_PS1_
	.globl	_Z16sort_keys_kernelI22helper_blocked_blockediLj128ELj3ELj10EEvPKT0_PS1_
	.p2align	8
	.type	_Z16sort_keys_kernelI22helper_blocked_blockediLj128ELj3ELj10EEvPKT0_PS1_,@function
_Z16sort_keys_kernelI22helper_blocked_blockediLj128ELj3ELj10EEvPKT0_PS1_: ; @_Z16sort_keys_kernelI22helper_blocked_blockediLj128ELj3ELj10EEvPKT0_PS1_
; %bb.0:
	s_load_dwordx4 s[24:27], s[4:5], 0x0
	s_load_dword s2, s[4:5], 0x1c
	s_mul_i32 s28, s6, 0x180
	s_mov_b32 s29, 0
	s_lshl_b64 s[30:31], s[28:29], 2
	s_waitcnt lgkmcnt(0)
	s_add_u32 s0, s24, s30
	s_addc_u32 s1, s25, s31
	v_lshlrev_b32_e32 v5, 2, v0
	global_load_dword v3, v5, s[0:1]
	global_load_dword v4, v5, s[0:1] offset:512
	global_load_dword v6, v5, s[0:1] offset:1024
	v_mbcnt_lo_u32_b32 v7, -1, 0
	v_mbcnt_hi_u32_b32 v7, -1, v7
	s_lshr_b32 s0, s2, 16
	v_lshrrev_b32_e32 v8, 6, v0
	s_and_b32 s1, s2, 0xffff
	v_mad_u32_u24 v1, v2, s0, v1
	v_and_b32_e32 v2, 15, v7
	v_mul_u32_u24_e32 v9, 0xc0, v8
	v_mad_u32_u24 v1, v1, s1, v0
	v_cmp_eq_u32_e64 s[0:1], 0, v2
	v_cmp_lt_u32_e64 s[2:3], 1, v2
	v_cmp_lt_u32_e64 s[4:5], 3, v2
	;; [unrolled: 1-line block ×3, first 2 shown]
	v_and_b32_e32 v2, 16, v7
	v_lshlrev_b32_e32 v9, 2, v9
	v_lshlrev_b32_e32 v10, 2, v7
	v_cmp_eq_u32_e64 s[8:9], 0, v2
	v_and_b32_e32 v2, 64, v0
	v_mad_u32_u24 v11, v7, 12, v9
	v_add_u32_e32 v12, v10, v9
	v_or_b32_e32 v9, 63, v2
	v_cmp_eq_u32_e64 s[12:13], v0, v9
	v_subrev_co_u32_e64 v9, s[18:19], 1, v7
	v_and_b32_e32 v14, 64, v7
	v_cmp_lt_i32_e32 vcc, v9, v14
	v_lshlrev_b32_e32 v13, 4, v0
	v_cmp_lt_u32_e64 s[10:11], 31, v7
	v_cndmask_b32_e32 v9, v9, v7, vcc
	v_and_b32_e32 v7, 1, v7
	v_mul_u32_u24_e32 v2, 12, v2
	v_lshrrev_b32_e32 v1, 4, v1
	s_mov_b32 s28, s29
	s_mov_b32 s24, s29
	v_lshlrev_b32_e32 v14, 2, v9
	v_lshlrev_b32_e32 v15, 2, v8
	v_mad_i32_i24 v16, v0, -12, v13
	v_cmp_eq_u32_e64 s[22:23], 0, v7
	v_and_b32_e32 v18, 0xffffffc, v1
	v_lshlrev_b32_e32 v1, 3, v0
	s_mov_b32 s25, s29
	v_mov_b32_e32 v7, s28
	v_add_u32_e32 v19, v10, v2
	v_mov_b32_e32 v9, s24
	v_mov_b32_e32 v5, 0
	v_cmp_gt_u32_e64 s[14:15], 2, v0
	v_cmp_lt_u32_e64 s[16:17], 63, v0
	v_cmp_eq_u32_e64 s[20:21], 0, v0
	v_add_u32_e32 v17, -4, v15
	v_mov_b32_e32 v8, s29
	v_add_u32_e32 v20, v16, v1
	v_mov_b32_e32 v10, s25
	v_mov_b32_e32 v21, 3
	s_branch .LBB10_2
.LBB10_1:                               ;   in Loop: Header=BB10_2 Depth=1
	v_lshlrev_b32_e32 v1, 2, v26
	s_barrier
	ds_write_b32 v1, v25
	v_lshlrev_b32_e32 v1, 2, v4
	ds_write_b32 v1, v23
	v_lshlrev_b32_e32 v1, 2, v3
	ds_write_b32 v1, v22
	s_waitcnt lgkmcnt(0)
	s_barrier
	ds_read2_b32 v[1:2], v20 offset1:1
	ds_read_b32 v6, v20 offset:8
	s_add_i32 s29, s29, 1
	s_cmp_eq_u32 s29, 10
	s_waitcnt lgkmcnt(1)
	v_xor_b32_e32 v3, 0x80000000, v1
	v_xor_b32_e32 v4, 0x80000000, v2
	s_waitcnt lgkmcnt(0)
	v_xor_b32_e32 v6, 0x80000000, v6
	s_cbranch_scc1 .LBB10_18
.LBB10_2:                               ; =>This Loop Header: Depth=1
                                        ;     Child Loop BB10_4 Depth 2
	s_waitcnt vmcnt(2)
	v_xor_b32_e32 v1, 0x80000000, v3
	s_waitcnt vmcnt(1)
	v_xor_b32_e32 v2, 0x80000000, v4
	;; [unrolled: 2-line block ×3, first 2 shown]
	ds_write2_b32 v11, v1, v2 offset1:1
	ds_write_b32 v11, v3 offset:8
	; wave barrier
	ds_read2st64_b32 v[1:2], v12 offset1:1
	ds_read_b32 v6, v12 offset:512
	v_mov_b32_e32 v24, v5
	s_waitcnt lgkmcnt(0)
	s_barrier
	; wave barrier
	s_barrier
	s_branch .LBB10_4
.LBB10_3:                               ;   in Loop: Header=BB10_4 Depth=2
	s_andn2_b64 vcc, exec, s[24:25]
	s_cbranch_vccz .LBB10_1
.LBB10_4:                               ;   Parent Loop BB10_2 Depth=1
                                        ; =>  This Inner Loop Header: Depth=2
	v_mov_b32_e32 v25, v1
	v_lshrrev_b32_e32 v1, v24, v25
	v_mov_b32_e32 v23, v2
	v_and_b32_e32 v2, 1, v1
	v_add_co_u32_e32 v4, vcc, -1, v2
	v_mov_b32_e32 v22, v6
	v_addc_co_u32_e64 v6, s[24:25], 0, -1, vcc
	v_cmp_ne_u32_e32 vcc, 0, v2
	v_xor_b32_e32 v2, vcc_hi, v6
	v_lshlrev_b32_e32 v6, 30, v1
	v_xor_b32_e32 v4, vcc_lo, v4
	v_cmp_gt_i64_e32 vcc, 0, v[5:6]
	v_not_b32_e32 v6, v6
	v_ashrrev_i32_e32 v6, 31, v6
	v_and_b32_e32 v4, exec_lo, v4
	v_xor_b32_e32 v26, vcc_hi, v6
	v_xor_b32_e32 v6, vcc_lo, v6
	v_and_b32_e32 v4, v4, v6
	v_lshlrev_b32_e32 v6, 29, v1
	v_cmp_gt_i64_e32 vcc, 0, v[5:6]
	v_not_b32_e32 v6, v6
	v_and_b32_e32 v2, exec_hi, v2
	v_ashrrev_i32_e32 v6, 31, v6
	v_and_b32_e32 v2, v2, v26
	v_xor_b32_e32 v26, vcc_hi, v6
	v_xor_b32_e32 v6, vcc_lo, v6
	v_and_b32_e32 v4, v4, v6
	v_lshlrev_b32_e32 v6, 28, v1
	v_cmp_gt_i64_e32 vcc, 0, v[5:6]
	v_not_b32_e32 v6, v6
	v_ashrrev_i32_e32 v6, 31, v6
	v_and_b32_e32 v2, v2, v26
	v_xor_b32_e32 v26, vcc_hi, v6
	v_xor_b32_e32 v6, vcc_lo, v6
	v_and_b32_e32 v4, v4, v6
	v_lshlrev_b32_e32 v6, 27, v1
	v_cmp_gt_i64_e32 vcc, 0, v[5:6]
	v_not_b32_e32 v6, v6
	;; [unrolled: 8-line block ×4, first 2 shown]
	v_ashrrev_i32_e32 v6, 31, v6
	v_and_b32_e32 v2, v2, v26
	v_xor_b32_e32 v26, vcc_hi, v6
	v_xor_b32_e32 v6, vcc_lo, v6
	v_and_b32_e32 v4, v4, v6
	v_lshlrev_b32_e32 v6, 24, v1
	v_lshlrev_b32_sdwa v3, v21, v1 dst_sel:DWORD dst_unused:UNUSED_PAD src0_sel:DWORD src1_sel:BYTE_0
	v_cmp_gt_i64_e32 vcc, 0, v[5:6]
	v_not_b32_e32 v1, v6
	v_ashrrev_i32_e32 v1, 31, v1
	v_xor_b32_e32 v6, vcc_hi, v1
	v_xor_b32_e32 v1, vcc_lo, v1
	v_and_b32_e32 v2, v2, v26
	v_and_b32_e32 v1, v4, v1
	;; [unrolled: 1-line block ×3, first 2 shown]
	v_mbcnt_lo_u32_b32 v4, v1, 0
	v_mbcnt_hi_u32_b32 v26, v2, v4
	v_cmp_ne_u64_e32 vcc, 0, v[1:2]
	v_cmp_eq_u32_e64 s[24:25], 0, v26
	s_and_b64 s[34:35], vcc, s[24:25]
	v_add_u32_e32 v27, v18, v3
	ds_write2_b64 v13, v[7:8], v[9:10] offset0:1 offset1:2
	s_waitcnt lgkmcnt(0)
	s_barrier
	; wave barrier
	s_and_saveexec_b64 s[24:25], s[34:35]
; %bb.5:                                ;   in Loop: Header=BB10_4 Depth=2
	v_bcnt_u32_b32 v1, v1, 0
	v_bcnt_u32_b32 v1, v2, v1
	ds_write_b32 v27, v1 offset:8
; %bb.6:                                ;   in Loop: Header=BB10_4 Depth=2
	s_or_b64 exec, exec, s[24:25]
	v_lshrrev_b32_e32 v1, v24, v23
	v_lshlrev_b32_sdwa v2, v21, v1 dst_sel:DWORD dst_unused:UNUSED_PAD src0_sel:DWORD src1_sel:BYTE_0
	v_add_u32_e32 v29, v18, v2
	v_and_b32_e32 v2, 1, v1
	v_add_co_u32_e32 v3, vcc, -1, v2
	v_addc_co_u32_e64 v4, s[24:25], 0, -1, vcc
	v_cmp_ne_u32_e32 vcc, 0, v2
	v_lshlrev_b32_e32 v6, 30, v1
	v_xor_b32_e32 v2, vcc_hi, v4
	v_xor_b32_e32 v3, vcc_lo, v3
	v_cmp_gt_i64_e32 vcc, 0, v[5:6]
	v_not_b32_e32 v4, v6
	v_ashrrev_i32_e32 v4, 31, v4
	v_and_b32_e32 v2, exec_hi, v2
	v_xor_b32_e32 v6, vcc_hi, v4
	v_and_b32_e32 v3, exec_lo, v3
	v_xor_b32_e32 v4, vcc_lo, v4
	v_and_b32_e32 v2, v2, v6
	v_lshlrev_b32_e32 v6, 29, v1
	v_and_b32_e32 v3, v3, v4
	v_cmp_gt_i64_e32 vcc, 0, v[5:6]
	v_not_b32_e32 v4, v6
	v_ashrrev_i32_e32 v4, 31, v4
	v_xor_b32_e32 v6, vcc_hi, v4
	v_xor_b32_e32 v4, vcc_lo, v4
	v_and_b32_e32 v2, v2, v6
	v_lshlrev_b32_e32 v6, 28, v1
	v_and_b32_e32 v3, v3, v4
	v_cmp_gt_i64_e32 vcc, 0, v[5:6]
	v_not_b32_e32 v4, v6
	v_ashrrev_i32_e32 v4, 31, v4
	v_xor_b32_e32 v6, vcc_hi, v4
	;; [unrolled: 8-line block ×5, first 2 shown]
	v_and_b32_e32 v2, v2, v6
	v_lshlrev_b32_e32 v6, 24, v1
	v_xor_b32_e32 v4, vcc_lo, v4
	v_cmp_gt_i64_e32 vcc, 0, v[5:6]
	v_not_b32_e32 v1, v6
	v_ashrrev_i32_e32 v1, 31, v1
	v_and_b32_e32 v3, v3, v4
	v_xor_b32_e32 v4, vcc_hi, v1
	v_xor_b32_e32 v1, vcc_lo, v1
	; wave barrier
	ds_read_b32 v28, v29 offset:8
	v_and_b32_e32 v1, v3, v1
	v_and_b32_e32 v2, v2, v4
	v_mbcnt_lo_u32_b32 v3, v1, 0
	v_mbcnt_hi_u32_b32 v30, v2, v3
	v_cmp_ne_u64_e32 vcc, 0, v[1:2]
	v_cmp_eq_u32_e64 s[24:25], 0, v30
	s_and_b64 s[34:35], vcc, s[24:25]
	; wave barrier
	s_and_saveexec_b64 s[24:25], s[34:35]
	s_cbranch_execz .LBB10_8
; %bb.7:                                ;   in Loop: Header=BB10_4 Depth=2
	v_bcnt_u32_b32 v1, v1, 0
	v_bcnt_u32_b32 v1, v2, v1
	s_waitcnt lgkmcnt(0)
	v_add_u32_e32 v1, v28, v1
	ds_write_b32 v29, v1 offset:8
.LBB10_8:                               ;   in Loop: Header=BB10_4 Depth=2
	s_or_b64 exec, exec, s[24:25]
	v_lshrrev_b32_e32 v1, v24, v22
	v_lshlrev_b32_sdwa v2, v21, v1 dst_sel:DWORD dst_unused:UNUSED_PAD src0_sel:DWORD src1_sel:BYTE_0
	v_add_u32_e32 v32, v18, v2
	v_and_b32_e32 v2, 1, v1
	v_add_co_u32_e32 v3, vcc, -1, v2
	v_addc_co_u32_e64 v4, s[24:25], 0, -1, vcc
	v_cmp_ne_u32_e32 vcc, 0, v2
	v_lshlrev_b32_e32 v6, 30, v1
	v_xor_b32_e32 v2, vcc_hi, v4
	v_xor_b32_e32 v3, vcc_lo, v3
	v_cmp_gt_i64_e32 vcc, 0, v[5:6]
	v_not_b32_e32 v4, v6
	v_ashrrev_i32_e32 v4, 31, v4
	v_and_b32_e32 v2, exec_hi, v2
	v_xor_b32_e32 v6, vcc_hi, v4
	v_and_b32_e32 v3, exec_lo, v3
	v_xor_b32_e32 v4, vcc_lo, v4
	v_and_b32_e32 v2, v2, v6
	v_lshlrev_b32_e32 v6, 29, v1
	v_and_b32_e32 v3, v3, v4
	v_cmp_gt_i64_e32 vcc, 0, v[5:6]
	v_not_b32_e32 v4, v6
	v_ashrrev_i32_e32 v4, 31, v4
	v_xor_b32_e32 v6, vcc_hi, v4
	v_xor_b32_e32 v4, vcc_lo, v4
	v_and_b32_e32 v2, v2, v6
	v_lshlrev_b32_e32 v6, 28, v1
	v_and_b32_e32 v3, v3, v4
	v_cmp_gt_i64_e32 vcc, 0, v[5:6]
	v_not_b32_e32 v4, v6
	v_ashrrev_i32_e32 v4, 31, v4
	v_xor_b32_e32 v6, vcc_hi, v4
	;; [unrolled: 8-line block ×5, first 2 shown]
	v_and_b32_e32 v2, v2, v6
	v_lshlrev_b32_e32 v6, 24, v1
	v_xor_b32_e32 v4, vcc_lo, v4
	v_cmp_gt_i64_e32 vcc, 0, v[5:6]
	v_not_b32_e32 v1, v6
	v_ashrrev_i32_e32 v1, 31, v1
	v_and_b32_e32 v3, v3, v4
	v_xor_b32_e32 v4, vcc_hi, v1
	v_xor_b32_e32 v1, vcc_lo, v1
	; wave barrier
	ds_read_b32 v31, v32 offset:8
	v_and_b32_e32 v1, v3, v1
	v_and_b32_e32 v2, v2, v4
	v_mbcnt_lo_u32_b32 v3, v1, 0
	v_mbcnt_hi_u32_b32 v6, v2, v3
	v_cmp_ne_u64_e32 vcc, 0, v[1:2]
	v_cmp_eq_u32_e64 s[24:25], 0, v6
	s_and_b64 s[34:35], vcc, s[24:25]
	; wave barrier
	s_and_saveexec_b64 s[24:25], s[34:35]
	s_cbranch_execz .LBB10_10
; %bb.9:                                ;   in Loop: Header=BB10_4 Depth=2
	v_bcnt_u32_b32 v1, v1, 0
	v_bcnt_u32_b32 v1, v2, v1
	s_waitcnt lgkmcnt(0)
	v_add_u32_e32 v1, v31, v1
	ds_write_b32 v32, v1 offset:8
.LBB10_10:                              ;   in Loop: Header=BB10_4 Depth=2
	s_or_b64 exec, exec, s[24:25]
	; wave barrier
	s_waitcnt lgkmcnt(0)
	s_barrier
	ds_read2_b64 v[1:4], v13 offset0:1 offset1:2
	s_waitcnt lgkmcnt(0)
	v_add_u32_e32 v33, v2, v1
	v_add3_u32 v4, v33, v3, v4
	s_nop 1
	v_mov_b32_dpp v33, v4 row_shr:1 row_mask:0xf bank_mask:0xf
	v_cndmask_b32_e64 v33, v33, 0, s[0:1]
	v_add_u32_e32 v4, v33, v4
	s_nop 1
	v_mov_b32_dpp v33, v4 row_shr:2 row_mask:0xf bank_mask:0xf
	v_cndmask_b32_e64 v33, 0, v33, s[2:3]
	v_add_u32_e32 v4, v4, v33
	;; [unrolled: 4-line block ×4, first 2 shown]
	s_nop 1
	v_mov_b32_dpp v33, v4 row_bcast:15 row_mask:0xf bank_mask:0xf
	v_cndmask_b32_e64 v33, v33, 0, s[8:9]
	v_add_u32_e32 v4, v4, v33
	s_nop 1
	v_mov_b32_dpp v33, v4 row_bcast:31 row_mask:0xf bank_mask:0xf
	v_cndmask_b32_e64 v33, 0, v33, s[10:11]
	v_add_u32_e32 v4, v4, v33
	s_and_saveexec_b64 s[24:25], s[12:13]
; %bb.11:                               ;   in Loop: Header=BB10_4 Depth=2
	ds_write_b32 v15, v4
; %bb.12:                               ;   in Loop: Header=BB10_4 Depth=2
	s_or_b64 exec, exec, s[24:25]
	s_waitcnt lgkmcnt(0)
	s_barrier
	s_and_saveexec_b64 s[24:25], s[14:15]
	s_cbranch_execz .LBB10_14
; %bb.13:                               ;   in Loop: Header=BB10_4 Depth=2
	ds_read_b32 v33, v16
	s_waitcnt lgkmcnt(0)
	s_nop 0
	v_mov_b32_dpp v34, v33 row_shr:1 row_mask:0xf bank_mask:0xf
	v_cndmask_b32_e64 v34, v34, 0, s[22:23]
	v_add_u32_e32 v33, v34, v33
	ds_write_b32 v16, v33
.LBB10_14:                              ;   in Loop: Header=BB10_4 Depth=2
	s_or_b64 exec, exec, s[24:25]
	v_mov_b32_e32 v33, 0
	s_waitcnt lgkmcnt(0)
	s_barrier
	s_and_saveexec_b64 s[24:25], s[16:17]
; %bb.15:                               ;   in Loop: Header=BB10_4 Depth=2
	ds_read_b32 v33, v17
; %bb.16:                               ;   in Loop: Header=BB10_4 Depth=2
	s_or_b64 exec, exec, s[24:25]
	s_waitcnt lgkmcnt(0)
	v_add_u32_e32 v4, v33, v4
	ds_bpermute_b32 v4, v14, v4
	v_cmp_lt_u32_e32 vcc, 23, v24
	s_and_b64 vcc, exec, vcc
	s_mov_b64 s[24:25], -1
	s_waitcnt lgkmcnt(0)
	v_cndmask_b32_e64 v4, v4, v33, s[18:19]
	v_cndmask_b32_e64 v33, v4, 0, s[20:21]
	v_add_u32_e32 v34, v33, v1
	v_add_u32_e32 v1, v34, v2
	;; [unrolled: 1-line block ×3, first 2 shown]
	ds_write2_b64 v13, v[33:34], v[1:2] offset0:1 offset1:2
	s_waitcnt lgkmcnt(0)
	s_barrier
	ds_read_b32 v1, v27 offset:8
	ds_read_b32 v2, v29 offset:8
	;; [unrolled: 1-line block ×3, first 2 shown]
	s_waitcnt lgkmcnt(2)
	v_add_u32_e32 v26, v1, v26
	s_waitcnt lgkmcnt(1)
	v_add3_u32 v4, v30, v28, v2
	s_waitcnt lgkmcnt(0)
	v_add3_u32 v3, v6, v31, v3
                                        ; implicit-def: $vgpr6
                                        ; implicit-def: $vgpr2
	s_cbranch_vccnz .LBB10_3
; %bb.17:                               ;   in Loop: Header=BB10_4 Depth=2
	v_lshlrev_b32_e32 v1, 2, v26
	s_barrier
	ds_write_b32 v1, v25
	v_lshlrev_b32_e32 v1, 2, v4
	ds_write_b32 v1, v23
	v_lshlrev_b32_e32 v1, 2, v3
	ds_write_b32 v1, v22
	s_waitcnt lgkmcnt(0)
	s_barrier
	ds_read2st64_b32 v[1:2], v19 offset1:1
	ds_read_b32 v6, v19 offset:512
	v_add_u32_e32 v24, 8, v24
	s_mov_b64 s[24:25], 0
	s_waitcnt lgkmcnt(0)
	s_barrier
	s_branch .LBB10_3
.LBB10_18:
	s_add_u32 s0, s26, s30
	s_addc_u32 s1, s27, s31
	v_lshlrev_b32_e32 v0, 2, v0
	global_store_dword v0, v3, s[0:1]
	global_store_dword v0, v4, s[0:1] offset:512
	global_store_dword v0, v6, s[0:1] offset:1024
	s_endpgm
	.section	.rodata,"a",@progbits
	.p2align	6, 0x0
	.amdhsa_kernel _Z16sort_keys_kernelI22helper_blocked_blockediLj128ELj3ELj10EEvPKT0_PS1_
		.amdhsa_group_segment_fixed_size 2064
		.amdhsa_private_segment_fixed_size 0
		.amdhsa_kernarg_size 272
		.amdhsa_user_sgpr_count 6
		.amdhsa_user_sgpr_private_segment_buffer 1
		.amdhsa_user_sgpr_dispatch_ptr 0
		.amdhsa_user_sgpr_queue_ptr 0
		.amdhsa_user_sgpr_kernarg_segment_ptr 1
		.amdhsa_user_sgpr_dispatch_id 0
		.amdhsa_user_sgpr_flat_scratch_init 0
		.amdhsa_user_sgpr_private_segment_size 0
		.amdhsa_uses_dynamic_stack 0
		.amdhsa_system_sgpr_private_segment_wavefront_offset 0
		.amdhsa_system_sgpr_workgroup_id_x 1
		.amdhsa_system_sgpr_workgroup_id_y 0
		.amdhsa_system_sgpr_workgroup_id_z 0
		.amdhsa_system_sgpr_workgroup_info 0
		.amdhsa_system_vgpr_workitem_id 2
		.amdhsa_next_free_vgpr 35
		.amdhsa_next_free_sgpr 61
		.amdhsa_reserve_vcc 1
		.amdhsa_reserve_flat_scratch 0
		.amdhsa_float_round_mode_32 0
		.amdhsa_float_round_mode_16_64 0
		.amdhsa_float_denorm_mode_32 3
		.amdhsa_float_denorm_mode_16_64 3
		.amdhsa_dx10_clamp 1
		.amdhsa_ieee_mode 1
		.amdhsa_fp16_overflow 0
		.amdhsa_exception_fp_ieee_invalid_op 0
		.amdhsa_exception_fp_denorm_src 0
		.amdhsa_exception_fp_ieee_div_zero 0
		.amdhsa_exception_fp_ieee_overflow 0
		.amdhsa_exception_fp_ieee_underflow 0
		.amdhsa_exception_fp_ieee_inexact 0
		.amdhsa_exception_int_div_zero 0
	.end_amdhsa_kernel
	.section	.text._Z16sort_keys_kernelI22helper_blocked_blockediLj128ELj3ELj10EEvPKT0_PS1_,"axG",@progbits,_Z16sort_keys_kernelI22helper_blocked_blockediLj128ELj3ELj10EEvPKT0_PS1_,comdat
.Lfunc_end10:
	.size	_Z16sort_keys_kernelI22helper_blocked_blockediLj128ELj3ELj10EEvPKT0_PS1_, .Lfunc_end10-_Z16sort_keys_kernelI22helper_blocked_blockediLj128ELj3ELj10EEvPKT0_PS1_
                                        ; -- End function
	.set _Z16sort_keys_kernelI22helper_blocked_blockediLj128ELj3ELj10EEvPKT0_PS1_.num_vgpr, 35
	.set _Z16sort_keys_kernelI22helper_blocked_blockediLj128ELj3ELj10EEvPKT0_PS1_.num_agpr, 0
	.set _Z16sort_keys_kernelI22helper_blocked_blockediLj128ELj3ELj10EEvPKT0_PS1_.numbered_sgpr, 36
	.set _Z16sort_keys_kernelI22helper_blocked_blockediLj128ELj3ELj10EEvPKT0_PS1_.num_named_barrier, 0
	.set _Z16sort_keys_kernelI22helper_blocked_blockediLj128ELj3ELj10EEvPKT0_PS1_.private_seg_size, 0
	.set _Z16sort_keys_kernelI22helper_blocked_blockediLj128ELj3ELj10EEvPKT0_PS1_.uses_vcc, 1
	.set _Z16sort_keys_kernelI22helper_blocked_blockediLj128ELj3ELj10EEvPKT0_PS1_.uses_flat_scratch, 0
	.set _Z16sort_keys_kernelI22helper_blocked_blockediLj128ELj3ELj10EEvPKT0_PS1_.has_dyn_sized_stack, 0
	.set _Z16sort_keys_kernelI22helper_blocked_blockediLj128ELj3ELj10EEvPKT0_PS1_.has_recursion, 0
	.set _Z16sort_keys_kernelI22helper_blocked_blockediLj128ELj3ELj10EEvPKT0_PS1_.has_indirect_call, 0
	.section	.AMDGPU.csdata,"",@progbits
; Kernel info:
; codeLenInByte = 2204
; TotalNumSgprs: 40
; NumVgprs: 35
; ScratchSize: 0
; MemoryBound: 0
; FloatMode: 240
; IeeeMode: 1
; LDSByteSize: 2064 bytes/workgroup (compile time only)
; SGPRBlocks: 8
; VGPRBlocks: 8
; NumSGPRsForWavesPerEU: 65
; NumVGPRsForWavesPerEU: 35
; Occupancy: 7
; WaveLimiterHint : 1
; COMPUTE_PGM_RSRC2:SCRATCH_EN: 0
; COMPUTE_PGM_RSRC2:USER_SGPR: 6
; COMPUTE_PGM_RSRC2:TRAP_HANDLER: 0
; COMPUTE_PGM_RSRC2:TGID_X_EN: 1
; COMPUTE_PGM_RSRC2:TGID_Y_EN: 0
; COMPUTE_PGM_RSRC2:TGID_Z_EN: 0
; COMPUTE_PGM_RSRC2:TIDIG_COMP_CNT: 2
	.section	.text._Z17sort_pairs_kernelI22helper_blocked_blockediLj128ELj3ELj10EEvPKT0_PS1_,"axG",@progbits,_Z17sort_pairs_kernelI22helper_blocked_blockediLj128ELj3ELj10EEvPKT0_PS1_,comdat
	.protected	_Z17sort_pairs_kernelI22helper_blocked_blockediLj128ELj3ELj10EEvPKT0_PS1_ ; -- Begin function _Z17sort_pairs_kernelI22helper_blocked_blockediLj128ELj3ELj10EEvPKT0_PS1_
	.globl	_Z17sort_pairs_kernelI22helper_blocked_blockediLj128ELj3ELj10EEvPKT0_PS1_
	.p2align	8
	.type	_Z17sort_pairs_kernelI22helper_blocked_blockediLj128ELj3ELj10EEvPKT0_PS1_,@function
_Z17sort_pairs_kernelI22helper_blocked_blockediLj128ELj3ELj10EEvPKT0_PS1_: ; @_Z17sort_pairs_kernelI22helper_blocked_blockediLj128ELj3ELj10EEvPKT0_PS1_
; %bb.0:
	s_load_dwordx4 s[24:27], s[4:5], 0x0
	s_load_dword s33, s[4:5], 0x1c
	s_mul_i32 s30, s6, 0x180
	s_mov_b32 s31, 0
	s_lshl_b64 s[28:29], s[30:31], 2
	s_waitcnt lgkmcnt(0)
	s_add_u32 s0, s24, s28
	s_addc_u32 s1, s25, s29
	v_lshlrev_b32_e32 v3, 2, v0
	global_load_dword v6, v3, s[0:1]
	global_load_dword v18, v3, s[0:1] offset:512
	global_load_dword v19, v3, s[0:1] offset:1024
	v_mbcnt_lo_u32_b32 v3, -1, 0
	v_mbcnt_hi_u32_b32 v3, -1, v3
	s_lshr_b32 s24, s33, 16
	v_lshrrev_b32_e32 v4, 6, v0
	v_subrev_co_u32_e64 v20, s[8:9], 1, v3
	v_and_b32_e32 v21, 64, v3
	s_and_b32 s25, s33, 0xffff
	v_mad_u32_u24 v1, v2, s24, v1
	v_lshlrev_b32_e32 v8, 4, v0
	v_and_b32_e32 v11, 64, v0
	v_mul_u32_u24_e32 v12, 0xc0, v4
	v_and_b32_e32 v16, 16, v3
	v_cmp_lt_i32_e32 vcc, v20, v21
	v_mad_u32_u24 v1, v1, s25, v0
	v_lshlrev_b32_e32 v13, 3, v0
	v_lshlrev_b32_e32 v15, 2, v3
	v_and_b32_e32 v14, 15, v3
	v_or_b32_e32 v17, 63, v11
	v_lshlrev_b32_e32 v9, 2, v4
	v_mad_i32_i24 v10, v0, -12, v8
	v_and_b32_e32 v4, 1, v3
	v_mul_u32_u24_e32 v22, 12, v11
	v_lshlrev_b32_e32 v23, 2, v12
	v_cmp_eq_u32_e64 s[18:19], 0, v16
	v_cndmask_b32_e32 v16, v20, v3, vcc
	v_lshrrev_b32_e32 v1, 4, v1
	v_mov_b32_e32 v5, 0
	v_mov_b32_e32 v7, 3
	v_cmp_gt_u32_e64 s[0:1], 2, v0
	v_cmp_lt_u32_e64 s[2:3], 63, v0
	v_cmp_eq_u32_e64 s[4:5], 0, v0
	s_mov_b32 s34, s31
	s_mov_b32 s35, s31
	v_cmp_lt_u32_e64 s[6:7], 31, v3
	s_mov_b32 s30, s31
	v_cmp_eq_u32_e64 s[10:11], 0, v14
	v_cmp_lt_u32_e64 s[12:13], 1, v14
	v_cmp_lt_u32_e64 s[14:15], 3, v14
	;; [unrolled: 1-line block ×3, first 2 shown]
	v_cmp_eq_u32_e64 s[20:21], v0, v17
	v_cmp_eq_u32_e64 s[22:23], 0, v4
	v_add_u32_e32 v11, -4, v9
	v_add_u32_e32 v12, v15, v22
	v_add_u32_e32 v13, v10, v13
	v_mad_u32_u24 v14, v3, 12, v23
	v_add_u32_e32 v15, v15, v23
	v_lshlrev_b32_e32 v16, 2, v16
	v_and_b32_e32 v17, 0xffffffc, v1
	s_mov_b32 s33, s31
	s_waitcnt vmcnt(2)
	v_add_u32_e32 v3, 1, v6
	s_waitcnt vmcnt(1)
	v_add_u32_e32 v4, 1, v18
	;; [unrolled: 2-line block ×3, first 2 shown]
	s_branch .LBB11_2
.LBB11_1:                               ;   in Loop: Header=BB11_2 Depth=1
	v_lshlrev_b32_e32 v3, 2, v26
	v_lshlrev_b32_e32 v4, 2, v25
	v_lshlrev_b32_e32 v6, 2, v6
	s_barrier
	ds_write_b32 v3, v24
	ds_write_b32 v4, v23
	;; [unrolled: 1-line block ×3, first 2 shown]
	s_waitcnt lgkmcnt(0)
	s_barrier
	ds_read2_b32 v[1:2], v13 offset1:1
	ds_read_b32 v21, v13 offset:8
	s_waitcnt lgkmcnt(0)
	s_barrier
	ds_write_b32 v3, v20
	ds_write_b32 v4, v19
	;; [unrolled: 1-line block ×3, first 2 shown]
	s_waitcnt lgkmcnt(0)
	s_barrier
	ds_read2_b32 v[3:4], v13 offset1:1
	ds_read_b32 v20, v13 offset:8
	s_add_i32 s33, s33, 1
	v_xor_b32_e32 v6, 0x80000000, v1
	v_xor_b32_e32 v18, 0x80000000, v2
	s_cmp_eq_u32 s33, 10
	v_xor_b32_e32 v19, 0x80000000, v21
	s_cbranch_scc1 .LBB11_18
.LBB11_2:                               ; =>This Loop Header: Depth=1
                                        ;     Child Loop BB11_4 Depth 2
	v_xor_b32_e32 v1, 0x80000000, v6
	v_xor_b32_e32 v2, 0x80000000, v18
	;; [unrolled: 1-line block ×3, first 2 shown]
	ds_write2_b32 v14, v1, v2 offset1:1
	ds_write_b32 v14, v6 offset:8
	; wave barrier
	ds_read2st64_b32 v[1:2], v15 offset1:1
	ds_read_b32 v27, v15 offset:512
	; wave barrier
	s_waitcnt lgkmcnt(5)
	ds_write2_b32 v14, v3, v4 offset1:1
	s_waitcnt lgkmcnt(5)
	ds_write_b32 v14, v20 offset:8
	; wave barrier
	ds_read2st64_b32 v[3:4], v15 offset1:1
	ds_read_b32 v28, v15 offset:512
	v_mov_b32_e32 v22, v5
	s_waitcnt lgkmcnt(0)
	s_barrier
	s_branch .LBB11_4
.LBB11_3:                               ;   in Loop: Header=BB11_4 Depth=2
	s_andn2_b64 vcc, exec, s[24:25]
	s_cbranch_vccz .LBB11_1
.LBB11_4:                               ;   Parent Loop BB11_2 Depth=1
                                        ; =>  This Inner Loop Header: Depth=2
	v_mov_b32_e32 v23, v2
	v_mov_b32_e32 v24, v1
	v_mov_b32_e32 v19, v4
	v_mov_b32_e32 v20, v3
	v_mov_b32_e32 v1, s30
	v_mov_b32_e32 v3, s34
	v_mov_b32_e32 v2, s31
	v_mov_b32_e32 v4, s35
	ds_write2_b64 v8, v[1:2], v[3:4] offset0:1 offset1:2
	v_lshrrev_b32_e32 v1, v22, v24
	v_and_b32_e32 v2, 1, v1
	v_add_co_u32_e32 v4, vcc, -1, v2
	v_addc_co_u32_e64 v6, s[24:25], 0, -1, vcc
	v_cmp_ne_u32_e32 vcc, 0, v2
	v_xor_b32_e32 v2, vcc_hi, v6
	v_lshlrev_b32_e32 v6, 30, v1
	v_xor_b32_e32 v4, vcc_lo, v4
	v_cmp_gt_i64_e32 vcc, 0, v[5:6]
	v_not_b32_e32 v6, v6
	v_ashrrev_i32_e32 v6, 31, v6
	v_and_b32_e32 v4, exec_lo, v4
	v_xor_b32_e32 v25, vcc_hi, v6
	v_xor_b32_e32 v6, vcc_lo, v6
	v_and_b32_e32 v4, v4, v6
	v_lshlrev_b32_e32 v6, 29, v1
	v_cmp_gt_i64_e32 vcc, 0, v[5:6]
	v_not_b32_e32 v6, v6
	v_and_b32_e32 v2, exec_hi, v2
	v_ashrrev_i32_e32 v6, 31, v6
	v_and_b32_e32 v2, v2, v25
	v_xor_b32_e32 v25, vcc_hi, v6
	v_xor_b32_e32 v6, vcc_lo, v6
	v_and_b32_e32 v4, v4, v6
	v_lshlrev_b32_e32 v6, 28, v1
	v_cmp_gt_i64_e32 vcc, 0, v[5:6]
	v_not_b32_e32 v6, v6
	v_ashrrev_i32_e32 v6, 31, v6
	v_and_b32_e32 v2, v2, v25
	v_xor_b32_e32 v25, vcc_hi, v6
	v_xor_b32_e32 v6, vcc_lo, v6
	v_and_b32_e32 v4, v4, v6
	v_lshlrev_b32_e32 v6, 27, v1
	v_cmp_gt_i64_e32 vcc, 0, v[5:6]
	v_not_b32_e32 v6, v6
	;; [unrolled: 8-line block ×4, first 2 shown]
	v_ashrrev_i32_e32 v6, 31, v6
	v_and_b32_e32 v2, v2, v25
	v_xor_b32_e32 v25, vcc_hi, v6
	v_xor_b32_e32 v6, vcc_lo, v6
	v_and_b32_e32 v4, v4, v6
	v_lshlrev_b32_e32 v6, 24, v1
	v_lshlrev_b32_sdwa v3, v7, v1 dst_sel:DWORD dst_unused:UNUSED_PAD src0_sel:DWORD src1_sel:BYTE_0
	v_cmp_gt_i64_e32 vcc, 0, v[5:6]
	v_not_b32_e32 v1, v6
	v_ashrrev_i32_e32 v1, 31, v1
	v_xor_b32_e32 v6, vcc_hi, v1
	v_xor_b32_e32 v1, vcc_lo, v1
	v_and_b32_e32 v2, v2, v25
	v_and_b32_e32 v1, v4, v1
	;; [unrolled: 1-line block ×3, first 2 shown]
	v_mbcnt_lo_u32_b32 v4, v1, 0
	v_mbcnt_hi_u32_b32 v25, v2, v4
	v_cmp_ne_u64_e32 vcc, 0, v[1:2]
	v_cmp_eq_u32_e64 s[24:25], 0, v25
	v_mov_b32_e32 v21, v27
	v_mov_b32_e32 v18, v28
	s_and_b64 s[36:37], vcc, s[24:25]
	v_add_u32_e32 v26, v17, v3
	s_waitcnt lgkmcnt(0)
	s_barrier
	; wave barrier
	s_and_saveexec_b64 s[24:25], s[36:37]
; %bb.5:                                ;   in Loop: Header=BB11_4 Depth=2
	v_bcnt_u32_b32 v1, v1, 0
	v_bcnt_u32_b32 v1, v2, v1
	ds_write_b32 v26, v1 offset:8
; %bb.6:                                ;   in Loop: Header=BB11_4 Depth=2
	s_or_b64 exec, exec, s[24:25]
	v_lshrrev_b32_e32 v1, v22, v23
	v_lshlrev_b32_sdwa v2, v7, v1 dst_sel:DWORD dst_unused:UNUSED_PAD src0_sel:DWORD src1_sel:BYTE_0
	v_add_u32_e32 v28, v17, v2
	v_and_b32_e32 v2, 1, v1
	v_add_co_u32_e32 v3, vcc, -1, v2
	v_addc_co_u32_e64 v4, s[24:25], 0, -1, vcc
	v_cmp_ne_u32_e32 vcc, 0, v2
	v_lshlrev_b32_e32 v6, 30, v1
	v_xor_b32_e32 v2, vcc_hi, v4
	v_xor_b32_e32 v3, vcc_lo, v3
	v_cmp_gt_i64_e32 vcc, 0, v[5:6]
	v_not_b32_e32 v4, v6
	v_ashrrev_i32_e32 v4, 31, v4
	v_and_b32_e32 v2, exec_hi, v2
	v_xor_b32_e32 v6, vcc_hi, v4
	v_and_b32_e32 v3, exec_lo, v3
	v_xor_b32_e32 v4, vcc_lo, v4
	v_and_b32_e32 v2, v2, v6
	v_lshlrev_b32_e32 v6, 29, v1
	v_and_b32_e32 v3, v3, v4
	v_cmp_gt_i64_e32 vcc, 0, v[5:6]
	v_not_b32_e32 v4, v6
	v_ashrrev_i32_e32 v4, 31, v4
	v_xor_b32_e32 v6, vcc_hi, v4
	v_xor_b32_e32 v4, vcc_lo, v4
	v_and_b32_e32 v2, v2, v6
	v_lshlrev_b32_e32 v6, 28, v1
	v_and_b32_e32 v3, v3, v4
	v_cmp_gt_i64_e32 vcc, 0, v[5:6]
	v_not_b32_e32 v4, v6
	v_ashrrev_i32_e32 v4, 31, v4
	v_xor_b32_e32 v6, vcc_hi, v4
	;; [unrolled: 8-line block ×5, first 2 shown]
	v_and_b32_e32 v2, v2, v6
	v_lshlrev_b32_e32 v6, 24, v1
	v_xor_b32_e32 v4, vcc_lo, v4
	v_cmp_gt_i64_e32 vcc, 0, v[5:6]
	v_not_b32_e32 v1, v6
	v_ashrrev_i32_e32 v1, 31, v1
	v_and_b32_e32 v3, v3, v4
	v_xor_b32_e32 v4, vcc_hi, v1
	v_xor_b32_e32 v1, vcc_lo, v1
	; wave barrier
	ds_read_b32 v27, v28 offset:8
	v_and_b32_e32 v1, v3, v1
	v_and_b32_e32 v2, v2, v4
	v_mbcnt_lo_u32_b32 v3, v1, 0
	v_mbcnt_hi_u32_b32 v29, v2, v3
	v_cmp_ne_u64_e32 vcc, 0, v[1:2]
	v_cmp_eq_u32_e64 s[24:25], 0, v29
	s_and_b64 s[36:37], vcc, s[24:25]
	; wave barrier
	s_and_saveexec_b64 s[24:25], s[36:37]
	s_cbranch_execz .LBB11_8
; %bb.7:                                ;   in Loop: Header=BB11_4 Depth=2
	v_bcnt_u32_b32 v1, v1, 0
	v_bcnt_u32_b32 v1, v2, v1
	s_waitcnt lgkmcnt(0)
	v_add_u32_e32 v1, v27, v1
	ds_write_b32 v28, v1 offset:8
.LBB11_8:                               ;   in Loop: Header=BB11_4 Depth=2
	s_or_b64 exec, exec, s[24:25]
	v_lshrrev_b32_e32 v1, v22, v21
	v_lshlrev_b32_sdwa v2, v7, v1 dst_sel:DWORD dst_unused:UNUSED_PAD src0_sel:DWORD src1_sel:BYTE_0
	v_add_u32_e32 v31, v17, v2
	v_and_b32_e32 v2, 1, v1
	v_add_co_u32_e32 v3, vcc, -1, v2
	v_addc_co_u32_e64 v4, s[24:25], 0, -1, vcc
	v_cmp_ne_u32_e32 vcc, 0, v2
	v_lshlrev_b32_e32 v6, 30, v1
	v_xor_b32_e32 v2, vcc_hi, v4
	v_xor_b32_e32 v3, vcc_lo, v3
	v_cmp_gt_i64_e32 vcc, 0, v[5:6]
	v_not_b32_e32 v4, v6
	v_ashrrev_i32_e32 v4, 31, v4
	v_and_b32_e32 v2, exec_hi, v2
	v_xor_b32_e32 v6, vcc_hi, v4
	v_and_b32_e32 v3, exec_lo, v3
	v_xor_b32_e32 v4, vcc_lo, v4
	v_and_b32_e32 v2, v2, v6
	v_lshlrev_b32_e32 v6, 29, v1
	v_and_b32_e32 v3, v3, v4
	v_cmp_gt_i64_e32 vcc, 0, v[5:6]
	v_not_b32_e32 v4, v6
	v_ashrrev_i32_e32 v4, 31, v4
	v_xor_b32_e32 v6, vcc_hi, v4
	v_xor_b32_e32 v4, vcc_lo, v4
	v_and_b32_e32 v2, v2, v6
	v_lshlrev_b32_e32 v6, 28, v1
	v_and_b32_e32 v3, v3, v4
	v_cmp_gt_i64_e32 vcc, 0, v[5:6]
	v_not_b32_e32 v4, v6
	v_ashrrev_i32_e32 v4, 31, v4
	v_xor_b32_e32 v6, vcc_hi, v4
	;; [unrolled: 8-line block ×5, first 2 shown]
	v_and_b32_e32 v2, v2, v6
	v_lshlrev_b32_e32 v6, 24, v1
	v_xor_b32_e32 v4, vcc_lo, v4
	v_cmp_gt_i64_e32 vcc, 0, v[5:6]
	v_not_b32_e32 v1, v6
	v_ashrrev_i32_e32 v1, 31, v1
	v_and_b32_e32 v3, v3, v4
	v_xor_b32_e32 v4, vcc_hi, v1
	v_xor_b32_e32 v1, vcc_lo, v1
	; wave barrier
	ds_read_b32 v30, v31 offset:8
	v_and_b32_e32 v1, v3, v1
	v_and_b32_e32 v2, v2, v4
	v_mbcnt_lo_u32_b32 v3, v1, 0
	v_mbcnt_hi_u32_b32 v6, v2, v3
	v_cmp_ne_u64_e32 vcc, 0, v[1:2]
	v_cmp_eq_u32_e64 s[24:25], 0, v6
	s_and_b64 s[36:37], vcc, s[24:25]
	; wave barrier
	s_and_saveexec_b64 s[24:25], s[36:37]
	s_cbranch_execz .LBB11_10
; %bb.9:                                ;   in Loop: Header=BB11_4 Depth=2
	v_bcnt_u32_b32 v1, v1, 0
	v_bcnt_u32_b32 v1, v2, v1
	s_waitcnt lgkmcnt(0)
	v_add_u32_e32 v1, v30, v1
	ds_write_b32 v31, v1 offset:8
.LBB11_10:                              ;   in Loop: Header=BB11_4 Depth=2
	s_or_b64 exec, exec, s[24:25]
	; wave barrier
	s_waitcnt lgkmcnt(0)
	s_barrier
	ds_read2_b64 v[1:4], v8 offset0:1 offset1:2
	s_waitcnt lgkmcnt(0)
	v_add_u32_e32 v32, v2, v1
	v_add3_u32 v4, v32, v3, v4
	s_nop 1
	v_mov_b32_dpp v32, v4 row_shr:1 row_mask:0xf bank_mask:0xf
	v_cndmask_b32_e64 v32, v32, 0, s[10:11]
	v_add_u32_e32 v4, v32, v4
	s_nop 1
	v_mov_b32_dpp v32, v4 row_shr:2 row_mask:0xf bank_mask:0xf
	v_cndmask_b32_e64 v32, 0, v32, s[12:13]
	v_add_u32_e32 v4, v4, v32
	;; [unrolled: 4-line block ×4, first 2 shown]
	s_nop 1
	v_mov_b32_dpp v32, v4 row_bcast:15 row_mask:0xf bank_mask:0xf
	v_cndmask_b32_e64 v32, v32, 0, s[18:19]
	v_add_u32_e32 v4, v4, v32
	s_nop 1
	v_mov_b32_dpp v32, v4 row_bcast:31 row_mask:0xf bank_mask:0xf
	v_cndmask_b32_e64 v32, 0, v32, s[6:7]
	v_add_u32_e32 v4, v4, v32
	s_and_saveexec_b64 s[24:25], s[20:21]
; %bb.11:                               ;   in Loop: Header=BB11_4 Depth=2
	ds_write_b32 v9, v4
; %bb.12:                               ;   in Loop: Header=BB11_4 Depth=2
	s_or_b64 exec, exec, s[24:25]
	s_waitcnt lgkmcnt(0)
	s_barrier
	s_and_saveexec_b64 s[24:25], s[0:1]
	s_cbranch_execz .LBB11_14
; %bb.13:                               ;   in Loop: Header=BB11_4 Depth=2
	ds_read_b32 v32, v10
	s_waitcnt lgkmcnt(0)
	s_nop 0
	v_mov_b32_dpp v33, v32 row_shr:1 row_mask:0xf bank_mask:0xf
	v_cndmask_b32_e64 v33, v33, 0, s[22:23]
	v_add_u32_e32 v32, v33, v32
	ds_write_b32 v10, v32
.LBB11_14:                              ;   in Loop: Header=BB11_4 Depth=2
	s_or_b64 exec, exec, s[24:25]
	v_mov_b32_e32 v32, 0
	s_waitcnt lgkmcnt(0)
	s_barrier
	s_and_saveexec_b64 s[24:25], s[2:3]
; %bb.15:                               ;   in Loop: Header=BB11_4 Depth=2
	ds_read_b32 v32, v11
; %bb.16:                               ;   in Loop: Header=BB11_4 Depth=2
	s_or_b64 exec, exec, s[24:25]
	s_waitcnt lgkmcnt(0)
	v_add_u32_e32 v4, v32, v4
	ds_bpermute_b32 v4, v16, v4
	v_cmp_lt_u32_e32 vcc, 23, v22
	s_and_b64 vcc, exec, vcc
	s_mov_b64 s[24:25], -1
	s_waitcnt lgkmcnt(0)
	v_cndmask_b32_e64 v4, v4, v32, s[8:9]
	v_cndmask_b32_e64 v32, v4, 0, s[4:5]
	v_add_u32_e32 v33, v32, v1
	v_add_u32_e32 v1, v33, v2
	;; [unrolled: 1-line block ×3, first 2 shown]
	ds_write2_b64 v8, v[32:33], v[1:2] offset0:1 offset1:2
	s_waitcnt lgkmcnt(0)
	s_barrier
	ds_read_b32 v1, v26 offset:8
	ds_read_b32 v2, v28 offset:8
	;; [unrolled: 1-line block ×3, first 2 shown]
                                        ; implicit-def: $vgpr28
	s_waitcnt lgkmcnt(2)
	v_add_u32_e32 v26, v1, v25
	s_waitcnt lgkmcnt(1)
	v_add3_u32 v25, v29, v27, v2
	s_waitcnt lgkmcnt(0)
	v_add3_u32 v6, v6, v30, v3
                                        ; implicit-def: $vgpr27
                                        ; implicit-def: $vgpr2
                                        ; implicit-def: $vgpr4
	s_cbranch_vccnz .LBB11_3
; %bb.17:                               ;   in Loop: Header=BB11_4 Depth=2
	v_lshlrev_b32_e32 v3, 2, v26
	v_lshlrev_b32_e32 v4, 2, v25
	;; [unrolled: 1-line block ×3, first 2 shown]
	s_barrier
	ds_write_b32 v3, v24
	ds_write_b32 v4, v23
	;; [unrolled: 1-line block ×3, first 2 shown]
	s_waitcnt lgkmcnt(0)
	s_barrier
	ds_read2st64_b32 v[1:2], v12 offset1:1
	ds_read_b32 v27, v12 offset:512
	s_waitcnt lgkmcnt(0)
	s_barrier
	ds_write_b32 v3, v20
	ds_write_b32 v4, v19
	;; [unrolled: 1-line block ×3, first 2 shown]
	s_waitcnt lgkmcnt(0)
	s_barrier
	ds_read2st64_b32 v[3:4], v12 offset1:1
	ds_read_b32 v28, v12 offset:512
	v_add_u32_e32 v22, 8, v22
	s_mov_b64 s[24:25], 0
	s_waitcnt lgkmcnt(0)
	s_barrier
	s_branch .LBB11_3
.LBB11_18:
	s_add_u32 s0, s26, s28
	s_waitcnt lgkmcnt(1)
	v_add_u32_e32 v1, v6, v3
	s_addc_u32 s1, s27, s29
	v_lshlrev_b32_e32 v0, 2, v0
	v_add_u32_e32 v2, v18, v4
	s_waitcnt lgkmcnt(0)
	v_add_u32_e32 v3, v19, v20
	global_store_dword v0, v1, s[0:1]
	global_store_dword v0, v2, s[0:1] offset:512
	global_store_dword v0, v3, s[0:1] offset:1024
	s_endpgm
	.section	.rodata,"a",@progbits
	.p2align	6, 0x0
	.amdhsa_kernel _Z17sort_pairs_kernelI22helper_blocked_blockediLj128ELj3ELj10EEvPKT0_PS1_
		.amdhsa_group_segment_fixed_size 2064
		.amdhsa_private_segment_fixed_size 0
		.amdhsa_kernarg_size 272
		.amdhsa_user_sgpr_count 6
		.amdhsa_user_sgpr_private_segment_buffer 1
		.amdhsa_user_sgpr_dispatch_ptr 0
		.amdhsa_user_sgpr_queue_ptr 0
		.amdhsa_user_sgpr_kernarg_segment_ptr 1
		.amdhsa_user_sgpr_dispatch_id 0
		.amdhsa_user_sgpr_flat_scratch_init 0
		.amdhsa_user_sgpr_private_segment_size 0
		.amdhsa_uses_dynamic_stack 0
		.amdhsa_system_sgpr_private_segment_wavefront_offset 0
		.amdhsa_system_sgpr_workgroup_id_x 1
		.amdhsa_system_sgpr_workgroup_id_y 0
		.amdhsa_system_sgpr_workgroup_id_z 0
		.amdhsa_system_sgpr_workgroup_info 0
		.amdhsa_system_vgpr_workitem_id 2
		.amdhsa_next_free_vgpr 34
		.amdhsa_next_free_sgpr 61
		.amdhsa_reserve_vcc 1
		.amdhsa_reserve_flat_scratch 0
		.amdhsa_float_round_mode_32 0
		.amdhsa_float_round_mode_16_64 0
		.amdhsa_float_denorm_mode_32 3
		.amdhsa_float_denorm_mode_16_64 3
		.amdhsa_dx10_clamp 1
		.amdhsa_ieee_mode 1
		.amdhsa_fp16_overflow 0
		.amdhsa_exception_fp_ieee_invalid_op 0
		.amdhsa_exception_fp_denorm_src 0
		.amdhsa_exception_fp_ieee_div_zero 0
		.amdhsa_exception_fp_ieee_overflow 0
		.amdhsa_exception_fp_ieee_underflow 0
		.amdhsa_exception_fp_ieee_inexact 0
		.amdhsa_exception_int_div_zero 0
	.end_amdhsa_kernel
	.section	.text._Z17sort_pairs_kernelI22helper_blocked_blockediLj128ELj3ELj10EEvPKT0_PS1_,"axG",@progbits,_Z17sort_pairs_kernelI22helper_blocked_blockediLj128ELj3ELj10EEvPKT0_PS1_,comdat
.Lfunc_end11:
	.size	_Z17sort_pairs_kernelI22helper_blocked_blockediLj128ELj3ELj10EEvPKT0_PS1_, .Lfunc_end11-_Z17sort_pairs_kernelI22helper_blocked_blockediLj128ELj3ELj10EEvPKT0_PS1_
                                        ; -- End function
	.set _Z17sort_pairs_kernelI22helper_blocked_blockediLj128ELj3ELj10EEvPKT0_PS1_.num_vgpr, 34
	.set _Z17sort_pairs_kernelI22helper_blocked_blockediLj128ELj3ELj10EEvPKT0_PS1_.num_agpr, 0
	.set _Z17sort_pairs_kernelI22helper_blocked_blockediLj128ELj3ELj10EEvPKT0_PS1_.numbered_sgpr, 38
	.set _Z17sort_pairs_kernelI22helper_blocked_blockediLj128ELj3ELj10EEvPKT0_PS1_.num_named_barrier, 0
	.set _Z17sort_pairs_kernelI22helper_blocked_blockediLj128ELj3ELj10EEvPKT0_PS1_.private_seg_size, 0
	.set _Z17sort_pairs_kernelI22helper_blocked_blockediLj128ELj3ELj10EEvPKT0_PS1_.uses_vcc, 1
	.set _Z17sort_pairs_kernelI22helper_blocked_blockediLj128ELj3ELj10EEvPKT0_PS1_.uses_flat_scratch, 0
	.set _Z17sort_pairs_kernelI22helper_blocked_blockediLj128ELj3ELj10EEvPKT0_PS1_.has_dyn_sized_stack, 0
	.set _Z17sort_pairs_kernelI22helper_blocked_blockediLj128ELj3ELj10EEvPKT0_PS1_.has_recursion, 0
	.set _Z17sort_pairs_kernelI22helper_blocked_blockediLj128ELj3ELj10EEvPKT0_PS1_.has_indirect_call, 0
	.section	.AMDGPU.csdata,"",@progbits
; Kernel info:
; codeLenInByte = 2392
; TotalNumSgprs: 42
; NumVgprs: 34
; ScratchSize: 0
; MemoryBound: 0
; FloatMode: 240
; IeeeMode: 1
; LDSByteSize: 2064 bytes/workgroup (compile time only)
; SGPRBlocks: 8
; VGPRBlocks: 8
; NumSGPRsForWavesPerEU: 65
; NumVGPRsForWavesPerEU: 34
; Occupancy: 7
; WaveLimiterHint : 1
; COMPUTE_PGM_RSRC2:SCRATCH_EN: 0
; COMPUTE_PGM_RSRC2:USER_SGPR: 6
; COMPUTE_PGM_RSRC2:TRAP_HANDLER: 0
; COMPUTE_PGM_RSRC2:TGID_X_EN: 1
; COMPUTE_PGM_RSRC2:TGID_Y_EN: 0
; COMPUTE_PGM_RSRC2:TGID_Z_EN: 0
; COMPUTE_PGM_RSRC2:TIDIG_COMP_CNT: 2
	.section	.text._Z16sort_keys_kernelI22helper_blocked_blockediLj128ELj4ELj10EEvPKT0_PS1_,"axG",@progbits,_Z16sort_keys_kernelI22helper_blocked_blockediLj128ELj4ELj10EEvPKT0_PS1_,comdat
	.protected	_Z16sort_keys_kernelI22helper_blocked_blockediLj128ELj4ELj10EEvPKT0_PS1_ ; -- Begin function _Z16sort_keys_kernelI22helper_blocked_blockediLj128ELj4ELj10EEvPKT0_PS1_
	.globl	_Z16sort_keys_kernelI22helper_blocked_blockediLj128ELj4ELj10EEvPKT0_PS1_
	.p2align	8
	.type	_Z16sort_keys_kernelI22helper_blocked_blockediLj128ELj4ELj10EEvPKT0_PS1_,@function
_Z16sort_keys_kernelI22helper_blocked_blockediLj128ELj4ELj10EEvPKT0_PS1_: ; @_Z16sort_keys_kernelI22helper_blocked_blockediLj128ELj4ELj10EEvPKT0_PS1_
; %bb.0:
	s_load_dwordx4 s[36:39], s[4:5], 0x0
	s_load_dword s8, s[4:5], 0x1c
	s_lshl_b32 s40, s6, 9
	s_mov_b32 s41, 0
	s_lshl_b64 s[42:43], s[40:41], 2
	s_waitcnt lgkmcnt(0)
	s_add_u32 s0, s36, s42
	s_addc_u32 s1, s37, s43
	v_lshlrev_b32_e32 v5, 2, v0
	global_load_dword v20, v5, s[0:1]
	global_load_dword v3, v5, s[0:1] offset:512
	global_load_dword v4, v5, s[0:1] offset:1024
	;; [unrolled: 1-line block ×3, first 2 shown]
	v_mbcnt_lo_u32_b32 v7, -1, 0
	v_mbcnt_hi_u32_b32 v16, -1, v7
	s_lshr_b32 s9, s8, 16
	s_and_b32 s8, s8, 0xffff
	v_mad_u32_u24 v1, v2, s9, v1
	v_and_b32_e32 v2, 15, v16
	v_mad_u32_u24 v1, v1, s8, v0
	v_cmp_eq_u32_e64 s[8:9], 0, v2
	v_cmp_lt_u32_e64 s[10:11], 1, v2
	v_cmp_lt_u32_e64 s[12:13], 3, v2
	;; [unrolled: 1-line block ×3, first 2 shown]
	v_and_b32_e32 v2, 16, v16
	v_cmp_eq_u32_e64 s[16:17], 0, v2
	v_or_b32_e32 v2, 63, v0
	v_and_b32_e32 v12, 64, v16
	v_cmp_eq_u32_e64 s[20:21], v0, v2
	v_subrev_co_u32_e64 v2, s[26:27], 1, v16
	v_lshrrev_b32_e32 v10, 2, v16
	v_and_b32_e32 v7, 3, v16
	v_cmp_lt_i32_e32 vcc, v2, v12
	v_cmp_eq_u32_e64 s[0:1], 3, v7
	v_cmp_eq_u32_e64 s[2:3], 2, v7
	;; [unrolled: 1-line block ×4, first 2 shown]
	v_or_b32_e32 v7, v10, v12
	v_add_u32_e32 v10, 48, v10
	v_cndmask_b32_e32 v2, v2, v16, vcc
	v_and_or_b32 v10, v10, 63, v12
	v_lshlrev_b32_e32 v12, 2, v2
	v_lshrrev_b32_e32 v2, 4, v0
	v_lshlrev_b32_e32 v11, 4, v0
	v_and_b32_e32 v13, 4, v2
	v_and_b32_e32 v2, 1, v16
	v_lshrrev_b32_e32 v1, 4, v1
	v_lshlrev_b32_e32 v7, 2, v7
	v_mad_i32_i24 v14, v0, -12, v11
	v_cmp_eq_u32_e64 s[30:31], 0, v2
	v_and_b32_e32 v2, 0x400, v11
	v_and_b32_e32 v17, 0xffffffc, v1
	v_mul_u32_u24_e32 v1, 12, v0
	v_mov_b32_e32 v5, 0
	v_add_u32_e32 v8, 64, v7
	v_or_b32_e32 v9, 0x80, v7
	v_lshlrev_b32_e32 v10, 2, v10
	v_cmp_lt_u32_e64 s[18:19], 31, v16
	v_cmp_gt_u32_e64 s[22:23], 2, v0
	v_cmp_lt_u32_e64 s[24:25], 63, v0
	v_cmp_eq_u32_e64 s[28:29], 0, v0
	v_add_u32_e32 v15, -4, v13
	v_lshl_or_b32 v16, v16, 2, v2
	s_mov_b32 s40, s41
	s_mov_b32 s36, s41
	;; [unrolled: 1-line block ×3, first 2 shown]
	v_add_u32_e32 v18, v14, v1
	v_mov_b32_e32 v19, 3
	s_mov_b32 s33, s41
	s_branch .LBB12_2
.LBB12_1:                               ;   in Loop: Header=BB12_2 Depth=1
	v_lshlrev_b32_e32 v1, 2, v28
	s_barrier
	ds_write_b32 v1, v24
	v_lshlrev_b32_e32 v1, 2, v26
	ds_write_b32 v1, v23
	v_lshlrev_b32_e32 v1, 2, v25
	;; [unrolled: 2-line block ×3, first 2 shown]
	ds_write_b32 v1, v20
	s_waitcnt lgkmcnt(0)
	s_barrier
	ds_read2_b64 v[20:23], v18 offset1:1
	s_add_i32 s33, s33, 1
	s_cmp_eq_u32 s33, 10
	s_waitcnt lgkmcnt(0)
	v_xor_b32_e32 v20, 0x80000000, v20
	v_xor_b32_e32 v3, 0x80000000, v21
	;; [unrolled: 1-line block ×4, first 2 shown]
	s_cbranch_scc1 .LBB12_20
.LBB12_2:                               ; =>This Loop Header: Depth=1
                                        ;     Child Loop BB12_4 Depth 2
	s_waitcnt vmcnt(3)
	v_xor_b32_e32 v20, 0x80000000, v20
	ds_bpermute_b32 v1, v7, v20
	s_waitcnt vmcnt(2)
	v_xor_b32_e32 v3, 0x80000000, v3
	s_waitcnt vmcnt(1)
	v_xor_b32_e32 v4, 0x80000000, v4
	ds_bpermute_b32 v2, v7, v3
	ds_bpermute_b32 v21, v7, v4
	;; [unrolled: 1-line block ×3, first 2 shown]
	s_waitcnt vmcnt(0)
	v_xor_b32_e32 v6, 0x80000000, v6
	ds_bpermute_b32 v22, v7, v6
	s_waitcnt lgkmcnt(4)
	v_cndmask_b32_e64 v1, 0, v1, s[6:7]
	ds_bpermute_b32 v24, v8, v3
	s_waitcnt lgkmcnt(4)
	v_cndmask_b32_e64 v1, v1, v2, s[4:5]
	s_waitcnt lgkmcnt(3)
	v_cndmask_b32_e64 v1, v1, v21, s[2:3]
	;; [unrolled: 2-line block ×3, first 2 shown]
	ds_bpermute_b32 v21, v8, v4
	ds_bpermute_b32 v23, v9, v20
	s_waitcnt lgkmcnt(3)
	v_cndmask_b32_e64 v1, v1, v22, s[0:1]
	ds_bpermute_b32 v22, v8, v6
	s_waitcnt lgkmcnt(3)
	v_cndmask_b32_e64 v2, v2, v24, s[4:5]
	ds_bpermute_b32 v20, v10, v20
	ds_bpermute_b32 v24, v9, v3
	s_waitcnt lgkmcnt(4)
	v_cndmask_b32_e64 v2, v2, v21, s[2:3]
	s_waitcnt lgkmcnt(3)
	v_cndmask_b32_e64 v21, 0, v23, s[6:7]
	ds_bpermute_b32 v23, v10, v3
	ds_bpermute_b32 v25, v9, v4
	;; [unrolled: 1-line block ×3, first 2 shown]
	s_waitcnt lgkmcnt(5)
	v_cndmask_b32_e64 v2, v2, v22, s[0:1]
	ds_bpermute_b32 v22, v9, v6
	ds_bpermute_b32 v6, v10, v6
	s_waitcnt lgkmcnt(6)
	v_cndmask_b32_e64 v20, 0, v20, s[6:7]
	s_waitcnt lgkmcnt(5)
	v_cndmask_b32_e64 v21, v21, v24, s[4:5]
	;; [unrolled: 2-line block ×7, first 2 shown]
	v_mov_b32_e32 v22, v5
	s_barrier
	s_branch .LBB12_4
.LBB12_3:                               ;   in Loop: Header=BB12_4 Depth=2
	s_andn2_b64 vcc, exec, s[34:35]
	s_cbranch_vccz .LBB12_1
.LBB12_4:                               ;   Parent Loop BB12_2 Depth=1
                                        ; =>  This Inner Loop Header: Depth=2
	v_mov_b32_e32 v20, v4
	v_mov_b32_e32 v21, v3
	;; [unrolled: 1-line block ×8, first 2 shown]
	ds_write2_b64 v11, v[1:2], v[3:4] offset0:1 offset1:2
	v_lshrrev_b32_e32 v1, v22, v24
	v_and_b32_e32 v2, 1, v1
	v_add_co_u32_e32 v4, vcc, -1, v2
	v_addc_co_u32_e64 v6, s[34:35], 0, -1, vcc
	v_cmp_ne_u32_e32 vcc, 0, v2
	v_xor_b32_e32 v2, vcc_hi, v6
	v_lshlrev_b32_e32 v6, 30, v1
	v_xor_b32_e32 v4, vcc_lo, v4
	v_cmp_gt_i64_e32 vcc, 0, v[5:6]
	v_not_b32_e32 v6, v6
	v_ashrrev_i32_e32 v6, 31, v6
	v_and_b32_e32 v4, exec_lo, v4
	v_xor_b32_e32 v25, vcc_hi, v6
	v_xor_b32_e32 v6, vcc_lo, v6
	v_and_b32_e32 v4, v4, v6
	v_lshlrev_b32_e32 v6, 29, v1
	v_cmp_gt_i64_e32 vcc, 0, v[5:6]
	v_not_b32_e32 v6, v6
	v_and_b32_e32 v2, exec_hi, v2
	v_ashrrev_i32_e32 v6, 31, v6
	v_and_b32_e32 v2, v2, v25
	v_xor_b32_e32 v25, vcc_hi, v6
	v_xor_b32_e32 v6, vcc_lo, v6
	v_and_b32_e32 v4, v4, v6
	v_lshlrev_b32_e32 v6, 28, v1
	v_cmp_gt_i64_e32 vcc, 0, v[5:6]
	v_not_b32_e32 v6, v6
	v_ashrrev_i32_e32 v6, 31, v6
	v_and_b32_e32 v2, v2, v25
	v_xor_b32_e32 v25, vcc_hi, v6
	v_xor_b32_e32 v6, vcc_lo, v6
	v_and_b32_e32 v4, v4, v6
	v_lshlrev_b32_e32 v6, 27, v1
	v_cmp_gt_i64_e32 vcc, 0, v[5:6]
	v_not_b32_e32 v6, v6
	;; [unrolled: 8-line block ×4, first 2 shown]
	v_ashrrev_i32_e32 v6, 31, v6
	v_and_b32_e32 v2, v2, v25
	v_xor_b32_e32 v25, vcc_hi, v6
	v_xor_b32_e32 v6, vcc_lo, v6
	v_and_b32_e32 v4, v4, v6
	v_lshlrev_b32_e32 v6, 24, v1
	v_lshlrev_b32_sdwa v3, v19, v1 dst_sel:DWORD dst_unused:UNUSED_PAD src0_sel:DWORD src1_sel:BYTE_0
	v_cmp_gt_i64_e32 vcc, 0, v[5:6]
	v_not_b32_e32 v1, v6
	v_ashrrev_i32_e32 v1, 31, v1
	v_xor_b32_e32 v6, vcc_hi, v1
	v_xor_b32_e32 v1, vcc_lo, v1
	v_and_b32_e32 v2, v2, v25
	v_and_b32_e32 v1, v4, v1
	;; [unrolled: 1-line block ×3, first 2 shown]
	v_mbcnt_lo_u32_b32 v4, v1, 0
	v_mbcnt_hi_u32_b32 v25, v2, v4
	v_cmp_ne_u64_e32 vcc, 0, v[1:2]
	v_cmp_eq_u32_e64 s[34:35], 0, v25
	s_and_b64 s[44:45], vcc, s[34:35]
	v_add_u32_e32 v26, v17, v3
	s_waitcnt lgkmcnt(0)
	s_barrier
	; wave barrier
	s_and_saveexec_b64 s[34:35], s[44:45]
; %bb.5:                                ;   in Loop: Header=BB12_4 Depth=2
	v_bcnt_u32_b32 v1, v1, 0
	v_bcnt_u32_b32 v1, v2, v1
	ds_write_b32 v26, v1 offset:8
; %bb.6:                                ;   in Loop: Header=BB12_4 Depth=2
	s_or_b64 exec, exec, s[34:35]
	v_lshrrev_b32_e32 v1, v22, v23
	v_lshlrev_b32_sdwa v2, v19, v1 dst_sel:DWORD dst_unused:UNUSED_PAD src0_sel:DWORD src1_sel:BYTE_0
	v_add_u32_e32 v28, v17, v2
	v_and_b32_e32 v2, 1, v1
	v_add_co_u32_e32 v3, vcc, -1, v2
	v_addc_co_u32_e64 v4, s[34:35], 0, -1, vcc
	v_cmp_ne_u32_e32 vcc, 0, v2
	v_lshlrev_b32_e32 v6, 30, v1
	v_xor_b32_e32 v2, vcc_hi, v4
	v_xor_b32_e32 v3, vcc_lo, v3
	v_cmp_gt_i64_e32 vcc, 0, v[5:6]
	v_not_b32_e32 v4, v6
	v_ashrrev_i32_e32 v4, 31, v4
	v_and_b32_e32 v2, exec_hi, v2
	v_xor_b32_e32 v6, vcc_hi, v4
	v_and_b32_e32 v3, exec_lo, v3
	v_xor_b32_e32 v4, vcc_lo, v4
	v_and_b32_e32 v2, v2, v6
	v_lshlrev_b32_e32 v6, 29, v1
	v_and_b32_e32 v3, v3, v4
	v_cmp_gt_i64_e32 vcc, 0, v[5:6]
	v_not_b32_e32 v4, v6
	v_ashrrev_i32_e32 v4, 31, v4
	v_xor_b32_e32 v6, vcc_hi, v4
	v_xor_b32_e32 v4, vcc_lo, v4
	v_and_b32_e32 v2, v2, v6
	v_lshlrev_b32_e32 v6, 28, v1
	v_and_b32_e32 v3, v3, v4
	v_cmp_gt_i64_e32 vcc, 0, v[5:6]
	v_not_b32_e32 v4, v6
	v_ashrrev_i32_e32 v4, 31, v4
	v_xor_b32_e32 v6, vcc_hi, v4
	;; [unrolled: 8-line block ×5, first 2 shown]
	v_and_b32_e32 v2, v2, v6
	v_lshlrev_b32_e32 v6, 24, v1
	v_xor_b32_e32 v4, vcc_lo, v4
	v_cmp_gt_i64_e32 vcc, 0, v[5:6]
	v_not_b32_e32 v1, v6
	v_ashrrev_i32_e32 v1, 31, v1
	v_and_b32_e32 v3, v3, v4
	v_xor_b32_e32 v4, vcc_hi, v1
	v_xor_b32_e32 v1, vcc_lo, v1
	; wave barrier
	ds_read_b32 v27, v28 offset:8
	v_and_b32_e32 v1, v3, v1
	v_and_b32_e32 v2, v2, v4
	v_mbcnt_lo_u32_b32 v3, v1, 0
	v_mbcnt_hi_u32_b32 v29, v2, v3
	v_cmp_ne_u64_e32 vcc, 0, v[1:2]
	v_cmp_eq_u32_e64 s[34:35], 0, v29
	s_and_b64 s[44:45], vcc, s[34:35]
	; wave barrier
	s_and_saveexec_b64 s[34:35], s[44:45]
	s_cbranch_execz .LBB12_8
; %bb.7:                                ;   in Loop: Header=BB12_4 Depth=2
	v_bcnt_u32_b32 v1, v1, 0
	v_bcnt_u32_b32 v1, v2, v1
	s_waitcnt lgkmcnt(0)
	v_add_u32_e32 v1, v27, v1
	ds_write_b32 v28, v1 offset:8
.LBB12_8:                               ;   in Loop: Header=BB12_4 Depth=2
	s_or_b64 exec, exec, s[34:35]
	v_lshrrev_b32_e32 v1, v22, v21
	v_lshlrev_b32_sdwa v2, v19, v1 dst_sel:DWORD dst_unused:UNUSED_PAD src0_sel:DWORD src1_sel:BYTE_0
	v_add_u32_e32 v31, v17, v2
	v_and_b32_e32 v2, 1, v1
	v_add_co_u32_e32 v3, vcc, -1, v2
	v_addc_co_u32_e64 v4, s[34:35], 0, -1, vcc
	v_cmp_ne_u32_e32 vcc, 0, v2
	v_lshlrev_b32_e32 v6, 30, v1
	v_xor_b32_e32 v2, vcc_hi, v4
	v_xor_b32_e32 v3, vcc_lo, v3
	v_cmp_gt_i64_e32 vcc, 0, v[5:6]
	v_not_b32_e32 v4, v6
	v_ashrrev_i32_e32 v4, 31, v4
	v_and_b32_e32 v2, exec_hi, v2
	v_xor_b32_e32 v6, vcc_hi, v4
	v_and_b32_e32 v3, exec_lo, v3
	v_xor_b32_e32 v4, vcc_lo, v4
	v_and_b32_e32 v2, v2, v6
	v_lshlrev_b32_e32 v6, 29, v1
	v_and_b32_e32 v3, v3, v4
	v_cmp_gt_i64_e32 vcc, 0, v[5:6]
	v_not_b32_e32 v4, v6
	v_ashrrev_i32_e32 v4, 31, v4
	v_xor_b32_e32 v6, vcc_hi, v4
	v_xor_b32_e32 v4, vcc_lo, v4
	v_and_b32_e32 v2, v2, v6
	v_lshlrev_b32_e32 v6, 28, v1
	v_and_b32_e32 v3, v3, v4
	v_cmp_gt_i64_e32 vcc, 0, v[5:6]
	v_not_b32_e32 v4, v6
	v_ashrrev_i32_e32 v4, 31, v4
	v_xor_b32_e32 v6, vcc_hi, v4
	;; [unrolled: 8-line block ×5, first 2 shown]
	v_and_b32_e32 v2, v2, v6
	v_lshlrev_b32_e32 v6, 24, v1
	v_xor_b32_e32 v4, vcc_lo, v4
	v_cmp_gt_i64_e32 vcc, 0, v[5:6]
	v_not_b32_e32 v1, v6
	v_ashrrev_i32_e32 v1, 31, v1
	v_and_b32_e32 v3, v3, v4
	v_xor_b32_e32 v4, vcc_hi, v1
	v_xor_b32_e32 v1, vcc_lo, v1
	; wave barrier
	ds_read_b32 v30, v31 offset:8
	v_and_b32_e32 v1, v3, v1
	v_and_b32_e32 v2, v2, v4
	v_mbcnt_lo_u32_b32 v3, v1, 0
	v_mbcnt_hi_u32_b32 v32, v2, v3
	v_cmp_ne_u64_e32 vcc, 0, v[1:2]
	v_cmp_eq_u32_e64 s[34:35], 0, v32
	s_and_b64 s[44:45], vcc, s[34:35]
	; wave barrier
	s_and_saveexec_b64 s[34:35], s[44:45]
	s_cbranch_execz .LBB12_10
; %bb.9:                                ;   in Loop: Header=BB12_4 Depth=2
	v_bcnt_u32_b32 v1, v1, 0
	v_bcnt_u32_b32 v1, v2, v1
	s_waitcnt lgkmcnt(0)
	v_add_u32_e32 v1, v30, v1
	ds_write_b32 v31, v1 offset:8
.LBB12_10:                              ;   in Loop: Header=BB12_4 Depth=2
	s_or_b64 exec, exec, s[34:35]
	v_lshrrev_b32_e32 v1, v22, v20
	v_lshlrev_b32_sdwa v2, v19, v1 dst_sel:DWORD dst_unused:UNUSED_PAD src0_sel:DWORD src1_sel:BYTE_0
	v_add_u32_e32 v34, v17, v2
	v_and_b32_e32 v2, 1, v1
	v_add_co_u32_e32 v3, vcc, -1, v2
	v_addc_co_u32_e64 v4, s[34:35], 0, -1, vcc
	v_cmp_ne_u32_e32 vcc, 0, v2
	v_lshlrev_b32_e32 v6, 30, v1
	v_xor_b32_e32 v2, vcc_hi, v4
	v_xor_b32_e32 v3, vcc_lo, v3
	v_cmp_gt_i64_e32 vcc, 0, v[5:6]
	v_not_b32_e32 v4, v6
	v_ashrrev_i32_e32 v4, 31, v4
	v_and_b32_e32 v2, exec_hi, v2
	v_xor_b32_e32 v6, vcc_hi, v4
	v_and_b32_e32 v3, exec_lo, v3
	v_xor_b32_e32 v4, vcc_lo, v4
	v_and_b32_e32 v2, v2, v6
	v_lshlrev_b32_e32 v6, 29, v1
	v_and_b32_e32 v3, v3, v4
	v_cmp_gt_i64_e32 vcc, 0, v[5:6]
	v_not_b32_e32 v4, v6
	v_ashrrev_i32_e32 v4, 31, v4
	v_xor_b32_e32 v6, vcc_hi, v4
	v_xor_b32_e32 v4, vcc_lo, v4
	v_and_b32_e32 v2, v2, v6
	v_lshlrev_b32_e32 v6, 28, v1
	v_and_b32_e32 v3, v3, v4
	v_cmp_gt_i64_e32 vcc, 0, v[5:6]
	v_not_b32_e32 v4, v6
	v_ashrrev_i32_e32 v4, 31, v4
	v_xor_b32_e32 v6, vcc_hi, v4
	;; [unrolled: 8-line block ×5, first 2 shown]
	v_and_b32_e32 v2, v2, v6
	v_lshlrev_b32_e32 v6, 24, v1
	v_xor_b32_e32 v4, vcc_lo, v4
	v_cmp_gt_i64_e32 vcc, 0, v[5:6]
	v_not_b32_e32 v1, v6
	v_ashrrev_i32_e32 v1, 31, v1
	v_and_b32_e32 v3, v3, v4
	v_xor_b32_e32 v4, vcc_hi, v1
	v_xor_b32_e32 v1, vcc_lo, v1
	; wave barrier
	ds_read_b32 v33, v34 offset:8
	v_and_b32_e32 v1, v3, v1
	v_and_b32_e32 v2, v2, v4
	v_mbcnt_lo_u32_b32 v3, v1, 0
	v_mbcnt_hi_u32_b32 v6, v2, v3
	v_cmp_ne_u64_e32 vcc, 0, v[1:2]
	v_cmp_eq_u32_e64 s[34:35], 0, v6
	s_and_b64 s[44:45], vcc, s[34:35]
	; wave barrier
	s_and_saveexec_b64 s[34:35], s[44:45]
	s_cbranch_execz .LBB12_12
; %bb.11:                               ;   in Loop: Header=BB12_4 Depth=2
	v_bcnt_u32_b32 v1, v1, 0
	v_bcnt_u32_b32 v1, v2, v1
	s_waitcnt lgkmcnt(0)
	v_add_u32_e32 v1, v33, v1
	ds_write_b32 v34, v1 offset:8
.LBB12_12:                              ;   in Loop: Header=BB12_4 Depth=2
	s_or_b64 exec, exec, s[34:35]
	; wave barrier
	s_waitcnt lgkmcnt(0)
	s_barrier
	ds_read2_b64 v[1:4], v11 offset0:1 offset1:2
	s_waitcnt lgkmcnt(0)
	v_add_u32_e32 v35, v2, v1
	v_add3_u32 v4, v35, v3, v4
	s_nop 1
	v_mov_b32_dpp v35, v4 row_shr:1 row_mask:0xf bank_mask:0xf
	v_cndmask_b32_e64 v35, v35, 0, s[8:9]
	v_add_u32_e32 v4, v35, v4
	s_nop 1
	v_mov_b32_dpp v35, v4 row_shr:2 row_mask:0xf bank_mask:0xf
	v_cndmask_b32_e64 v35, 0, v35, s[10:11]
	v_add_u32_e32 v4, v4, v35
	;; [unrolled: 4-line block ×4, first 2 shown]
	s_nop 1
	v_mov_b32_dpp v35, v4 row_bcast:15 row_mask:0xf bank_mask:0xf
	v_cndmask_b32_e64 v35, v35, 0, s[16:17]
	v_add_u32_e32 v4, v4, v35
	s_nop 1
	v_mov_b32_dpp v35, v4 row_bcast:31 row_mask:0xf bank_mask:0xf
	v_cndmask_b32_e64 v35, 0, v35, s[18:19]
	v_add_u32_e32 v4, v4, v35
	s_and_saveexec_b64 s[34:35], s[20:21]
; %bb.13:                               ;   in Loop: Header=BB12_4 Depth=2
	ds_write_b32 v13, v4
; %bb.14:                               ;   in Loop: Header=BB12_4 Depth=2
	s_or_b64 exec, exec, s[34:35]
	s_waitcnt lgkmcnt(0)
	s_barrier
	s_and_saveexec_b64 s[34:35], s[22:23]
	s_cbranch_execz .LBB12_16
; %bb.15:                               ;   in Loop: Header=BB12_4 Depth=2
	ds_read_b32 v35, v14
	s_waitcnt lgkmcnt(0)
	s_nop 0
	v_mov_b32_dpp v36, v35 row_shr:1 row_mask:0xf bank_mask:0xf
	v_cndmask_b32_e64 v36, v36, 0, s[30:31]
	v_add_u32_e32 v35, v36, v35
	ds_write_b32 v14, v35
.LBB12_16:                              ;   in Loop: Header=BB12_4 Depth=2
	s_or_b64 exec, exec, s[34:35]
	v_mov_b32_e32 v35, 0
	s_waitcnt lgkmcnt(0)
	s_barrier
	s_and_saveexec_b64 s[34:35], s[24:25]
; %bb.17:                               ;   in Loop: Header=BB12_4 Depth=2
	ds_read_b32 v35, v15
; %bb.18:                               ;   in Loop: Header=BB12_4 Depth=2
	s_or_b64 exec, exec, s[34:35]
	s_waitcnt lgkmcnt(0)
	v_add_u32_e32 v4, v35, v4
	ds_bpermute_b32 v4, v12, v4
	v_cmp_lt_u32_e32 vcc, 23, v22
	s_and_b64 vcc, exec, vcc
	s_mov_b64 s[34:35], -1
	s_waitcnt lgkmcnt(0)
	v_cndmask_b32_e64 v4, v4, v35, s[26:27]
	v_cndmask_b32_e64 v35, v4, 0, s[28:29]
	v_add_u32_e32 v36, v35, v1
	v_add_u32_e32 v1, v36, v2
	;; [unrolled: 1-line block ×3, first 2 shown]
	ds_write2_b64 v11, v[35:36], v[1:2] offset0:1 offset1:2
	s_waitcnt lgkmcnt(0)
	s_barrier
	ds_read_b32 v1, v26 offset:8
	ds_read_b32 v2, v28 offset:8
	ds_read_b32 v3, v31 offset:8
	ds_read_b32 v4, v34 offset:8
	s_waitcnt lgkmcnt(3)
	v_add_u32_e32 v28, v1, v25
	s_waitcnt lgkmcnt(2)
	v_add3_u32 v26, v29, v27, v2
	s_waitcnt lgkmcnt(1)
	v_add3_u32 v25, v32, v30, v3
	;; [unrolled: 2-line block ×3, first 2 shown]
                                        ; implicit-def: $vgpr4
                                        ; implicit-def: $vgpr2
	s_cbranch_vccnz .LBB12_3
; %bb.19:                               ;   in Loop: Header=BB12_4 Depth=2
	v_lshlrev_b32_e32 v1, 2, v28
	s_barrier
	ds_write_b32 v1, v24
	v_lshlrev_b32_e32 v1, 2, v26
	ds_write_b32 v1, v23
	v_lshlrev_b32_e32 v1, 2, v25
	;; [unrolled: 2-line block ×3, first 2 shown]
	ds_write_b32 v1, v20
	s_waitcnt lgkmcnt(0)
	s_barrier
	ds_read2st64_b32 v[1:2], v16 offset1:1
	ds_read2st64_b32 v[3:4], v16 offset0:2 offset1:3
	v_add_u32_e32 v22, 8, v22
	s_mov_b64 s[34:35], 0
	s_waitcnt lgkmcnt(0)
	s_barrier
	s_branch .LBB12_3
.LBB12_20:
	s_add_u32 s0, s38, s42
	s_addc_u32 s1, s39, s43
	v_lshlrev_b32_e32 v0, 2, v0
	global_store_dword v0, v20, s[0:1]
	global_store_dword v0, v3, s[0:1] offset:512
	global_store_dword v0, v4, s[0:1] offset:1024
	;; [unrolled: 1-line block ×3, first 2 shown]
	s_endpgm
	.section	.rodata,"a",@progbits
	.p2align	6, 0x0
	.amdhsa_kernel _Z16sort_keys_kernelI22helper_blocked_blockediLj128ELj4ELj10EEvPKT0_PS1_
		.amdhsa_group_segment_fixed_size 2064
		.amdhsa_private_segment_fixed_size 0
		.amdhsa_kernarg_size 272
		.amdhsa_user_sgpr_count 6
		.amdhsa_user_sgpr_private_segment_buffer 1
		.amdhsa_user_sgpr_dispatch_ptr 0
		.amdhsa_user_sgpr_queue_ptr 0
		.amdhsa_user_sgpr_kernarg_segment_ptr 1
		.amdhsa_user_sgpr_dispatch_id 0
		.amdhsa_user_sgpr_flat_scratch_init 0
		.amdhsa_user_sgpr_private_segment_size 0
		.amdhsa_uses_dynamic_stack 0
		.amdhsa_system_sgpr_private_segment_wavefront_offset 0
		.amdhsa_system_sgpr_workgroup_id_x 1
		.amdhsa_system_sgpr_workgroup_id_y 0
		.amdhsa_system_sgpr_workgroup_id_z 0
		.amdhsa_system_sgpr_workgroup_info 0
		.amdhsa_system_vgpr_workitem_id 2
		.amdhsa_next_free_vgpr 37
		.amdhsa_next_free_sgpr 61
		.amdhsa_reserve_vcc 1
		.amdhsa_reserve_flat_scratch 0
		.amdhsa_float_round_mode_32 0
		.amdhsa_float_round_mode_16_64 0
		.amdhsa_float_denorm_mode_32 3
		.amdhsa_float_denorm_mode_16_64 3
		.amdhsa_dx10_clamp 1
		.amdhsa_ieee_mode 1
		.amdhsa_fp16_overflow 0
		.amdhsa_exception_fp_ieee_invalid_op 0
		.amdhsa_exception_fp_denorm_src 0
		.amdhsa_exception_fp_ieee_div_zero 0
		.amdhsa_exception_fp_ieee_overflow 0
		.amdhsa_exception_fp_ieee_underflow 0
		.amdhsa_exception_fp_ieee_inexact 0
		.amdhsa_exception_int_div_zero 0
	.end_amdhsa_kernel
	.section	.text._Z16sort_keys_kernelI22helper_blocked_blockediLj128ELj4ELj10EEvPKT0_PS1_,"axG",@progbits,_Z16sort_keys_kernelI22helper_blocked_blockediLj128ELj4ELj10EEvPKT0_PS1_,comdat
.Lfunc_end12:
	.size	_Z16sort_keys_kernelI22helper_blocked_blockediLj128ELj4ELj10EEvPKT0_PS1_, .Lfunc_end12-_Z16sort_keys_kernelI22helper_blocked_blockediLj128ELj4ELj10EEvPKT0_PS1_
                                        ; -- End function
	.set _Z16sort_keys_kernelI22helper_blocked_blockediLj128ELj4ELj10EEvPKT0_PS1_.num_vgpr, 37
	.set _Z16sort_keys_kernelI22helper_blocked_blockediLj128ELj4ELj10EEvPKT0_PS1_.num_agpr, 0
	.set _Z16sort_keys_kernelI22helper_blocked_blockediLj128ELj4ELj10EEvPKT0_PS1_.numbered_sgpr, 46
	.set _Z16sort_keys_kernelI22helper_blocked_blockediLj128ELj4ELj10EEvPKT0_PS1_.num_named_barrier, 0
	.set _Z16sort_keys_kernelI22helper_blocked_blockediLj128ELj4ELj10EEvPKT0_PS1_.private_seg_size, 0
	.set _Z16sort_keys_kernelI22helper_blocked_blockediLj128ELj4ELj10EEvPKT0_PS1_.uses_vcc, 1
	.set _Z16sort_keys_kernelI22helper_blocked_blockediLj128ELj4ELj10EEvPKT0_PS1_.uses_flat_scratch, 0
	.set _Z16sort_keys_kernelI22helper_blocked_blockediLj128ELj4ELj10EEvPKT0_PS1_.has_dyn_sized_stack, 0
	.set _Z16sort_keys_kernelI22helper_blocked_blockediLj128ELj4ELj10EEvPKT0_PS1_.has_recursion, 0
	.set _Z16sort_keys_kernelI22helper_blocked_blockediLj128ELj4ELj10EEvPKT0_PS1_.has_indirect_call, 0
	.section	.AMDGPU.csdata,"",@progbits
; Kernel info:
; codeLenInByte = 2968
; TotalNumSgprs: 50
; NumVgprs: 37
; ScratchSize: 0
; MemoryBound: 0
; FloatMode: 240
; IeeeMode: 1
; LDSByteSize: 2064 bytes/workgroup (compile time only)
; SGPRBlocks: 8
; VGPRBlocks: 9
; NumSGPRsForWavesPerEU: 65
; NumVGPRsForWavesPerEU: 37
; Occupancy: 6
; WaveLimiterHint : 1
; COMPUTE_PGM_RSRC2:SCRATCH_EN: 0
; COMPUTE_PGM_RSRC2:USER_SGPR: 6
; COMPUTE_PGM_RSRC2:TRAP_HANDLER: 0
; COMPUTE_PGM_RSRC2:TGID_X_EN: 1
; COMPUTE_PGM_RSRC2:TGID_Y_EN: 0
; COMPUTE_PGM_RSRC2:TGID_Z_EN: 0
; COMPUTE_PGM_RSRC2:TIDIG_COMP_CNT: 2
	.section	.text._Z17sort_pairs_kernelI22helper_blocked_blockediLj128ELj4ELj10EEvPKT0_PS1_,"axG",@progbits,_Z17sort_pairs_kernelI22helper_blocked_blockediLj128ELj4ELj10EEvPKT0_PS1_,comdat
	.protected	_Z17sort_pairs_kernelI22helper_blocked_blockediLj128ELj4ELj10EEvPKT0_PS1_ ; -- Begin function _Z17sort_pairs_kernelI22helper_blocked_blockediLj128ELj4ELj10EEvPKT0_PS1_
	.globl	_Z17sort_pairs_kernelI22helper_blocked_blockediLj128ELj4ELj10EEvPKT0_PS1_
	.p2align	8
	.type	_Z17sort_pairs_kernelI22helper_blocked_blockediLj128ELj4ELj10EEvPKT0_PS1_,@function
_Z17sort_pairs_kernelI22helper_blocked_blockediLj128ELj4ELj10EEvPKT0_PS1_: ; @_Z17sort_pairs_kernelI22helper_blocked_blockediLj128ELj4ELj10EEvPKT0_PS1_
; %bb.0:
	s_load_dwordx4 s[36:39], s[4:5], 0x0
	s_load_dword s33, s[4:5], 0x1c
	s_lshl_b32 s42, s6, 9
	s_mov_b32 s43, 0
	s_lshl_b64 s[40:41], s[42:43], 2
	s_waitcnt lgkmcnt(0)
	s_add_u32 s0, s36, s40
	s_addc_u32 s1, s37, s41
	v_lshlrev_b32_e32 v3, 2, v0
	global_load_dword v8, v3, s[0:1]
	global_load_dword v9, v3, s[0:1] offset:512
	global_load_dword v6, v3, s[0:1] offset:1024
	global_load_dword v7, v3, s[0:1] offset:1536
	v_mbcnt_lo_u32_b32 v3, -1, 0
	v_mbcnt_hi_u32_b32 v3, -1, v3
	v_or_b32_e32 v4, 63, v0
	s_lshr_b32 s34, s33, 16
	v_lshlrev_b32_e32 v13, 4, v0
	v_lshrrev_b32_e32 v16, 2, v3
	v_and_b32_e32 v20, 64, v3
	v_cmp_eq_u32_e64 s[8:9], v0, v4
	v_subrev_co_u32_e64 v4, s[10:11], 1, v3
	s_and_b32 s33, s33, 0xffff
	v_mad_u32_u24 v1, v2, s34, v1
	v_lshrrev_b32_e32 v10, 4, v0
	v_and_b32_e32 v17, 3, v3
	v_and_b32_e32 v19, 16, v3
	;; [unrolled: 1-line block ×3, first 2 shown]
	v_or_b32_e32 v22, v16, v20
	v_add_u32_e32 v23, 48, v16
	v_cmp_lt_i32_e32 vcc, v4, v20
	v_mad_u32_u24 v1, v1, s33, v0
	v_mul_u32_u24_e32 v11, 12, v0
	v_and_b32_e32 v18, 15, v3
	v_cmp_lt_u32_e64 s[6:7], 31, v3
	v_and_b32_e32 v14, 4, v10
	v_mad_i32_i24 v15, v0, -12, v13
	v_and_b32_e32 v10, 1, v3
	v_cmp_eq_u32_e64 s[12:13], 3, v17
	v_cmp_eq_u32_e64 s[14:15], 2, v17
	;; [unrolled: 1-line block ×5, first 2 shown]
	v_cndmask_b32_e32 v4, v4, v3, vcc
	v_lshl_or_b32 v17, v3, 2, v21
	v_lshlrev_b32_e32 v19, 2, v22
	v_and_or_b32 v3, v23, 63, v20
	v_lshrrev_b32_e32 v1, 4, v1
	v_mov_b32_e32 v5, 0
	v_mov_b32_e32 v12, 3
	v_cmp_gt_u32_e64 s[0:1], 2, v0
	v_cmp_lt_u32_e64 s[2:3], 63, v0
	v_cmp_eq_u32_e64 s[4:5], 0, v0
	s_mov_b32 s36, s43
	s_mov_b32 s37, s43
	;; [unrolled: 1-line block ×3, first 2 shown]
	v_cmp_eq_u32_e64 s[20:21], 0, v18
	v_cmp_lt_u32_e64 s[22:23], 1, v18
	v_cmp_lt_u32_e64 s[24:25], 3, v18
	;; [unrolled: 1-line block ×3, first 2 shown]
	v_cmp_eq_u32_e64 s[30:31], 0, v10
	v_add_u32_e32 v16, -4, v14
	v_add_u32_e32 v18, v15, v11
	v_lshlrev_b32_e32 v20, 2, v4
	v_add_u32_e32 v21, 64, v19
	v_or_b32_e32 v22, 0x80, v19
	v_lshlrev_b32_e32 v23, 2, v3
	v_and_b32_e32 v24, 0xffffffc, v1
	s_mov_b32 s33, s43
	s_waitcnt vmcnt(3)
	v_add_u32_e32 v1, 1, v8
	s_waitcnt vmcnt(2)
	v_add_u32_e32 v2, 1, v9
	;; [unrolled: 2-line block ×4, first 2 shown]
	s_branch .LBB13_2
.LBB13_1:                               ;   in Loop: Header=BB13_2 Depth=1
	v_lshlrev_b32_e32 v1, 2, v38
	v_lshlrev_b32_e32 v2, 2, v35
	;; [unrolled: 1-line block ×4, first 2 shown]
	s_barrier
	ds_write_b32 v1, v33
	ds_write_b32 v2, v32
	;; [unrolled: 1-line block ×4, first 2 shown]
	s_waitcnt lgkmcnt(0)
	s_barrier
	ds_read2_b64 v[8:11], v18 offset1:1
	s_waitcnt lgkmcnt(0)
	s_barrier
	ds_write_b32 v1, v28
	ds_write_b32 v2, v27
	;; [unrolled: 1-line block ×4, first 2 shown]
	s_waitcnt lgkmcnt(0)
	s_barrier
	ds_read2_b64 v[1:4], v18 offset1:1
	s_add_i32 s33, s33, 1
	v_xor_b32_e32 v8, 0x80000000, v8
	v_xor_b32_e32 v9, 0x80000000, v9
	;; [unrolled: 1-line block ×3, first 2 shown]
	s_cmp_eq_u32 s33, 10
	v_xor_b32_e32 v7, 0x80000000, v11
	s_cbranch_scc1 .LBB13_20
.LBB13_2:                               ; =>This Loop Header: Depth=1
                                        ;     Child Loop BB13_4 Depth 2
	v_xor_b32_e32 v10, 0x80000000, v8
	v_xor_b32_e32 v9, 0x80000000, v9
	ds_bpermute_b32 v8, v19, v10
	ds_bpermute_b32 v11, v19, v9
	v_xor_b32_e32 v25, 0x80000000, v6
	v_xor_b32_e32 v26, 0x80000000, v7
	ds_bpermute_b32 v7, v19, v25
	s_waitcnt lgkmcnt(2)
	v_cndmask_b32_e64 v6, 0, v8, s[18:19]
	s_waitcnt lgkmcnt(1)
	v_cndmask_b32_e64 v6, v6, v11, s[16:17]
	ds_bpermute_b32 v8, v19, v26
	ds_bpermute_b32 v11, v21, v10
	;; [unrolled: 1-line block ×4, first 2 shown]
	s_waitcnt lgkmcnt(4)
	v_cndmask_b32_e64 v6, v6, v7, s[14:15]
	s_waitcnt lgkmcnt(3)
	v_cndmask_b32_e64 v6, v6, v8, s[12:13]
	;; [unrolled: 2-line block ×3, first 2 shown]
	ds_bpermute_b32 v8, v21, v26
	ds_bpermute_b32 v11, v22, v10
	s_waitcnt lgkmcnt(3)
	v_cndmask_b32_e64 v7, v7, v27, s[16:17]
	ds_bpermute_b32 v10, v23, v10
	s_waitcnt lgkmcnt(3)
	v_cndmask_b32_e64 v7, v7, v28, s[14:15]
	ds_bpermute_b32 v27, v22, v9
	ds_bpermute_b32 v9, v23, v9
	s_waitcnt lgkmcnt(4)
	v_cndmask_b32_e64 v7, v7, v8, s[12:13]
	s_waitcnt lgkmcnt(3)
	v_cndmask_b32_e64 v8, 0, v11, s[18:19]
	ds_bpermute_b32 v11, v23, v25
	ds_bpermute_b32 v28, v22, v25
	;; [unrolled: 1-line block ×5, first 2 shown]
	s_waitcnt lgkmcnt(7)
	v_cndmask_b32_e64 v10, 0, v10, s[18:19]
	s_waitcnt lgkmcnt(5)
	v_cndmask_b32_e64 v9, v10, v9, s[16:17]
	;; [unrolled: 2-line block ×3, first 2 shown]
	ds_bpermute_b32 v11, v19, v2
	s_waitcnt lgkmcnt(3)
	v_cndmask_b32_e64 v9, v9, v25, s[12:13]
	ds_bpermute_b32 v25, v19, v3
	v_cndmask_b32_e64 v8, v8, v27, s[16:17]
	s_waitcnt lgkmcnt(2)
	v_cndmask_b32_e64 v10, 0, v26, s[18:19]
	ds_bpermute_b32 v26, v19, v4
	ds_bpermute_b32 v27, v21, v1
	v_cndmask_b32_e64 v8, v8, v28, s[14:15]
	ds_bpermute_b32 v28, v21, v2
	s_waitcnt lgkmcnt(4)
	v_cndmask_b32_e64 v10, v10, v11, s[16:17]
	s_waitcnt lgkmcnt(3)
	v_cndmask_b32_e64 v10, v10, v25, s[14:15]
	ds_bpermute_b32 v25, v21, v3
	s_waitcnt lgkmcnt(3)
	v_cndmask_b32_e64 v10, v10, v26, s[12:13]
	s_waitcnt lgkmcnt(2)
	v_cndmask_b32_e64 v11, 0, v27, s[18:19]
	ds_bpermute_b32 v26, v21, v4
	ds_bpermute_b32 v27, v22, v1
	s_waitcnt lgkmcnt(3)
	v_cndmask_b32_e64 v11, v11, v28, s[16:17]
	ds_bpermute_b32 v28, v22, v2
	v_cndmask_b32_e64 v8, v8, v29, s[12:13]
	ds_bpermute_b32 v29, v22, v3
	s_waitcnt lgkmcnt(4)
	v_cndmask_b32_e64 v11, v11, v25, s[14:15]
	s_waitcnt lgkmcnt(3)
	v_cndmask_b32_e64 v11, v11, v26, s[12:13]
	;; [unrolled: 2-line block ×3, first 2 shown]
	ds_bpermute_b32 v26, v22, v4
	ds_bpermute_b32 v27, v23, v1
	;; [unrolled: 1-line block ×4, first 2 shown]
	s_waitcnt lgkmcnt(5)
	v_cndmask_b32_e64 v25, v25, v28, s[16:17]
	ds_bpermute_b32 v4, v23, v4
	s_waitcnt lgkmcnt(5)
	v_cndmask_b32_e64 v25, v25, v29, s[14:15]
	s_waitcnt lgkmcnt(4)
	v_cndmask_b32_e64 v1, v25, v26, s[12:13]
	;; [unrolled: 2-line block ×6, first 2 shown]
	v_mov_b32_e32 v30, v5
	s_barrier
	s_branch .LBB13_4
.LBB13_3:                               ;   in Loop: Header=BB13_4 Depth=2
	s_andn2_b64 vcc, exec, s[34:35]
	s_cbranch_vccz .LBB13_1
.LBB13_4:                               ;   Parent Loop BB13_2 Depth=1
                                        ; =>  This Inner Loop Header: Depth=2
	v_mov_b32_e32 v25, v2
	v_mov_b32_e32 v26, v1
	;; [unrolled: 1-line block ×7, first 2 shown]
	ds_write2_b64 v13, v[1:2], v[3:4] offset0:1 offset1:2
	v_lshrrev_b32_e32 v1, v30, v33
	v_and_b32_e32 v2, 1, v1
	v_add_co_u32_e32 v4, vcc, -1, v2
	v_addc_co_u32_e64 v6, s[34:35], 0, -1, vcc
	v_cmp_ne_u32_e32 vcc, 0, v2
	v_xor_b32_e32 v2, vcc_hi, v6
	v_lshlrev_b32_e32 v6, 30, v1
	v_xor_b32_e32 v4, vcc_lo, v4
	v_cmp_gt_i64_e32 vcc, 0, v[5:6]
	v_not_b32_e32 v6, v6
	v_ashrrev_i32_e32 v6, 31, v6
	v_mov_b32_e32 v32, v7
	v_and_b32_e32 v4, exec_lo, v4
	v_xor_b32_e32 v7, vcc_hi, v6
	v_xor_b32_e32 v6, vcc_lo, v6
	v_and_b32_e32 v4, v4, v6
	v_lshlrev_b32_e32 v6, 29, v1
	v_cmp_gt_i64_e32 vcc, 0, v[5:6]
	v_not_b32_e32 v6, v6
	v_and_b32_e32 v2, exec_hi, v2
	v_ashrrev_i32_e32 v6, 31, v6
	v_and_b32_e32 v2, v2, v7
	v_xor_b32_e32 v7, vcc_hi, v6
	v_xor_b32_e32 v6, vcc_lo, v6
	v_and_b32_e32 v4, v4, v6
	v_lshlrev_b32_e32 v6, 28, v1
	v_cmp_gt_i64_e32 vcc, 0, v[5:6]
	v_not_b32_e32 v6, v6
	v_ashrrev_i32_e32 v6, 31, v6
	v_and_b32_e32 v2, v2, v7
	v_xor_b32_e32 v7, vcc_hi, v6
	v_xor_b32_e32 v6, vcc_lo, v6
	v_and_b32_e32 v4, v4, v6
	v_lshlrev_b32_e32 v6, 27, v1
	v_cmp_gt_i64_e32 vcc, 0, v[5:6]
	v_not_b32_e32 v6, v6
	;; [unrolled: 8-line block ×4, first 2 shown]
	v_ashrrev_i32_e32 v6, 31, v6
	v_and_b32_e32 v2, v2, v7
	v_xor_b32_e32 v7, vcc_hi, v6
	v_xor_b32_e32 v6, vcc_lo, v6
	v_and_b32_e32 v4, v4, v6
	v_lshlrev_b32_e32 v6, 24, v1
	v_lshlrev_b32_sdwa v3, v12, v1 dst_sel:DWORD dst_unused:UNUSED_PAD src0_sel:DWORD src1_sel:BYTE_0
	v_cmp_gt_i64_e32 vcc, 0, v[5:6]
	v_not_b32_e32 v1, v6
	v_ashrrev_i32_e32 v1, 31, v1
	v_xor_b32_e32 v6, vcc_hi, v1
	v_xor_b32_e32 v1, vcc_lo, v1
	v_and_b32_e32 v2, v2, v7
	v_and_b32_e32 v1, v4, v1
	;; [unrolled: 1-line block ×3, first 2 shown]
	v_mbcnt_lo_u32_b32 v4, v1, 0
	v_mbcnt_hi_u32_b32 v7, v2, v4
	v_cmp_ne_u64_e32 vcc, 0, v[1:2]
	v_cmp_eq_u32_e64 s[34:35], 0, v7
	v_mov_b32_e32 v29, v9
	v_mov_b32_e32 v31, v8
	v_mov_b32_e32 v27, v11
	v_mov_b32_e32 v28, v10
	s_and_b64 s[44:45], vcc, s[34:35]
	v_add_u32_e32 v8, v24, v3
	s_waitcnt lgkmcnt(0)
	s_barrier
	; wave barrier
	s_and_saveexec_b64 s[34:35], s[44:45]
; %bb.5:                                ;   in Loop: Header=BB13_4 Depth=2
	v_bcnt_u32_b32 v1, v1, 0
	v_bcnt_u32_b32 v1, v2, v1
	ds_write_b32 v8, v1 offset:8
; %bb.6:                                ;   in Loop: Header=BB13_4 Depth=2
	s_or_b64 exec, exec, s[34:35]
	v_lshrrev_b32_e32 v1, v30, v32
	v_lshlrev_b32_sdwa v2, v12, v1 dst_sel:DWORD dst_unused:UNUSED_PAD src0_sel:DWORD src1_sel:BYTE_0
	v_add_u32_e32 v10, v24, v2
	v_and_b32_e32 v2, 1, v1
	v_add_co_u32_e32 v3, vcc, -1, v2
	v_addc_co_u32_e64 v4, s[34:35], 0, -1, vcc
	v_cmp_ne_u32_e32 vcc, 0, v2
	v_lshlrev_b32_e32 v6, 30, v1
	v_xor_b32_e32 v2, vcc_hi, v4
	v_xor_b32_e32 v3, vcc_lo, v3
	v_cmp_gt_i64_e32 vcc, 0, v[5:6]
	v_not_b32_e32 v4, v6
	v_ashrrev_i32_e32 v4, 31, v4
	v_and_b32_e32 v2, exec_hi, v2
	v_xor_b32_e32 v6, vcc_hi, v4
	v_and_b32_e32 v3, exec_lo, v3
	v_xor_b32_e32 v4, vcc_lo, v4
	v_and_b32_e32 v2, v2, v6
	v_lshlrev_b32_e32 v6, 29, v1
	v_and_b32_e32 v3, v3, v4
	v_cmp_gt_i64_e32 vcc, 0, v[5:6]
	v_not_b32_e32 v4, v6
	v_ashrrev_i32_e32 v4, 31, v4
	v_xor_b32_e32 v6, vcc_hi, v4
	v_xor_b32_e32 v4, vcc_lo, v4
	v_and_b32_e32 v2, v2, v6
	v_lshlrev_b32_e32 v6, 28, v1
	v_and_b32_e32 v3, v3, v4
	v_cmp_gt_i64_e32 vcc, 0, v[5:6]
	v_not_b32_e32 v4, v6
	v_ashrrev_i32_e32 v4, 31, v4
	v_xor_b32_e32 v6, vcc_hi, v4
	;; [unrolled: 8-line block ×5, first 2 shown]
	v_and_b32_e32 v2, v2, v6
	v_lshlrev_b32_e32 v6, 24, v1
	v_xor_b32_e32 v4, vcc_lo, v4
	v_cmp_gt_i64_e32 vcc, 0, v[5:6]
	v_not_b32_e32 v1, v6
	v_ashrrev_i32_e32 v1, 31, v1
	v_and_b32_e32 v3, v3, v4
	v_xor_b32_e32 v4, vcc_hi, v1
	v_xor_b32_e32 v1, vcc_lo, v1
	; wave barrier
	ds_read_b32 v9, v10 offset:8
	v_and_b32_e32 v1, v3, v1
	v_and_b32_e32 v2, v2, v4
	v_mbcnt_lo_u32_b32 v3, v1, 0
	v_mbcnt_hi_u32_b32 v11, v2, v3
	v_cmp_ne_u64_e32 vcc, 0, v[1:2]
	v_cmp_eq_u32_e64 s[34:35], 0, v11
	s_and_b64 s[44:45], vcc, s[34:35]
	; wave barrier
	s_and_saveexec_b64 s[34:35], s[44:45]
	s_cbranch_execz .LBB13_8
; %bb.7:                                ;   in Loop: Header=BB13_4 Depth=2
	v_bcnt_u32_b32 v1, v1, 0
	v_bcnt_u32_b32 v1, v2, v1
	s_waitcnt lgkmcnt(0)
	v_add_u32_e32 v1, v9, v1
	ds_write_b32 v10, v1 offset:8
.LBB13_8:                               ;   in Loop: Header=BB13_4 Depth=2
	s_or_b64 exec, exec, s[34:35]
	v_lshrrev_b32_e32 v1, v30, v31
	v_lshlrev_b32_sdwa v2, v12, v1 dst_sel:DWORD dst_unused:UNUSED_PAD src0_sel:DWORD src1_sel:BYTE_0
	v_add_u32_e32 v35, v24, v2
	v_and_b32_e32 v2, 1, v1
	v_add_co_u32_e32 v3, vcc, -1, v2
	v_addc_co_u32_e64 v4, s[34:35], 0, -1, vcc
	v_cmp_ne_u32_e32 vcc, 0, v2
	v_lshlrev_b32_e32 v6, 30, v1
	v_xor_b32_e32 v2, vcc_hi, v4
	v_xor_b32_e32 v3, vcc_lo, v3
	v_cmp_gt_i64_e32 vcc, 0, v[5:6]
	v_not_b32_e32 v4, v6
	v_ashrrev_i32_e32 v4, 31, v4
	v_and_b32_e32 v2, exec_hi, v2
	v_xor_b32_e32 v6, vcc_hi, v4
	v_and_b32_e32 v3, exec_lo, v3
	v_xor_b32_e32 v4, vcc_lo, v4
	v_and_b32_e32 v2, v2, v6
	v_lshlrev_b32_e32 v6, 29, v1
	v_and_b32_e32 v3, v3, v4
	v_cmp_gt_i64_e32 vcc, 0, v[5:6]
	v_not_b32_e32 v4, v6
	v_ashrrev_i32_e32 v4, 31, v4
	v_xor_b32_e32 v6, vcc_hi, v4
	v_xor_b32_e32 v4, vcc_lo, v4
	v_and_b32_e32 v2, v2, v6
	v_lshlrev_b32_e32 v6, 28, v1
	v_and_b32_e32 v3, v3, v4
	v_cmp_gt_i64_e32 vcc, 0, v[5:6]
	v_not_b32_e32 v4, v6
	v_ashrrev_i32_e32 v4, 31, v4
	v_xor_b32_e32 v6, vcc_hi, v4
	;; [unrolled: 8-line block ×5, first 2 shown]
	v_and_b32_e32 v2, v2, v6
	v_lshlrev_b32_e32 v6, 24, v1
	v_xor_b32_e32 v4, vcc_lo, v4
	v_cmp_gt_i64_e32 vcc, 0, v[5:6]
	v_not_b32_e32 v1, v6
	v_ashrrev_i32_e32 v1, 31, v1
	v_and_b32_e32 v3, v3, v4
	v_xor_b32_e32 v4, vcc_hi, v1
	v_xor_b32_e32 v1, vcc_lo, v1
	; wave barrier
	ds_read_b32 v34, v35 offset:8
	v_and_b32_e32 v1, v3, v1
	v_and_b32_e32 v2, v2, v4
	v_mbcnt_lo_u32_b32 v3, v1, 0
	v_mbcnt_hi_u32_b32 v36, v2, v3
	v_cmp_ne_u64_e32 vcc, 0, v[1:2]
	v_cmp_eq_u32_e64 s[34:35], 0, v36
	s_and_b64 s[44:45], vcc, s[34:35]
	; wave barrier
	s_and_saveexec_b64 s[34:35], s[44:45]
	s_cbranch_execz .LBB13_10
; %bb.9:                                ;   in Loop: Header=BB13_4 Depth=2
	v_bcnt_u32_b32 v1, v1, 0
	v_bcnt_u32_b32 v1, v2, v1
	s_waitcnt lgkmcnt(0)
	v_add_u32_e32 v1, v34, v1
	ds_write_b32 v35, v1 offset:8
.LBB13_10:                              ;   in Loop: Header=BB13_4 Depth=2
	s_or_b64 exec, exec, s[34:35]
	v_lshrrev_b32_e32 v1, v30, v29
	v_lshlrev_b32_sdwa v2, v12, v1 dst_sel:DWORD dst_unused:UNUSED_PAD src0_sel:DWORD src1_sel:BYTE_0
	v_add_u32_e32 v38, v24, v2
	v_and_b32_e32 v2, 1, v1
	v_add_co_u32_e32 v3, vcc, -1, v2
	v_addc_co_u32_e64 v4, s[34:35], 0, -1, vcc
	v_cmp_ne_u32_e32 vcc, 0, v2
	v_lshlrev_b32_e32 v6, 30, v1
	v_xor_b32_e32 v2, vcc_hi, v4
	v_xor_b32_e32 v3, vcc_lo, v3
	v_cmp_gt_i64_e32 vcc, 0, v[5:6]
	v_not_b32_e32 v4, v6
	v_ashrrev_i32_e32 v4, 31, v4
	v_and_b32_e32 v2, exec_hi, v2
	v_xor_b32_e32 v6, vcc_hi, v4
	v_and_b32_e32 v3, exec_lo, v3
	v_xor_b32_e32 v4, vcc_lo, v4
	v_and_b32_e32 v2, v2, v6
	v_lshlrev_b32_e32 v6, 29, v1
	v_and_b32_e32 v3, v3, v4
	v_cmp_gt_i64_e32 vcc, 0, v[5:6]
	v_not_b32_e32 v4, v6
	v_ashrrev_i32_e32 v4, 31, v4
	v_xor_b32_e32 v6, vcc_hi, v4
	v_xor_b32_e32 v4, vcc_lo, v4
	v_and_b32_e32 v2, v2, v6
	v_lshlrev_b32_e32 v6, 28, v1
	v_and_b32_e32 v3, v3, v4
	v_cmp_gt_i64_e32 vcc, 0, v[5:6]
	v_not_b32_e32 v4, v6
	v_ashrrev_i32_e32 v4, 31, v4
	v_xor_b32_e32 v6, vcc_hi, v4
	;; [unrolled: 8-line block ×5, first 2 shown]
	v_and_b32_e32 v2, v2, v6
	v_lshlrev_b32_e32 v6, 24, v1
	v_xor_b32_e32 v4, vcc_lo, v4
	v_cmp_gt_i64_e32 vcc, 0, v[5:6]
	v_not_b32_e32 v1, v6
	v_ashrrev_i32_e32 v1, 31, v1
	v_and_b32_e32 v3, v3, v4
	v_xor_b32_e32 v4, vcc_hi, v1
	v_xor_b32_e32 v1, vcc_lo, v1
	; wave barrier
	ds_read_b32 v37, v38 offset:8
	v_and_b32_e32 v1, v3, v1
	v_and_b32_e32 v2, v2, v4
	v_mbcnt_lo_u32_b32 v3, v1, 0
	v_mbcnt_hi_u32_b32 v6, v2, v3
	v_cmp_ne_u64_e32 vcc, 0, v[1:2]
	v_cmp_eq_u32_e64 s[34:35], 0, v6
	s_and_b64 s[44:45], vcc, s[34:35]
	; wave barrier
	s_and_saveexec_b64 s[34:35], s[44:45]
	s_cbranch_execz .LBB13_12
; %bb.11:                               ;   in Loop: Header=BB13_4 Depth=2
	v_bcnt_u32_b32 v1, v1, 0
	v_bcnt_u32_b32 v1, v2, v1
	s_waitcnt lgkmcnt(0)
	v_add_u32_e32 v1, v37, v1
	ds_write_b32 v38, v1 offset:8
.LBB13_12:                              ;   in Loop: Header=BB13_4 Depth=2
	s_or_b64 exec, exec, s[34:35]
	; wave barrier
	s_waitcnt lgkmcnt(0)
	s_barrier
	ds_read2_b64 v[1:4], v13 offset0:1 offset1:2
	s_waitcnt lgkmcnt(0)
	v_add_u32_e32 v39, v2, v1
	v_add3_u32 v4, v39, v3, v4
	s_nop 1
	v_mov_b32_dpp v39, v4 row_shr:1 row_mask:0xf bank_mask:0xf
	v_cndmask_b32_e64 v39, v39, 0, s[20:21]
	v_add_u32_e32 v4, v39, v4
	s_nop 1
	v_mov_b32_dpp v39, v4 row_shr:2 row_mask:0xf bank_mask:0xf
	v_cndmask_b32_e64 v39, 0, v39, s[22:23]
	v_add_u32_e32 v4, v4, v39
	;; [unrolled: 4-line block ×4, first 2 shown]
	s_nop 1
	v_mov_b32_dpp v39, v4 row_bcast:15 row_mask:0xf bank_mask:0xf
	v_cndmask_b32_e64 v39, v39, 0, s[28:29]
	v_add_u32_e32 v4, v4, v39
	s_nop 1
	v_mov_b32_dpp v39, v4 row_bcast:31 row_mask:0xf bank_mask:0xf
	v_cndmask_b32_e64 v39, 0, v39, s[6:7]
	v_add_u32_e32 v4, v4, v39
	s_and_saveexec_b64 s[34:35], s[8:9]
; %bb.13:                               ;   in Loop: Header=BB13_4 Depth=2
	ds_write_b32 v14, v4
; %bb.14:                               ;   in Loop: Header=BB13_4 Depth=2
	s_or_b64 exec, exec, s[34:35]
	s_waitcnt lgkmcnt(0)
	s_barrier
	s_and_saveexec_b64 s[34:35], s[0:1]
	s_cbranch_execz .LBB13_16
; %bb.15:                               ;   in Loop: Header=BB13_4 Depth=2
	ds_read_b32 v39, v15
	s_waitcnt lgkmcnt(0)
	s_nop 0
	v_mov_b32_dpp v40, v39 row_shr:1 row_mask:0xf bank_mask:0xf
	v_cndmask_b32_e64 v40, v40, 0, s[30:31]
	v_add_u32_e32 v39, v40, v39
	ds_write_b32 v15, v39
.LBB13_16:                              ;   in Loop: Header=BB13_4 Depth=2
	s_or_b64 exec, exec, s[34:35]
	v_mov_b32_e32 v39, 0
	s_waitcnt lgkmcnt(0)
	s_barrier
	s_and_saveexec_b64 s[34:35], s[2:3]
; %bb.17:                               ;   in Loop: Header=BB13_4 Depth=2
	ds_read_b32 v39, v16
; %bb.18:                               ;   in Loop: Header=BB13_4 Depth=2
	s_or_b64 exec, exec, s[34:35]
	s_waitcnt lgkmcnt(0)
	v_add_u32_e32 v4, v39, v4
	ds_bpermute_b32 v4, v20, v4
	v_cmp_lt_u32_e32 vcc, 23, v30
	s_and_b64 vcc, exec, vcc
	s_mov_b64 s[34:35], -1
	s_waitcnt lgkmcnt(0)
	v_cndmask_b32_e64 v4, v4, v39, s[10:11]
	v_cndmask_b32_e64 v39, v4, 0, s[4:5]
	v_add_u32_e32 v40, v39, v1
	v_add_u32_e32 v1, v40, v2
	;; [unrolled: 1-line block ×3, first 2 shown]
	ds_write2_b64 v13, v[39:40], v[1:2] offset0:1 offset1:2
	s_waitcnt lgkmcnt(0)
	s_barrier
	ds_read_b32 v1, v8 offset:8
	ds_read_b32 v2, v10 offset:8
	;; [unrolled: 1-line block ×4, first 2 shown]
	s_waitcnt lgkmcnt(3)
	v_add_u32_e32 v38, v1, v7
	s_waitcnt lgkmcnt(2)
	v_add3_u32 v35, v11, v9, v2
	s_waitcnt lgkmcnt(1)
	v_add3_u32 v4, v36, v34, v3
	;; [unrolled: 2-line block ×3, first 2 shown]
                                        ; implicit-def: $vgpr9
                                        ; implicit-def: $vgpr7
                                        ; implicit-def: $vgpr2
                                        ; implicit-def: $vgpr11
	s_cbranch_vccnz .LBB13_3
; %bb.19:                               ;   in Loop: Header=BB13_4 Depth=2
	v_lshlrev_b32_e32 v1, 2, v38
	v_lshlrev_b32_e32 v2, 2, v35
	;; [unrolled: 1-line block ×4, first 2 shown]
	s_barrier
	ds_write_b32 v1, v33
	ds_write_b32 v2, v32
	;; [unrolled: 1-line block ×4, first 2 shown]
	s_waitcnt lgkmcnt(0)
	s_barrier
	ds_read2st64_b32 v[6:7], v17 offset1:1
	ds_read2st64_b32 v[8:9], v17 offset0:2 offset1:3
	s_waitcnt lgkmcnt(0)
	s_barrier
	ds_write_b32 v1, v28
	ds_write_b32 v2, v27
	;; [unrolled: 1-line block ×4, first 2 shown]
	s_waitcnt lgkmcnt(0)
	s_barrier
	ds_read2st64_b32 v[10:11], v17 offset1:1
	ds_read2st64_b32 v[1:2], v17 offset0:2 offset1:3
	v_add_u32_e32 v30, 8, v30
	s_mov_b64 s[34:35], 0
	s_waitcnt lgkmcnt(0)
	s_barrier
	s_branch .LBB13_3
.LBB13_20:
	s_add_u32 s0, s38, s40
	s_waitcnt lgkmcnt(0)
	v_add_u32_e32 v1, v8, v1
	s_addc_u32 s1, s39, s41
	v_lshlrev_b32_e32 v0, 2, v0
	v_add_u32_e32 v2, v9, v2
	v_add_u32_e32 v3, v6, v3
	v_add_u32_e32 v4, v7, v4
	global_store_dword v0, v1, s[0:1]
	global_store_dword v0, v2, s[0:1] offset:512
	global_store_dword v0, v3, s[0:1] offset:1024
	;; [unrolled: 1-line block ×3, first 2 shown]
	s_endpgm
	.section	.rodata,"a",@progbits
	.p2align	6, 0x0
	.amdhsa_kernel _Z17sort_pairs_kernelI22helper_blocked_blockediLj128ELj4ELj10EEvPKT0_PS1_
		.amdhsa_group_segment_fixed_size 2064
		.amdhsa_private_segment_fixed_size 0
		.amdhsa_kernarg_size 272
		.amdhsa_user_sgpr_count 6
		.amdhsa_user_sgpr_private_segment_buffer 1
		.amdhsa_user_sgpr_dispatch_ptr 0
		.amdhsa_user_sgpr_queue_ptr 0
		.amdhsa_user_sgpr_kernarg_segment_ptr 1
		.amdhsa_user_sgpr_dispatch_id 0
		.amdhsa_user_sgpr_flat_scratch_init 0
		.amdhsa_user_sgpr_private_segment_size 0
		.amdhsa_uses_dynamic_stack 0
		.amdhsa_system_sgpr_private_segment_wavefront_offset 0
		.amdhsa_system_sgpr_workgroup_id_x 1
		.amdhsa_system_sgpr_workgroup_id_y 0
		.amdhsa_system_sgpr_workgroup_id_z 0
		.amdhsa_system_sgpr_workgroup_info 0
		.amdhsa_system_vgpr_workitem_id 2
		.amdhsa_next_free_vgpr 41
		.amdhsa_next_free_sgpr 61
		.amdhsa_reserve_vcc 1
		.amdhsa_reserve_flat_scratch 0
		.amdhsa_float_round_mode_32 0
		.amdhsa_float_round_mode_16_64 0
		.amdhsa_float_denorm_mode_32 3
		.amdhsa_float_denorm_mode_16_64 3
		.amdhsa_dx10_clamp 1
		.amdhsa_ieee_mode 1
		.amdhsa_fp16_overflow 0
		.amdhsa_exception_fp_ieee_invalid_op 0
		.amdhsa_exception_fp_denorm_src 0
		.amdhsa_exception_fp_ieee_div_zero 0
		.amdhsa_exception_fp_ieee_overflow 0
		.amdhsa_exception_fp_ieee_underflow 0
		.amdhsa_exception_fp_ieee_inexact 0
		.amdhsa_exception_int_div_zero 0
	.end_amdhsa_kernel
	.section	.text._Z17sort_pairs_kernelI22helper_blocked_blockediLj128ELj4ELj10EEvPKT0_PS1_,"axG",@progbits,_Z17sort_pairs_kernelI22helper_blocked_blockediLj128ELj4ELj10EEvPKT0_PS1_,comdat
.Lfunc_end13:
	.size	_Z17sort_pairs_kernelI22helper_blocked_blockediLj128ELj4ELj10EEvPKT0_PS1_, .Lfunc_end13-_Z17sort_pairs_kernelI22helper_blocked_blockediLj128ELj4ELj10EEvPKT0_PS1_
                                        ; -- End function
	.set _Z17sort_pairs_kernelI22helper_blocked_blockediLj128ELj4ELj10EEvPKT0_PS1_.num_vgpr, 41
	.set _Z17sort_pairs_kernelI22helper_blocked_blockediLj128ELj4ELj10EEvPKT0_PS1_.num_agpr, 0
	.set _Z17sort_pairs_kernelI22helper_blocked_blockediLj128ELj4ELj10EEvPKT0_PS1_.numbered_sgpr, 46
	.set _Z17sort_pairs_kernelI22helper_blocked_blockediLj128ELj4ELj10EEvPKT0_PS1_.num_named_barrier, 0
	.set _Z17sort_pairs_kernelI22helper_blocked_blockediLj128ELj4ELj10EEvPKT0_PS1_.private_seg_size, 0
	.set _Z17sort_pairs_kernelI22helper_blocked_blockediLj128ELj4ELj10EEvPKT0_PS1_.uses_vcc, 1
	.set _Z17sort_pairs_kernelI22helper_blocked_blockediLj128ELj4ELj10EEvPKT0_PS1_.uses_flat_scratch, 0
	.set _Z17sort_pairs_kernelI22helper_blocked_blockediLj128ELj4ELj10EEvPKT0_PS1_.has_dyn_sized_stack, 0
	.set _Z17sort_pairs_kernelI22helper_blocked_blockediLj128ELj4ELj10EEvPKT0_PS1_.has_recursion, 0
	.set _Z17sort_pairs_kernelI22helper_blocked_blockediLj128ELj4ELj10EEvPKT0_PS1_.has_indirect_call, 0
	.section	.AMDGPU.csdata,"",@progbits
; Kernel info:
; codeLenInByte = 3444
; TotalNumSgprs: 50
; NumVgprs: 41
; ScratchSize: 0
; MemoryBound: 0
; FloatMode: 240
; IeeeMode: 1
; LDSByteSize: 2064 bytes/workgroup (compile time only)
; SGPRBlocks: 8
; VGPRBlocks: 10
; NumSGPRsForWavesPerEU: 65
; NumVGPRsForWavesPerEU: 41
; Occupancy: 5
; WaveLimiterHint : 1
; COMPUTE_PGM_RSRC2:SCRATCH_EN: 0
; COMPUTE_PGM_RSRC2:USER_SGPR: 6
; COMPUTE_PGM_RSRC2:TRAP_HANDLER: 0
; COMPUTE_PGM_RSRC2:TGID_X_EN: 1
; COMPUTE_PGM_RSRC2:TGID_Y_EN: 0
; COMPUTE_PGM_RSRC2:TGID_Z_EN: 0
; COMPUTE_PGM_RSRC2:TIDIG_COMP_CNT: 2
	.section	.text._Z16sort_keys_kernelI22helper_blocked_blockediLj128ELj8ELj10EEvPKT0_PS1_,"axG",@progbits,_Z16sort_keys_kernelI22helper_blocked_blockediLj128ELj8ELj10EEvPKT0_PS1_,comdat
	.protected	_Z16sort_keys_kernelI22helper_blocked_blockediLj128ELj8ELj10EEvPKT0_PS1_ ; -- Begin function _Z16sort_keys_kernelI22helper_blocked_blockediLj128ELj8ELj10EEvPKT0_PS1_
	.globl	_Z16sort_keys_kernelI22helper_blocked_blockediLj128ELj8ELj10EEvPKT0_PS1_
	.p2align	8
	.type	_Z16sort_keys_kernelI22helper_blocked_blockediLj128ELj8ELj10EEvPKT0_PS1_,@function
_Z16sort_keys_kernelI22helper_blocked_blockediLj128ELj8ELj10EEvPKT0_PS1_: ; @_Z16sort_keys_kernelI22helper_blocked_blockediLj128ELj8ELj10EEvPKT0_PS1_
; %bb.0:
	s_load_dwordx4 s[24:27], s[4:5], 0x0
	s_load_dword s2, s[4:5], 0x1c
	s_lshl_b32 s28, s6, 10
	s_mov_b32 s29, 0
	s_lshl_b64 s[30:31], s[28:29], 2
	s_waitcnt lgkmcnt(0)
	s_add_u32 s0, s24, s30
	s_addc_u32 s1, s25, s31
	v_lshlrev_b32_e32 v5, 2, v0
	global_load_dword v3, v5, s[0:1]
	global_load_dword v4, v5, s[0:1] offset:512
	global_load_dword v6, v5, s[0:1] offset:1024
	;; [unrolled: 1-line block ×7, first 2 shown]
	v_mbcnt_lo_u32_b32 v7, -1, 0
	v_mbcnt_hi_u32_b32 v7, -1, v7
	s_lshr_b32 s0, s2, 16
	s_and_b32 s1, s2, 0xffff
	v_mad_u32_u24 v1, v2, s0, v1
	v_and_b32_e32 v2, 15, v7
	v_and_b32_e32 v8, 64, v0
	v_mad_u32_u24 v1, v1, s1, v0
	v_cmp_eq_u32_e64 s[0:1], 0, v2
	v_cmp_lt_u32_e64 s[2:3], 1, v2
	v_cmp_lt_u32_e64 s[4:5], 3, v2
	;; [unrolled: 1-line block ×3, first 2 shown]
	v_and_b32_e32 v2, 16, v7
	v_cmp_eq_u32_e64 s[8:9], 0, v2
	v_or_b32_e32 v2, 63, v8
	v_add_lshl_u32 v15, v7, v8, 5
	v_cmp_eq_u32_e64 s[12:13], v0, v2
	v_subrev_co_u32_e64 v2, s[18:19], 1, v7
	v_and_b32_e32 v8, 64, v7
	v_cmp_lt_i32_e32 vcc, v2, v8
	v_lshlrev_b32_e32 v9, 5, v0
	v_cndmask_b32_e32 v2, v2, v7, vcc
	v_and_b32_e32 v9, 0x800, v9
	v_lshlrev_b32_e32 v17, 4, v0
	v_lshlrev_b32_e32 v18, 2, v2
	v_lshrrev_b32_e32 v2, 4, v0
	v_lshrrev_b32_e32 v1, 4, v1
	s_mov_b32 s28, s29
	s_mov_b32 s24, s29
	v_lshl_or_b32 v16, v7, 2, v9
	v_cmp_lt_u32_e64 s[10:11], 31, v7
	v_and_b32_e32 v19, 4, v2
	v_mad_i32_i24 v20, v0, -12, v17
	v_and_b32_e32 v2, 1, v7
	v_and_b32_e32 v22, 0xffffffc, v1
	v_mul_u32_u24_e32 v1, 28, v0
	s_mov_b32 s25, s29
	v_mov_b32_e32 v7, s28
	v_mov_b32_e32 v9, s24
	;; [unrolled: 1-line block ×3, first 2 shown]
	v_cmp_gt_u32_e64 s[14:15], 2, v0
	v_cmp_lt_u32_e64 s[16:17], 63, v0
	v_cmp_eq_u32_e64 s[20:21], 0, v0
	v_cmp_eq_u32_e64 s[22:23], 0, v2
	v_add_u32_e32 v21, -4, v19
	v_mov_b32_e32 v8, s29
	v_mov_b32_e32 v10, s25
	v_add_u32_e32 v23, v20, v1
	v_mov_b32_e32 v24, 3
	s_branch .LBB14_2
.LBB14_1:                               ;   in Loop: Header=BB14_2 Depth=1
	v_lshlrev_b32_e32 v1, 2, v45
	s_barrier
	ds_write_b32 v1, v33
	v_lshlrev_b32_e32 v1, 2, v42
	ds_write_b32 v1, v32
	v_lshlrev_b32_e32 v1, 2, v39
	;; [unrolled: 2-line block ×7, first 2 shown]
	ds_write_b32 v1, v25
	s_waitcnt lgkmcnt(0)
	s_barrier
	ds_read2_b64 v[11:14], v23 offset1:1
	ds_read2_b64 v[25:28], v23 offset0:2 offset1:3
	s_add_i32 s29, s29, 1
	s_cmp_eq_u32 s29, 10
	s_waitcnt lgkmcnt(1)
	v_xor_b32_e32 v3, 0x80000000, v11
	v_xor_b32_e32 v4, 0x80000000, v12
	;; [unrolled: 1-line block ×4, first 2 shown]
	s_waitcnt lgkmcnt(0)
	v_xor_b32_e32 v12, 0x80000000, v25
	v_xor_b32_e32 v13, 0x80000000, v26
	v_xor_b32_e32 v14, 0x80000000, v27
	v_xor_b32_e32 v25, 0x80000000, v28
	s_cbranch_scc1 .LBB14_28
.LBB14_2:                               ; =>This Loop Header: Depth=1
                                        ;     Child Loop BB14_4 Depth 2
	s_waitcnt vmcnt(7)
	v_xor_b32_e32 v1, 0x80000000, v3
	s_waitcnt vmcnt(6)
	v_xor_b32_e32 v2, 0x80000000, v4
	;; [unrolled: 2-line block ×8, first 2 shown]
	ds_write2_b64 v15, v[1:2], v[3:4] offset1:1
	ds_write2_b64 v15, v[11:12], v[13:14] offset0:2 offset1:3
	; wave barrier
	ds_read2st64_b32 v[1:2], v16 offset1:1
	ds_read2st64_b32 v[3:4], v16 offset0:2 offset1:3
	ds_read2st64_b32 v[11:12], v16 offset0:4 offset1:5
	;; [unrolled: 1-line block ×3, first 2 shown]
	v_mov_b32_e32 v29, v5
	s_waitcnt lgkmcnt(0)
	s_barrier
	; wave barrier
	s_barrier
	s_branch .LBB14_4
.LBB14_3:                               ;   in Loop: Header=BB14_4 Depth=2
	s_andn2_b64 vcc, exec, s[24:25]
	s_cbranch_vccz .LBB14_1
.LBB14_4:                               ;   Parent Loop BB14_2 Depth=1
                                        ; =>  This Inner Loop Header: Depth=2
	v_mov_b32_e32 v33, v1
	v_lshrrev_b32_e32 v1, v29, v33
	v_mov_b32_e32 v32, v2
	v_and_b32_e32 v2, 1, v1
	v_mov_b32_e32 v30, v4
	v_add_co_u32_e32 v4, vcc, -1, v2
	v_addc_co_u32_e64 v6, s[24:25], 0, -1, vcc
	v_cmp_ne_u32_e32 vcc, 0, v2
	v_xor_b32_e32 v2, vcc_hi, v6
	v_lshlrev_b32_e32 v6, 30, v1
	v_xor_b32_e32 v4, vcc_lo, v4
	v_cmp_gt_i64_e32 vcc, 0, v[5:6]
	v_not_b32_e32 v6, v6
	v_ashrrev_i32_e32 v6, 31, v6
	v_mov_b32_e32 v28, v11
	v_and_b32_e32 v4, exec_lo, v4
	v_xor_b32_e32 v11, vcc_hi, v6
	v_xor_b32_e32 v6, vcc_lo, v6
	v_and_b32_e32 v4, v4, v6
	v_lshlrev_b32_e32 v6, 29, v1
	v_cmp_gt_i64_e32 vcc, 0, v[5:6]
	v_not_b32_e32 v6, v6
	v_and_b32_e32 v2, exec_hi, v2
	v_ashrrev_i32_e32 v6, 31, v6
	v_and_b32_e32 v2, v2, v11
	v_xor_b32_e32 v11, vcc_hi, v6
	v_xor_b32_e32 v6, vcc_lo, v6
	v_and_b32_e32 v4, v4, v6
	v_lshlrev_b32_e32 v6, 28, v1
	v_cmp_gt_i64_e32 vcc, 0, v[5:6]
	v_not_b32_e32 v6, v6
	v_ashrrev_i32_e32 v6, 31, v6
	v_and_b32_e32 v2, v2, v11
	v_xor_b32_e32 v11, vcc_hi, v6
	v_xor_b32_e32 v6, vcc_lo, v6
	v_and_b32_e32 v4, v4, v6
	v_lshlrev_b32_e32 v6, 27, v1
	v_cmp_gt_i64_e32 vcc, 0, v[5:6]
	v_not_b32_e32 v6, v6
	;; [unrolled: 8-line block ×4, first 2 shown]
	v_ashrrev_i32_e32 v6, 31, v6
	v_and_b32_e32 v2, v2, v11
	v_xor_b32_e32 v11, vcc_hi, v6
	v_xor_b32_e32 v6, vcc_lo, v6
	v_and_b32_e32 v4, v4, v6
	v_lshlrev_b32_e32 v6, 24, v1
	v_mov_b32_e32 v31, v3
	v_lshlrev_b32_sdwa v3, v24, v1 dst_sel:DWORD dst_unused:UNUSED_PAD src0_sel:DWORD src1_sel:BYTE_0
	v_cmp_gt_i64_e32 vcc, 0, v[5:6]
	v_not_b32_e32 v1, v6
	v_ashrrev_i32_e32 v1, 31, v1
	v_xor_b32_e32 v6, vcc_hi, v1
	v_xor_b32_e32 v1, vcc_lo, v1
	v_and_b32_e32 v2, v2, v11
	v_and_b32_e32 v1, v4, v1
	;; [unrolled: 1-line block ×3, first 2 shown]
	v_mbcnt_lo_u32_b32 v4, v1, 0
	v_mbcnt_hi_u32_b32 v11, v2, v4
	v_cmp_ne_u64_e32 vcc, 0, v[1:2]
	v_cmp_eq_u32_e64 s[24:25], 0, v11
	v_mov_b32_e32 v25, v14
	v_mov_b32_e32 v26, v13
	;; [unrolled: 1-line block ×3, first 2 shown]
	s_and_b64 s[34:35], vcc, s[24:25]
	v_add_u32_e32 v12, v22, v3
	ds_write2_b64 v17, v[7:8], v[9:10] offset0:1 offset1:2
	s_waitcnt lgkmcnt(0)
	s_barrier
	; wave barrier
	s_and_saveexec_b64 s[24:25], s[34:35]
; %bb.5:                                ;   in Loop: Header=BB14_4 Depth=2
	v_bcnt_u32_b32 v1, v1, 0
	v_bcnt_u32_b32 v1, v2, v1
	ds_write_b32 v12, v1 offset:8
; %bb.6:                                ;   in Loop: Header=BB14_4 Depth=2
	s_or_b64 exec, exec, s[24:25]
	v_lshrrev_b32_e32 v1, v29, v32
	v_lshlrev_b32_sdwa v2, v24, v1 dst_sel:DWORD dst_unused:UNUSED_PAD src0_sel:DWORD src1_sel:BYTE_0
	v_add_u32_e32 v14, v22, v2
	v_and_b32_e32 v2, 1, v1
	v_add_co_u32_e32 v3, vcc, -1, v2
	v_addc_co_u32_e64 v4, s[24:25], 0, -1, vcc
	v_cmp_ne_u32_e32 vcc, 0, v2
	v_lshlrev_b32_e32 v6, 30, v1
	v_xor_b32_e32 v2, vcc_hi, v4
	v_xor_b32_e32 v3, vcc_lo, v3
	v_cmp_gt_i64_e32 vcc, 0, v[5:6]
	v_not_b32_e32 v4, v6
	v_ashrrev_i32_e32 v4, 31, v4
	v_and_b32_e32 v2, exec_hi, v2
	v_xor_b32_e32 v6, vcc_hi, v4
	v_and_b32_e32 v3, exec_lo, v3
	v_xor_b32_e32 v4, vcc_lo, v4
	v_and_b32_e32 v2, v2, v6
	v_lshlrev_b32_e32 v6, 29, v1
	v_and_b32_e32 v3, v3, v4
	v_cmp_gt_i64_e32 vcc, 0, v[5:6]
	v_not_b32_e32 v4, v6
	v_ashrrev_i32_e32 v4, 31, v4
	v_xor_b32_e32 v6, vcc_hi, v4
	v_xor_b32_e32 v4, vcc_lo, v4
	v_and_b32_e32 v2, v2, v6
	v_lshlrev_b32_e32 v6, 28, v1
	v_and_b32_e32 v3, v3, v4
	v_cmp_gt_i64_e32 vcc, 0, v[5:6]
	v_not_b32_e32 v4, v6
	v_ashrrev_i32_e32 v4, 31, v4
	v_xor_b32_e32 v6, vcc_hi, v4
	;; [unrolled: 8-line block ×5, first 2 shown]
	v_and_b32_e32 v2, v2, v6
	v_lshlrev_b32_e32 v6, 24, v1
	v_xor_b32_e32 v4, vcc_lo, v4
	v_cmp_gt_i64_e32 vcc, 0, v[5:6]
	v_not_b32_e32 v1, v6
	v_ashrrev_i32_e32 v1, 31, v1
	v_and_b32_e32 v3, v3, v4
	v_xor_b32_e32 v4, vcc_hi, v1
	v_xor_b32_e32 v1, vcc_lo, v1
	; wave barrier
	ds_read_b32 v13, v14 offset:8
	v_and_b32_e32 v1, v3, v1
	v_and_b32_e32 v2, v2, v4
	v_mbcnt_lo_u32_b32 v3, v1, 0
	v_mbcnt_hi_u32_b32 v34, v2, v3
	v_cmp_ne_u64_e32 vcc, 0, v[1:2]
	v_cmp_eq_u32_e64 s[24:25], 0, v34
	s_and_b64 s[34:35], vcc, s[24:25]
	; wave barrier
	s_and_saveexec_b64 s[24:25], s[34:35]
	s_cbranch_execz .LBB14_8
; %bb.7:                                ;   in Loop: Header=BB14_4 Depth=2
	v_bcnt_u32_b32 v1, v1, 0
	v_bcnt_u32_b32 v1, v2, v1
	s_waitcnt lgkmcnt(0)
	v_add_u32_e32 v1, v13, v1
	ds_write_b32 v14, v1 offset:8
.LBB14_8:                               ;   in Loop: Header=BB14_4 Depth=2
	s_or_b64 exec, exec, s[24:25]
	v_lshrrev_b32_e32 v1, v29, v31
	v_lshlrev_b32_sdwa v2, v24, v1 dst_sel:DWORD dst_unused:UNUSED_PAD src0_sel:DWORD src1_sel:BYTE_0
	v_add_u32_e32 v36, v22, v2
	v_and_b32_e32 v2, 1, v1
	v_add_co_u32_e32 v3, vcc, -1, v2
	v_addc_co_u32_e64 v4, s[24:25], 0, -1, vcc
	v_cmp_ne_u32_e32 vcc, 0, v2
	v_lshlrev_b32_e32 v6, 30, v1
	v_xor_b32_e32 v2, vcc_hi, v4
	v_xor_b32_e32 v3, vcc_lo, v3
	v_cmp_gt_i64_e32 vcc, 0, v[5:6]
	v_not_b32_e32 v4, v6
	v_ashrrev_i32_e32 v4, 31, v4
	v_and_b32_e32 v2, exec_hi, v2
	v_xor_b32_e32 v6, vcc_hi, v4
	v_and_b32_e32 v3, exec_lo, v3
	v_xor_b32_e32 v4, vcc_lo, v4
	v_and_b32_e32 v2, v2, v6
	v_lshlrev_b32_e32 v6, 29, v1
	v_and_b32_e32 v3, v3, v4
	v_cmp_gt_i64_e32 vcc, 0, v[5:6]
	v_not_b32_e32 v4, v6
	v_ashrrev_i32_e32 v4, 31, v4
	v_xor_b32_e32 v6, vcc_hi, v4
	v_xor_b32_e32 v4, vcc_lo, v4
	v_and_b32_e32 v2, v2, v6
	v_lshlrev_b32_e32 v6, 28, v1
	v_and_b32_e32 v3, v3, v4
	v_cmp_gt_i64_e32 vcc, 0, v[5:6]
	v_not_b32_e32 v4, v6
	v_ashrrev_i32_e32 v4, 31, v4
	v_xor_b32_e32 v6, vcc_hi, v4
	;; [unrolled: 8-line block ×5, first 2 shown]
	v_and_b32_e32 v2, v2, v6
	v_lshlrev_b32_e32 v6, 24, v1
	v_xor_b32_e32 v4, vcc_lo, v4
	v_cmp_gt_i64_e32 vcc, 0, v[5:6]
	v_not_b32_e32 v1, v6
	v_ashrrev_i32_e32 v1, 31, v1
	v_and_b32_e32 v3, v3, v4
	v_xor_b32_e32 v4, vcc_hi, v1
	v_xor_b32_e32 v1, vcc_lo, v1
	; wave barrier
	ds_read_b32 v35, v36 offset:8
	v_and_b32_e32 v1, v3, v1
	v_and_b32_e32 v2, v2, v4
	v_mbcnt_lo_u32_b32 v3, v1, 0
	v_mbcnt_hi_u32_b32 v37, v2, v3
	v_cmp_ne_u64_e32 vcc, 0, v[1:2]
	v_cmp_eq_u32_e64 s[24:25], 0, v37
	s_and_b64 s[34:35], vcc, s[24:25]
	; wave barrier
	s_and_saveexec_b64 s[24:25], s[34:35]
	s_cbranch_execz .LBB14_10
; %bb.9:                                ;   in Loop: Header=BB14_4 Depth=2
	v_bcnt_u32_b32 v1, v1, 0
	v_bcnt_u32_b32 v1, v2, v1
	s_waitcnt lgkmcnt(0)
	v_add_u32_e32 v1, v35, v1
	ds_write_b32 v36, v1 offset:8
.LBB14_10:                              ;   in Loop: Header=BB14_4 Depth=2
	s_or_b64 exec, exec, s[24:25]
	v_lshrrev_b32_e32 v1, v29, v30
	v_lshlrev_b32_sdwa v2, v24, v1 dst_sel:DWORD dst_unused:UNUSED_PAD src0_sel:DWORD src1_sel:BYTE_0
	v_add_u32_e32 v39, v22, v2
	v_and_b32_e32 v2, 1, v1
	v_add_co_u32_e32 v3, vcc, -1, v2
	v_addc_co_u32_e64 v4, s[24:25], 0, -1, vcc
	v_cmp_ne_u32_e32 vcc, 0, v2
	v_lshlrev_b32_e32 v6, 30, v1
	v_xor_b32_e32 v2, vcc_hi, v4
	v_xor_b32_e32 v3, vcc_lo, v3
	v_cmp_gt_i64_e32 vcc, 0, v[5:6]
	v_not_b32_e32 v4, v6
	v_ashrrev_i32_e32 v4, 31, v4
	v_and_b32_e32 v2, exec_hi, v2
	v_xor_b32_e32 v6, vcc_hi, v4
	v_and_b32_e32 v3, exec_lo, v3
	v_xor_b32_e32 v4, vcc_lo, v4
	v_and_b32_e32 v2, v2, v6
	v_lshlrev_b32_e32 v6, 29, v1
	v_and_b32_e32 v3, v3, v4
	v_cmp_gt_i64_e32 vcc, 0, v[5:6]
	v_not_b32_e32 v4, v6
	v_ashrrev_i32_e32 v4, 31, v4
	v_xor_b32_e32 v6, vcc_hi, v4
	v_xor_b32_e32 v4, vcc_lo, v4
	v_and_b32_e32 v2, v2, v6
	v_lshlrev_b32_e32 v6, 28, v1
	v_and_b32_e32 v3, v3, v4
	v_cmp_gt_i64_e32 vcc, 0, v[5:6]
	v_not_b32_e32 v4, v6
	v_ashrrev_i32_e32 v4, 31, v4
	v_xor_b32_e32 v6, vcc_hi, v4
	;; [unrolled: 8-line block ×5, first 2 shown]
	v_and_b32_e32 v2, v2, v6
	v_lshlrev_b32_e32 v6, 24, v1
	v_xor_b32_e32 v4, vcc_lo, v4
	v_cmp_gt_i64_e32 vcc, 0, v[5:6]
	v_not_b32_e32 v1, v6
	v_ashrrev_i32_e32 v1, 31, v1
	v_and_b32_e32 v3, v3, v4
	v_xor_b32_e32 v4, vcc_hi, v1
	v_xor_b32_e32 v1, vcc_lo, v1
	; wave barrier
	ds_read_b32 v38, v39 offset:8
	v_and_b32_e32 v1, v3, v1
	v_and_b32_e32 v2, v2, v4
	v_mbcnt_lo_u32_b32 v3, v1, 0
	v_mbcnt_hi_u32_b32 v40, v2, v3
	v_cmp_ne_u64_e32 vcc, 0, v[1:2]
	v_cmp_eq_u32_e64 s[24:25], 0, v40
	s_and_b64 s[34:35], vcc, s[24:25]
	; wave barrier
	s_and_saveexec_b64 s[24:25], s[34:35]
	s_cbranch_execz .LBB14_12
; %bb.11:                               ;   in Loop: Header=BB14_4 Depth=2
	v_bcnt_u32_b32 v1, v1, 0
	v_bcnt_u32_b32 v1, v2, v1
	s_waitcnt lgkmcnt(0)
	v_add_u32_e32 v1, v38, v1
	ds_write_b32 v39, v1 offset:8
.LBB14_12:                              ;   in Loop: Header=BB14_4 Depth=2
	s_or_b64 exec, exec, s[24:25]
	v_lshrrev_b32_e32 v1, v29, v28
	v_lshlrev_b32_sdwa v2, v24, v1 dst_sel:DWORD dst_unused:UNUSED_PAD src0_sel:DWORD src1_sel:BYTE_0
	v_add_u32_e32 v42, v22, v2
	v_and_b32_e32 v2, 1, v1
	v_add_co_u32_e32 v3, vcc, -1, v2
	v_addc_co_u32_e64 v4, s[24:25], 0, -1, vcc
	v_cmp_ne_u32_e32 vcc, 0, v2
	v_lshlrev_b32_e32 v6, 30, v1
	v_xor_b32_e32 v2, vcc_hi, v4
	v_xor_b32_e32 v3, vcc_lo, v3
	v_cmp_gt_i64_e32 vcc, 0, v[5:6]
	v_not_b32_e32 v4, v6
	v_ashrrev_i32_e32 v4, 31, v4
	v_and_b32_e32 v2, exec_hi, v2
	v_xor_b32_e32 v6, vcc_hi, v4
	v_and_b32_e32 v3, exec_lo, v3
	v_xor_b32_e32 v4, vcc_lo, v4
	v_and_b32_e32 v2, v2, v6
	v_lshlrev_b32_e32 v6, 29, v1
	v_and_b32_e32 v3, v3, v4
	v_cmp_gt_i64_e32 vcc, 0, v[5:6]
	v_not_b32_e32 v4, v6
	v_ashrrev_i32_e32 v4, 31, v4
	v_xor_b32_e32 v6, vcc_hi, v4
	v_xor_b32_e32 v4, vcc_lo, v4
	v_and_b32_e32 v2, v2, v6
	v_lshlrev_b32_e32 v6, 28, v1
	v_and_b32_e32 v3, v3, v4
	v_cmp_gt_i64_e32 vcc, 0, v[5:6]
	v_not_b32_e32 v4, v6
	v_ashrrev_i32_e32 v4, 31, v4
	v_xor_b32_e32 v6, vcc_hi, v4
	;; [unrolled: 8-line block ×5, first 2 shown]
	v_and_b32_e32 v2, v2, v6
	v_lshlrev_b32_e32 v6, 24, v1
	v_xor_b32_e32 v4, vcc_lo, v4
	v_cmp_gt_i64_e32 vcc, 0, v[5:6]
	v_not_b32_e32 v1, v6
	v_ashrrev_i32_e32 v1, 31, v1
	v_and_b32_e32 v3, v3, v4
	v_xor_b32_e32 v4, vcc_hi, v1
	v_xor_b32_e32 v1, vcc_lo, v1
	; wave barrier
	ds_read_b32 v41, v42 offset:8
	v_and_b32_e32 v1, v3, v1
	v_and_b32_e32 v2, v2, v4
	v_mbcnt_lo_u32_b32 v3, v1, 0
	v_mbcnt_hi_u32_b32 v43, v2, v3
	v_cmp_ne_u64_e32 vcc, 0, v[1:2]
	v_cmp_eq_u32_e64 s[24:25], 0, v43
	s_and_b64 s[34:35], vcc, s[24:25]
	; wave barrier
	s_and_saveexec_b64 s[24:25], s[34:35]
	s_cbranch_execz .LBB14_14
; %bb.13:                               ;   in Loop: Header=BB14_4 Depth=2
	v_bcnt_u32_b32 v1, v1, 0
	v_bcnt_u32_b32 v1, v2, v1
	s_waitcnt lgkmcnt(0)
	v_add_u32_e32 v1, v41, v1
	ds_write_b32 v42, v1 offset:8
.LBB14_14:                              ;   in Loop: Header=BB14_4 Depth=2
	s_or_b64 exec, exec, s[24:25]
	v_lshrrev_b32_e32 v1, v29, v27
	v_lshlrev_b32_sdwa v2, v24, v1 dst_sel:DWORD dst_unused:UNUSED_PAD src0_sel:DWORD src1_sel:BYTE_0
	v_add_u32_e32 v45, v22, v2
	v_and_b32_e32 v2, 1, v1
	v_add_co_u32_e32 v3, vcc, -1, v2
	v_addc_co_u32_e64 v4, s[24:25], 0, -1, vcc
	v_cmp_ne_u32_e32 vcc, 0, v2
	v_lshlrev_b32_e32 v6, 30, v1
	v_xor_b32_e32 v2, vcc_hi, v4
	v_xor_b32_e32 v3, vcc_lo, v3
	v_cmp_gt_i64_e32 vcc, 0, v[5:6]
	v_not_b32_e32 v4, v6
	v_ashrrev_i32_e32 v4, 31, v4
	v_and_b32_e32 v2, exec_hi, v2
	v_xor_b32_e32 v6, vcc_hi, v4
	v_and_b32_e32 v3, exec_lo, v3
	v_xor_b32_e32 v4, vcc_lo, v4
	v_and_b32_e32 v2, v2, v6
	v_lshlrev_b32_e32 v6, 29, v1
	v_and_b32_e32 v3, v3, v4
	v_cmp_gt_i64_e32 vcc, 0, v[5:6]
	v_not_b32_e32 v4, v6
	v_ashrrev_i32_e32 v4, 31, v4
	v_xor_b32_e32 v6, vcc_hi, v4
	v_xor_b32_e32 v4, vcc_lo, v4
	v_and_b32_e32 v2, v2, v6
	v_lshlrev_b32_e32 v6, 28, v1
	v_and_b32_e32 v3, v3, v4
	v_cmp_gt_i64_e32 vcc, 0, v[5:6]
	v_not_b32_e32 v4, v6
	v_ashrrev_i32_e32 v4, 31, v4
	v_xor_b32_e32 v6, vcc_hi, v4
	;; [unrolled: 8-line block ×5, first 2 shown]
	v_and_b32_e32 v2, v2, v6
	v_lshlrev_b32_e32 v6, 24, v1
	v_xor_b32_e32 v4, vcc_lo, v4
	v_cmp_gt_i64_e32 vcc, 0, v[5:6]
	v_not_b32_e32 v1, v6
	v_ashrrev_i32_e32 v1, 31, v1
	v_and_b32_e32 v3, v3, v4
	v_xor_b32_e32 v4, vcc_hi, v1
	v_xor_b32_e32 v1, vcc_lo, v1
	; wave barrier
	ds_read_b32 v44, v45 offset:8
	v_and_b32_e32 v1, v3, v1
	v_and_b32_e32 v2, v2, v4
	v_mbcnt_lo_u32_b32 v3, v1, 0
	v_mbcnt_hi_u32_b32 v46, v2, v3
	v_cmp_ne_u64_e32 vcc, 0, v[1:2]
	v_cmp_eq_u32_e64 s[24:25], 0, v46
	s_and_b64 s[34:35], vcc, s[24:25]
	; wave barrier
	s_and_saveexec_b64 s[24:25], s[34:35]
	s_cbranch_execz .LBB14_16
; %bb.15:                               ;   in Loop: Header=BB14_4 Depth=2
	v_bcnt_u32_b32 v1, v1, 0
	v_bcnt_u32_b32 v1, v2, v1
	s_waitcnt lgkmcnt(0)
	v_add_u32_e32 v1, v44, v1
	ds_write_b32 v45, v1 offset:8
.LBB14_16:                              ;   in Loop: Header=BB14_4 Depth=2
	s_or_b64 exec, exec, s[24:25]
	v_lshrrev_b32_e32 v1, v29, v26
	v_lshlrev_b32_sdwa v2, v24, v1 dst_sel:DWORD dst_unused:UNUSED_PAD src0_sel:DWORD src1_sel:BYTE_0
	v_add_u32_e32 v48, v22, v2
	v_and_b32_e32 v2, 1, v1
	v_add_co_u32_e32 v3, vcc, -1, v2
	v_addc_co_u32_e64 v4, s[24:25], 0, -1, vcc
	v_cmp_ne_u32_e32 vcc, 0, v2
	v_lshlrev_b32_e32 v6, 30, v1
	v_xor_b32_e32 v2, vcc_hi, v4
	v_xor_b32_e32 v3, vcc_lo, v3
	v_cmp_gt_i64_e32 vcc, 0, v[5:6]
	v_not_b32_e32 v4, v6
	v_ashrrev_i32_e32 v4, 31, v4
	v_and_b32_e32 v2, exec_hi, v2
	v_xor_b32_e32 v6, vcc_hi, v4
	v_and_b32_e32 v3, exec_lo, v3
	v_xor_b32_e32 v4, vcc_lo, v4
	v_and_b32_e32 v2, v2, v6
	v_lshlrev_b32_e32 v6, 29, v1
	v_and_b32_e32 v3, v3, v4
	v_cmp_gt_i64_e32 vcc, 0, v[5:6]
	v_not_b32_e32 v4, v6
	v_ashrrev_i32_e32 v4, 31, v4
	v_xor_b32_e32 v6, vcc_hi, v4
	v_xor_b32_e32 v4, vcc_lo, v4
	v_and_b32_e32 v2, v2, v6
	v_lshlrev_b32_e32 v6, 28, v1
	v_and_b32_e32 v3, v3, v4
	v_cmp_gt_i64_e32 vcc, 0, v[5:6]
	v_not_b32_e32 v4, v6
	v_ashrrev_i32_e32 v4, 31, v4
	v_xor_b32_e32 v6, vcc_hi, v4
	;; [unrolled: 8-line block ×5, first 2 shown]
	v_and_b32_e32 v2, v2, v6
	v_lshlrev_b32_e32 v6, 24, v1
	v_xor_b32_e32 v4, vcc_lo, v4
	v_cmp_gt_i64_e32 vcc, 0, v[5:6]
	v_not_b32_e32 v1, v6
	v_ashrrev_i32_e32 v1, 31, v1
	v_and_b32_e32 v3, v3, v4
	v_xor_b32_e32 v4, vcc_hi, v1
	v_xor_b32_e32 v1, vcc_lo, v1
	; wave barrier
	ds_read_b32 v47, v48 offset:8
	v_and_b32_e32 v1, v3, v1
	v_and_b32_e32 v2, v2, v4
	v_mbcnt_lo_u32_b32 v3, v1, 0
	v_mbcnt_hi_u32_b32 v49, v2, v3
	v_cmp_ne_u64_e32 vcc, 0, v[1:2]
	v_cmp_eq_u32_e64 s[24:25], 0, v49
	s_and_b64 s[34:35], vcc, s[24:25]
	; wave barrier
	s_and_saveexec_b64 s[24:25], s[34:35]
	s_cbranch_execz .LBB14_18
; %bb.17:                               ;   in Loop: Header=BB14_4 Depth=2
	v_bcnt_u32_b32 v1, v1, 0
	v_bcnt_u32_b32 v1, v2, v1
	s_waitcnt lgkmcnt(0)
	v_add_u32_e32 v1, v47, v1
	ds_write_b32 v48, v1 offset:8
.LBB14_18:                              ;   in Loop: Header=BB14_4 Depth=2
	s_or_b64 exec, exec, s[24:25]
	v_lshrrev_b32_e32 v1, v29, v25
	v_lshlrev_b32_sdwa v2, v24, v1 dst_sel:DWORD dst_unused:UNUSED_PAD src0_sel:DWORD src1_sel:BYTE_0
	v_add_u32_e32 v51, v22, v2
	v_and_b32_e32 v2, 1, v1
	v_add_co_u32_e32 v3, vcc, -1, v2
	v_addc_co_u32_e64 v4, s[24:25], 0, -1, vcc
	v_cmp_ne_u32_e32 vcc, 0, v2
	v_lshlrev_b32_e32 v6, 30, v1
	v_xor_b32_e32 v2, vcc_hi, v4
	v_xor_b32_e32 v3, vcc_lo, v3
	v_cmp_gt_i64_e32 vcc, 0, v[5:6]
	v_not_b32_e32 v4, v6
	v_ashrrev_i32_e32 v4, 31, v4
	v_and_b32_e32 v2, exec_hi, v2
	v_xor_b32_e32 v6, vcc_hi, v4
	v_and_b32_e32 v3, exec_lo, v3
	v_xor_b32_e32 v4, vcc_lo, v4
	v_and_b32_e32 v2, v2, v6
	v_lshlrev_b32_e32 v6, 29, v1
	v_and_b32_e32 v3, v3, v4
	v_cmp_gt_i64_e32 vcc, 0, v[5:6]
	v_not_b32_e32 v4, v6
	v_ashrrev_i32_e32 v4, 31, v4
	v_xor_b32_e32 v6, vcc_hi, v4
	v_xor_b32_e32 v4, vcc_lo, v4
	v_and_b32_e32 v2, v2, v6
	v_lshlrev_b32_e32 v6, 28, v1
	v_and_b32_e32 v3, v3, v4
	v_cmp_gt_i64_e32 vcc, 0, v[5:6]
	v_not_b32_e32 v4, v6
	v_ashrrev_i32_e32 v4, 31, v4
	v_xor_b32_e32 v6, vcc_hi, v4
	;; [unrolled: 8-line block ×5, first 2 shown]
	v_and_b32_e32 v2, v2, v6
	v_lshlrev_b32_e32 v6, 24, v1
	v_xor_b32_e32 v4, vcc_lo, v4
	v_cmp_gt_i64_e32 vcc, 0, v[5:6]
	v_not_b32_e32 v1, v6
	v_ashrrev_i32_e32 v1, 31, v1
	v_and_b32_e32 v3, v3, v4
	v_xor_b32_e32 v4, vcc_hi, v1
	v_xor_b32_e32 v1, vcc_lo, v1
	; wave barrier
	ds_read_b32 v50, v51 offset:8
	v_and_b32_e32 v1, v3, v1
	v_and_b32_e32 v2, v2, v4
	v_mbcnt_lo_u32_b32 v3, v1, 0
	v_mbcnt_hi_u32_b32 v6, v2, v3
	v_cmp_ne_u64_e32 vcc, 0, v[1:2]
	v_cmp_eq_u32_e64 s[24:25], 0, v6
	s_and_b64 s[34:35], vcc, s[24:25]
	; wave barrier
	s_and_saveexec_b64 s[24:25], s[34:35]
	s_cbranch_execz .LBB14_20
; %bb.19:                               ;   in Loop: Header=BB14_4 Depth=2
	v_bcnt_u32_b32 v1, v1, 0
	v_bcnt_u32_b32 v1, v2, v1
	s_waitcnt lgkmcnt(0)
	v_add_u32_e32 v1, v50, v1
	ds_write_b32 v51, v1 offset:8
.LBB14_20:                              ;   in Loop: Header=BB14_4 Depth=2
	s_or_b64 exec, exec, s[24:25]
	; wave barrier
	s_waitcnt lgkmcnt(0)
	s_barrier
	ds_read2_b64 v[1:4], v17 offset0:1 offset1:2
	s_waitcnt lgkmcnt(0)
	v_add_u32_e32 v52, v2, v1
	v_add3_u32 v4, v52, v3, v4
	s_nop 1
	v_mov_b32_dpp v52, v4 row_shr:1 row_mask:0xf bank_mask:0xf
	v_cndmask_b32_e64 v52, v52, 0, s[0:1]
	v_add_u32_e32 v4, v52, v4
	s_nop 1
	v_mov_b32_dpp v52, v4 row_shr:2 row_mask:0xf bank_mask:0xf
	v_cndmask_b32_e64 v52, 0, v52, s[2:3]
	v_add_u32_e32 v4, v4, v52
	;; [unrolled: 4-line block ×4, first 2 shown]
	s_nop 1
	v_mov_b32_dpp v52, v4 row_bcast:15 row_mask:0xf bank_mask:0xf
	v_cndmask_b32_e64 v52, v52, 0, s[8:9]
	v_add_u32_e32 v4, v4, v52
	s_nop 1
	v_mov_b32_dpp v52, v4 row_bcast:31 row_mask:0xf bank_mask:0xf
	v_cndmask_b32_e64 v52, 0, v52, s[10:11]
	v_add_u32_e32 v4, v4, v52
	s_and_saveexec_b64 s[24:25], s[12:13]
; %bb.21:                               ;   in Loop: Header=BB14_4 Depth=2
	ds_write_b32 v19, v4
; %bb.22:                               ;   in Loop: Header=BB14_4 Depth=2
	s_or_b64 exec, exec, s[24:25]
	s_waitcnt lgkmcnt(0)
	s_barrier
	s_and_saveexec_b64 s[24:25], s[14:15]
	s_cbranch_execz .LBB14_24
; %bb.23:                               ;   in Loop: Header=BB14_4 Depth=2
	ds_read_b32 v52, v20
	s_waitcnt lgkmcnt(0)
	s_nop 0
	v_mov_b32_dpp v53, v52 row_shr:1 row_mask:0xf bank_mask:0xf
	v_cndmask_b32_e64 v53, v53, 0, s[22:23]
	v_add_u32_e32 v52, v53, v52
	ds_write_b32 v20, v52
.LBB14_24:                              ;   in Loop: Header=BB14_4 Depth=2
	s_or_b64 exec, exec, s[24:25]
	v_mov_b32_e32 v52, 0
	s_waitcnt lgkmcnt(0)
	s_barrier
	s_and_saveexec_b64 s[24:25], s[16:17]
; %bb.25:                               ;   in Loop: Header=BB14_4 Depth=2
	ds_read_b32 v52, v21
; %bb.26:                               ;   in Loop: Header=BB14_4 Depth=2
	s_or_b64 exec, exec, s[24:25]
	s_waitcnt lgkmcnt(0)
	v_add_u32_e32 v4, v52, v4
	ds_bpermute_b32 v4, v18, v4
	v_cmp_lt_u32_e32 vcc, 23, v29
	s_and_b64 vcc, exec, vcc
	s_mov_b64 s[24:25], -1
	s_waitcnt lgkmcnt(0)
	v_cndmask_b32_e64 v4, v4, v52, s[18:19]
	v_cndmask_b32_e64 v52, v4, 0, s[20:21]
	v_add_u32_e32 v53, v52, v1
	v_add_u32_e32 v1, v53, v2
	;; [unrolled: 1-line block ×3, first 2 shown]
	ds_write2_b64 v17, v[52:53], v[1:2] offset0:1 offset1:2
	s_waitcnt lgkmcnt(0)
	s_barrier
	ds_read_b32 v1, v12 offset:8
	ds_read_b32 v2, v14 offset:8
	;; [unrolled: 1-line block ×8, first 2 shown]
	s_waitcnt lgkmcnt(7)
	v_add_u32_e32 v45, v1, v11
	s_waitcnt lgkmcnt(6)
	v_add3_u32 v42, v34, v13, v2
	s_waitcnt lgkmcnt(5)
	v_add3_u32 v39, v37, v35, v3
	;; [unrolled: 2-line block ×7, first 2 shown]
                                        ; implicit-def: $vgpr14
                                        ; implicit-def: $vgpr12
                                        ; implicit-def: $vgpr4
                                        ; implicit-def: $vgpr2
	s_cbranch_vccnz .LBB14_3
; %bb.27:                               ;   in Loop: Header=BB14_4 Depth=2
	v_lshlrev_b32_e32 v1, 2, v45
	s_barrier
	ds_write_b32 v1, v33
	v_lshlrev_b32_e32 v1, 2, v42
	ds_write_b32 v1, v32
	v_lshlrev_b32_e32 v1, 2, v39
	;; [unrolled: 2-line block ×7, first 2 shown]
	ds_write_b32 v1, v25
	s_waitcnt lgkmcnt(0)
	s_barrier
	ds_read2st64_b32 v[1:2], v16 offset1:1
	ds_read2st64_b32 v[3:4], v16 offset0:2 offset1:3
	ds_read2st64_b32 v[11:12], v16 offset0:4 offset1:5
	;; [unrolled: 1-line block ×3, first 2 shown]
	v_add_u32_e32 v29, 8, v29
	s_mov_b64 s[24:25], 0
	s_waitcnt lgkmcnt(0)
	s_barrier
	s_branch .LBB14_3
.LBB14_28:
	s_add_u32 s0, s26, s30
	s_addc_u32 s1, s27, s31
	v_lshlrev_b32_e32 v0, 2, v0
	global_store_dword v0, v3, s[0:1]
	global_store_dword v0, v4, s[0:1] offset:512
	global_store_dword v0, v6, s[0:1] offset:1024
	;; [unrolled: 1-line block ×7, first 2 shown]
	s_endpgm
	.section	.rodata,"a",@progbits
	.p2align	6, 0x0
	.amdhsa_kernel _Z16sort_keys_kernelI22helper_blocked_blockediLj128ELj8ELj10EEvPKT0_PS1_
		.amdhsa_group_segment_fixed_size 4096
		.amdhsa_private_segment_fixed_size 0
		.amdhsa_kernarg_size 272
		.amdhsa_user_sgpr_count 6
		.amdhsa_user_sgpr_private_segment_buffer 1
		.amdhsa_user_sgpr_dispatch_ptr 0
		.amdhsa_user_sgpr_queue_ptr 0
		.amdhsa_user_sgpr_kernarg_segment_ptr 1
		.amdhsa_user_sgpr_dispatch_id 0
		.amdhsa_user_sgpr_flat_scratch_init 0
		.amdhsa_user_sgpr_private_segment_size 0
		.amdhsa_uses_dynamic_stack 0
		.amdhsa_system_sgpr_private_segment_wavefront_offset 0
		.amdhsa_system_sgpr_workgroup_id_x 1
		.amdhsa_system_sgpr_workgroup_id_y 0
		.amdhsa_system_sgpr_workgroup_id_z 0
		.amdhsa_system_sgpr_workgroup_info 0
		.amdhsa_system_vgpr_workitem_id 2
		.amdhsa_next_free_vgpr 54
		.amdhsa_next_free_sgpr 61
		.amdhsa_reserve_vcc 1
		.amdhsa_reserve_flat_scratch 0
		.amdhsa_float_round_mode_32 0
		.amdhsa_float_round_mode_16_64 0
		.amdhsa_float_denorm_mode_32 3
		.amdhsa_float_denorm_mode_16_64 3
		.amdhsa_dx10_clamp 1
		.amdhsa_ieee_mode 1
		.amdhsa_fp16_overflow 0
		.amdhsa_exception_fp_ieee_invalid_op 0
		.amdhsa_exception_fp_denorm_src 0
		.amdhsa_exception_fp_ieee_div_zero 0
		.amdhsa_exception_fp_ieee_overflow 0
		.amdhsa_exception_fp_ieee_underflow 0
		.amdhsa_exception_fp_ieee_inexact 0
		.amdhsa_exception_int_div_zero 0
	.end_amdhsa_kernel
	.section	.text._Z16sort_keys_kernelI22helper_blocked_blockediLj128ELj8ELj10EEvPKT0_PS1_,"axG",@progbits,_Z16sort_keys_kernelI22helper_blocked_blockediLj128ELj8ELj10EEvPKT0_PS1_,comdat
.Lfunc_end14:
	.size	_Z16sort_keys_kernelI22helper_blocked_blockediLj128ELj8ELj10EEvPKT0_PS1_, .Lfunc_end14-_Z16sort_keys_kernelI22helper_blocked_blockediLj128ELj8ELj10EEvPKT0_PS1_
                                        ; -- End function
	.set _Z16sort_keys_kernelI22helper_blocked_blockediLj128ELj8ELj10EEvPKT0_PS1_.num_vgpr, 54
	.set _Z16sort_keys_kernelI22helper_blocked_blockediLj128ELj8ELj10EEvPKT0_PS1_.num_agpr, 0
	.set _Z16sort_keys_kernelI22helper_blocked_blockediLj128ELj8ELj10EEvPKT0_PS1_.numbered_sgpr, 36
	.set _Z16sort_keys_kernelI22helper_blocked_blockediLj128ELj8ELj10EEvPKT0_PS1_.num_named_barrier, 0
	.set _Z16sort_keys_kernelI22helper_blocked_blockediLj128ELj8ELj10EEvPKT0_PS1_.private_seg_size, 0
	.set _Z16sort_keys_kernelI22helper_blocked_blockediLj128ELj8ELj10EEvPKT0_PS1_.uses_vcc, 1
	.set _Z16sort_keys_kernelI22helper_blocked_blockediLj128ELj8ELj10EEvPKT0_PS1_.uses_flat_scratch, 0
	.set _Z16sort_keys_kernelI22helper_blocked_blockediLj128ELj8ELj10EEvPKT0_PS1_.has_dyn_sized_stack, 0
	.set _Z16sort_keys_kernelI22helper_blocked_blockediLj128ELj8ELj10EEvPKT0_PS1_.has_recursion, 0
	.set _Z16sort_keys_kernelI22helper_blocked_blockediLj128ELj8ELj10EEvPKT0_PS1_.has_indirect_call, 0
	.section	.AMDGPU.csdata,"",@progbits
; Kernel info:
; codeLenInByte = 4444
; TotalNumSgprs: 40
; NumVgprs: 54
; ScratchSize: 0
; MemoryBound: 0
; FloatMode: 240
; IeeeMode: 1
; LDSByteSize: 4096 bytes/workgroup (compile time only)
; SGPRBlocks: 8
; VGPRBlocks: 13
; NumSGPRsForWavesPerEU: 65
; NumVGPRsForWavesPerEU: 54
; Occupancy: 4
; WaveLimiterHint : 1
; COMPUTE_PGM_RSRC2:SCRATCH_EN: 0
; COMPUTE_PGM_RSRC2:USER_SGPR: 6
; COMPUTE_PGM_RSRC2:TRAP_HANDLER: 0
; COMPUTE_PGM_RSRC2:TGID_X_EN: 1
; COMPUTE_PGM_RSRC2:TGID_Y_EN: 0
; COMPUTE_PGM_RSRC2:TGID_Z_EN: 0
; COMPUTE_PGM_RSRC2:TIDIG_COMP_CNT: 2
	.section	.text._Z17sort_pairs_kernelI22helper_blocked_blockediLj128ELj8ELj10EEvPKT0_PS1_,"axG",@progbits,_Z17sort_pairs_kernelI22helper_blocked_blockediLj128ELj8ELj10EEvPKT0_PS1_,comdat
	.protected	_Z17sort_pairs_kernelI22helper_blocked_blockediLj128ELj8ELj10EEvPKT0_PS1_ ; -- Begin function _Z17sort_pairs_kernelI22helper_blocked_blockediLj128ELj8ELj10EEvPKT0_PS1_
	.globl	_Z17sort_pairs_kernelI22helper_blocked_blockediLj128ELj8ELj10EEvPKT0_PS1_
	.p2align	8
	.type	_Z17sort_pairs_kernelI22helper_blocked_blockediLj128ELj8ELj10EEvPKT0_PS1_,@function
_Z17sort_pairs_kernelI22helper_blocked_blockediLj128ELj8ELj10EEvPKT0_PS1_: ; @_Z17sort_pairs_kernelI22helper_blocked_blockediLj128ELj8ELj10EEvPKT0_PS1_
; %bb.0:
	s_load_dwordx4 s[24:27], s[4:5], 0x0
	s_load_dword s36, s[4:5], 0x1c
	s_lshl_b32 s30, s6, 10
	s_mov_b32 s31, 0
	s_lshl_b64 s[28:29], s[30:31], 2
	s_waitcnt lgkmcnt(0)
	s_add_u32 s0, s24, s28
	s_addc_u32 s1, s25, s29
	v_lshlrev_b32_e32 v3, 2, v0
	global_load_dword v10, v3, s[0:1]
	global_load_dword v11, v3, s[0:1] offset:512
	global_load_dword v12, v3, s[0:1] offset:1024
	;; [unrolled: 1-line block ×7, first 2 shown]
	v_mbcnt_lo_u32_b32 v3, -1, 0
	v_mbcnt_hi_u32_b32 v3, -1, v3
	s_lshr_b32 s24, s36, 16
	v_lshlrev_b32_e32 v5, 5, v0
	v_subrev_co_u32_e64 v24, s[8:9], 1, v3
	v_and_b32_e32 v25, 64, v3
	s_and_b32 s25, s36, 0xffff
	v_mad_u32_u24 v1, v2, s24, v1
	v_and_b32_e32 v4, 64, v0
	v_lshlrev_b32_e32 v18, 4, v0
	v_lshrrev_b32_e32 v6, 4, v0
	v_and_b32_e32 v5, 0x800, v5
	v_cmp_lt_i32_e32 vcc, v24, v25
	v_mad_u32_u24 v1, v1, s25, v0
	v_mul_u32_u24_e32 v7, 28, v0
	v_add_lshl_u32 v19, v3, v4, 5
	v_and_b32_e32 v8, 15, v3
	v_and_b32_e32 v23, 16, v3
	v_cmp_lt_u32_e64 s[6:7], 31, v3
	v_or_b32_e32 v4, 63, v4
	v_and_b32_e32 v20, 4, v6
	v_mad_i32_i24 v21, v0, -12, v18
	v_and_b32_e32 v6, 1, v3
	v_lshl_or_b32 v22, v3, 2, v5
	v_cndmask_b32_e32 v3, v24, v3, vcc
	v_lshrrev_b32_e32 v1, 4, v1
	v_mov_b32_e32 v9, 0
	v_cmp_gt_u32_e64 s[0:1], 2, v0
	v_cmp_lt_u32_e64 s[2:3], 63, v0
	v_cmp_eq_u32_e64 s[4:5], 0, v0
	s_mov_b32 s34, s31
	s_mov_b32 s35, s31
	;; [unrolled: 1-line block ×4, first 2 shown]
	v_cmp_eq_u32_e64 s[10:11], 0, v8
	v_cmp_lt_u32_e64 s[12:13], 1, v8
	v_cmp_lt_u32_e64 s[14:15], 3, v8
	;; [unrolled: 1-line block ×3, first 2 shown]
	v_cmp_eq_u32_e64 s[18:19], 0, v23
	v_cmp_eq_u32_e64 s[20:21], v0, v4
	;; [unrolled: 1-line block ×3, first 2 shown]
	v_add_u32_e32 v23, -4, v20
	v_add_u32_e32 v24, v21, v7
	v_lshlrev_b32_e32 v25, 2, v3
	v_and_b32_e32 v26, 0xffffffc, v1
	v_mov_b32_e32 v27, 3
	s_waitcnt vmcnt(7)
	v_add_u32_e32 v5, 1, v10
	s_waitcnt vmcnt(6)
	v_add_u32_e32 v6, 1, v11
	s_waitcnt vmcnt(5)
	v_add_u32_e32 v7, 1, v12
	s_waitcnt vmcnt(4)
	v_add_u32_e32 v8, 1, v13
	s_waitcnt vmcnt(3)
	v_add_u32_e32 v1, 1, v14
	s_waitcnt vmcnt(2)
	v_add_u32_e32 v2, 1, v15
	s_waitcnt vmcnt(1)
	v_add_u32_e32 v3, 1, v16
	s_waitcnt vmcnt(0)
	v_add_u32_e32 v4, 1, v17
	s_branch .LBB15_2
.LBB15_1:                               ;   in Loop: Header=BB15_2 Depth=1
	v_lshlrev_b32_e32 v1, 2, v57
	v_lshlrev_b32_e32 v2, 2, v56
	;; [unrolled: 1-line block ×8, first 2 shown]
	s_barrier
	ds_write_b32 v1, v44
	ds_write_b32 v2, v43
	;; [unrolled: 1-line block ×8, first 2 shown]
	s_waitcnt lgkmcnt(0)
	s_barrier
	ds_read2_b64 v[10:13], v24 offset1:1
	ds_read2_b64 v[14:17], v24 offset0:2 offset1:3
	s_waitcnt lgkmcnt(0)
	s_barrier
	ds_write_b32 v1, v38
	ds_write_b32 v2, v37
	;; [unrolled: 1-line block ×8, first 2 shown]
	s_waitcnt lgkmcnt(0)
	s_barrier
	ds_read2_b64 v[5:8], v24 offset1:1
	ds_read2_b64 v[1:4], v24 offset0:2 offset1:3
	s_add_i32 s33, s33, 1
	v_xor_b32_e32 v10, 0x80000000, v10
	v_xor_b32_e32 v11, 0x80000000, v11
	;; [unrolled: 1-line block ×7, first 2 shown]
	s_cmp_eq_u32 s33, 10
	v_xor_b32_e32 v17, 0x80000000, v17
	s_cbranch_scc1 .LBB15_28
.LBB15_2:                               ; =>This Loop Header: Depth=1
                                        ;     Child Loop BB15_4 Depth 2
	v_xor_b32_e32 v10, 0x80000000, v10
	v_xor_b32_e32 v11, 0x80000000, v11
	v_xor_b32_e32 v12, 0x80000000, v12
	v_xor_b32_e32 v13, 0x80000000, v13
	v_xor_b32_e32 v14, 0x80000000, v14
	v_xor_b32_e32 v15, 0x80000000, v15
	v_xor_b32_e32 v16, 0x80000000, v16
	v_xor_b32_e32 v17, 0x80000000, v17
	ds_write2_b64 v19, v[10:11], v[12:13] offset1:1
	ds_write2_b64 v19, v[14:15], v[16:17] offset0:2 offset1:3
	; wave barrier
	ds_read2st64_b32 v[10:11], v22 offset1:1
	ds_read2st64_b32 v[12:13], v22 offset0:2 offset1:3
	ds_read2st64_b32 v[14:15], v22 offset0:4 offset1:5
	;; [unrolled: 1-line block ×3, first 2 shown]
	; wave barrier
	s_waitcnt lgkmcnt(7)
	ds_write2_b64 v19, v[5:6], v[7:8] offset1:1
	s_waitcnt lgkmcnt(7)
	ds_write2_b64 v19, v[1:2], v[3:4] offset0:2 offset1:3
	; wave barrier
	ds_read2st64_b32 v[1:2], v22 offset1:1
	ds_read2st64_b32 v[3:4], v22 offset0:2 offset1:3
	ds_read2st64_b32 v[5:6], v22 offset0:4 offset1:5
	;; [unrolled: 1-line block ×3, first 2 shown]
	v_mov_b32_e32 v34, v9
	s_waitcnt lgkmcnt(0)
	s_barrier
	s_branch .LBB15_4
.LBB15_3:                               ;   in Loop: Header=BB15_4 Depth=2
	s_andn2_b64 vcc, exec, s[24:25]
	s_cbranch_vccz .LBB15_1
.LBB15_4:                               ;   Parent Loop BB15_2 Depth=1
                                        ; =>  This Inner Loop Header: Depth=2
	v_mov_b32_e32 v32, v4
	v_mov_b32_e32 v35, v3
	;; [unrolled: 1-line block ×9, first 2 shown]
	ds_write2_b64 v18, v[1:2], v[3:4] offset0:1 offset1:2
	v_lshrrev_b32_e32 v1, v34, v44
	v_and_b32_e32 v2, 1, v1
	v_add_co_u32_e32 v4, vcc, -1, v2
	v_mov_b32_e32 v31, v5
	v_addc_co_u32_e64 v5, s[24:25], 0, -1, vcc
	v_cmp_ne_u32_e32 vcc, 0, v2
	v_lshlrev_b32_e32 v10, 30, v1
	v_xor_b32_e32 v2, vcc_hi, v5
	v_xor_b32_e32 v4, vcc_lo, v4
	v_cmp_gt_i64_e32 vcc, 0, v[9:10]
	v_not_b32_e32 v5, v10
	v_ashrrev_i32_e32 v5, 31, v5
	v_mov_b32_e32 v30, v6
	v_and_b32_e32 v4, exec_lo, v4
	v_xor_b32_e32 v6, vcc_hi, v5
	v_xor_b32_e32 v5, vcc_lo, v5
	v_lshlrev_b32_e32 v10, 29, v1
	v_and_b32_e32 v4, v4, v5
	v_cmp_gt_i64_e32 vcc, 0, v[9:10]
	v_not_b32_e32 v5, v10
	v_and_b32_e32 v2, exec_hi, v2
	v_ashrrev_i32_e32 v5, 31, v5
	v_and_b32_e32 v2, v2, v6
	v_xor_b32_e32 v6, vcc_hi, v5
	v_xor_b32_e32 v5, vcc_lo, v5
	v_lshlrev_b32_e32 v10, 28, v1
	v_and_b32_e32 v4, v4, v5
	v_cmp_gt_i64_e32 vcc, 0, v[9:10]
	v_not_b32_e32 v5, v10
	v_ashrrev_i32_e32 v5, 31, v5
	v_and_b32_e32 v2, v2, v6
	v_xor_b32_e32 v6, vcc_hi, v5
	v_xor_b32_e32 v5, vcc_lo, v5
	v_lshlrev_b32_e32 v10, 27, v1
	v_and_b32_e32 v4, v4, v5
	v_cmp_gt_i64_e32 vcc, 0, v[9:10]
	v_not_b32_e32 v5, v10
	;; [unrolled: 8-line block ×4, first 2 shown]
	v_ashrrev_i32_e32 v5, 31, v5
	v_lshlrev_b32_e32 v10, 24, v1
	v_lshlrev_b32_sdwa v3, v27, v1 dst_sel:DWORD dst_unused:UNUSED_PAD src0_sel:DWORD src1_sel:BYTE_0
	v_and_b32_e32 v2, v2, v6
	v_xor_b32_e32 v6, vcc_hi, v5
	v_xor_b32_e32 v5, vcc_lo, v5
	v_cmp_gt_i64_e32 vcc, 0, v[9:10]
	v_not_b32_e32 v1, v10
	v_ashrrev_i32_e32 v1, 31, v1
	v_and_b32_e32 v4, v4, v5
	v_xor_b32_e32 v5, vcc_hi, v1
	v_xor_b32_e32 v1, vcc_lo, v1
	v_and_b32_e32 v2, v2, v6
	v_and_b32_e32 v1, v4, v1
	;; [unrolled: 1-line block ×3, first 2 shown]
	v_mbcnt_lo_u32_b32 v4, v1, 0
	v_mbcnt_hi_u32_b32 v5, v2, v4
	v_cmp_ne_u64_e32 vcc, 0, v[1:2]
	v_cmp_eq_u32_e64 s[24:25], 0, v5
	v_mov_b32_e32 v33, v17
	v_mov_b32_e32 v36, v16
	;; [unrolled: 1-line block ×9, first 2 shown]
	s_and_b64 s[36:37], vcc, s[24:25]
	v_add_u32_e32 v6, v26, v3
	s_waitcnt lgkmcnt(0)
	s_barrier
	; wave barrier
	s_and_saveexec_b64 s[24:25], s[36:37]
; %bb.5:                                ;   in Loop: Header=BB15_4 Depth=2
	v_bcnt_u32_b32 v1, v1, 0
	v_bcnt_u32_b32 v1, v2, v1
	ds_write_b32 v6, v1 offset:8
; %bb.6:                                ;   in Loop: Header=BB15_4 Depth=2
	s_or_b64 exec, exec, s[24:25]
	v_lshrrev_b32_e32 v1, v34, v43
	v_lshlrev_b32_sdwa v2, v27, v1 dst_sel:DWORD dst_unused:UNUSED_PAD src0_sel:DWORD src1_sel:BYTE_0
	v_add_u32_e32 v8, v26, v2
	v_and_b32_e32 v2, 1, v1
	v_add_co_u32_e32 v3, vcc, -1, v2
	v_addc_co_u32_e64 v4, s[24:25], 0, -1, vcc
	v_cmp_ne_u32_e32 vcc, 0, v2
	v_lshlrev_b32_e32 v10, 30, v1
	v_xor_b32_e32 v2, vcc_hi, v4
	v_xor_b32_e32 v3, vcc_lo, v3
	v_cmp_gt_i64_e32 vcc, 0, v[9:10]
	v_not_b32_e32 v4, v10
	v_ashrrev_i32_e32 v4, 31, v4
	v_and_b32_e32 v2, exec_hi, v2
	v_xor_b32_e32 v10, vcc_hi, v4
	v_and_b32_e32 v3, exec_lo, v3
	v_xor_b32_e32 v4, vcc_lo, v4
	v_and_b32_e32 v2, v2, v10
	v_lshlrev_b32_e32 v10, 29, v1
	v_and_b32_e32 v3, v3, v4
	v_cmp_gt_i64_e32 vcc, 0, v[9:10]
	v_not_b32_e32 v4, v10
	v_ashrrev_i32_e32 v4, 31, v4
	v_xor_b32_e32 v10, vcc_hi, v4
	v_xor_b32_e32 v4, vcc_lo, v4
	v_and_b32_e32 v2, v2, v10
	v_lshlrev_b32_e32 v10, 28, v1
	v_and_b32_e32 v3, v3, v4
	v_cmp_gt_i64_e32 vcc, 0, v[9:10]
	v_not_b32_e32 v4, v10
	v_ashrrev_i32_e32 v4, 31, v4
	v_xor_b32_e32 v10, vcc_hi, v4
	;; [unrolled: 8-line block ×5, first 2 shown]
	v_and_b32_e32 v2, v2, v10
	v_lshlrev_b32_e32 v10, 24, v1
	v_xor_b32_e32 v4, vcc_lo, v4
	v_cmp_gt_i64_e32 vcc, 0, v[9:10]
	v_not_b32_e32 v1, v10
	v_ashrrev_i32_e32 v1, 31, v1
	v_and_b32_e32 v3, v3, v4
	v_xor_b32_e32 v4, vcc_hi, v1
	v_xor_b32_e32 v1, vcc_lo, v1
	; wave barrier
	ds_read_b32 v7, v8 offset:8
	v_and_b32_e32 v1, v3, v1
	v_and_b32_e32 v2, v2, v4
	v_mbcnt_lo_u32_b32 v3, v1, 0
	v_mbcnt_hi_u32_b32 v11, v2, v3
	v_cmp_ne_u64_e32 vcc, 0, v[1:2]
	v_cmp_eq_u32_e64 s[24:25], 0, v11
	s_and_b64 s[36:37], vcc, s[24:25]
	; wave barrier
	s_and_saveexec_b64 s[24:25], s[36:37]
	s_cbranch_execz .LBB15_8
; %bb.7:                                ;   in Loop: Header=BB15_4 Depth=2
	v_bcnt_u32_b32 v1, v1, 0
	v_bcnt_u32_b32 v1, v2, v1
	s_waitcnt lgkmcnt(0)
	v_add_u32_e32 v1, v7, v1
	ds_write_b32 v8, v1 offset:8
.LBB15_8:                               ;   in Loop: Header=BB15_4 Depth=2
	s_or_b64 exec, exec, s[24:25]
	v_lshrrev_b32_e32 v1, v34, v42
	v_lshlrev_b32_sdwa v2, v27, v1 dst_sel:DWORD dst_unused:UNUSED_PAD src0_sel:DWORD src1_sel:BYTE_0
	v_add_u32_e32 v13, v26, v2
	v_and_b32_e32 v2, 1, v1
	v_add_co_u32_e32 v3, vcc, -1, v2
	v_addc_co_u32_e64 v4, s[24:25], 0, -1, vcc
	v_cmp_ne_u32_e32 vcc, 0, v2
	v_lshlrev_b32_e32 v10, 30, v1
	v_xor_b32_e32 v2, vcc_hi, v4
	v_xor_b32_e32 v3, vcc_lo, v3
	v_cmp_gt_i64_e32 vcc, 0, v[9:10]
	v_not_b32_e32 v4, v10
	v_ashrrev_i32_e32 v4, 31, v4
	v_and_b32_e32 v2, exec_hi, v2
	v_xor_b32_e32 v10, vcc_hi, v4
	v_and_b32_e32 v3, exec_lo, v3
	v_xor_b32_e32 v4, vcc_lo, v4
	v_and_b32_e32 v2, v2, v10
	v_lshlrev_b32_e32 v10, 29, v1
	v_and_b32_e32 v3, v3, v4
	v_cmp_gt_i64_e32 vcc, 0, v[9:10]
	v_not_b32_e32 v4, v10
	v_ashrrev_i32_e32 v4, 31, v4
	v_xor_b32_e32 v10, vcc_hi, v4
	v_xor_b32_e32 v4, vcc_lo, v4
	v_and_b32_e32 v2, v2, v10
	v_lshlrev_b32_e32 v10, 28, v1
	v_and_b32_e32 v3, v3, v4
	v_cmp_gt_i64_e32 vcc, 0, v[9:10]
	v_not_b32_e32 v4, v10
	v_ashrrev_i32_e32 v4, 31, v4
	v_xor_b32_e32 v10, vcc_hi, v4
	v_xor_b32_e32 v4, vcc_lo, v4
	v_and_b32_e32 v2, v2, v10
	v_lshlrev_b32_e32 v10, 27, v1
	v_and_b32_e32 v3, v3, v4
	v_cmp_gt_i64_e32 vcc, 0, v[9:10]
	v_not_b32_e32 v4, v10
	v_ashrrev_i32_e32 v4, 31, v4
	v_xor_b32_e32 v10, vcc_hi, v4
	v_xor_b32_e32 v4, vcc_lo, v4
	v_and_b32_e32 v2, v2, v10
	v_lshlrev_b32_e32 v10, 26, v1
	v_and_b32_e32 v3, v3, v4
	v_cmp_gt_i64_e32 vcc, 0, v[9:10]
	v_not_b32_e32 v4, v10
	v_ashrrev_i32_e32 v4, 31, v4
	v_xor_b32_e32 v10, vcc_hi, v4
	v_xor_b32_e32 v4, vcc_lo, v4
	v_and_b32_e32 v2, v2, v10
	v_lshlrev_b32_e32 v10, 25, v1
	v_and_b32_e32 v3, v3, v4
	v_cmp_gt_i64_e32 vcc, 0, v[9:10]
	v_not_b32_e32 v4, v10
	v_ashrrev_i32_e32 v4, 31, v4
	v_xor_b32_e32 v10, vcc_hi, v4
	v_and_b32_e32 v2, v2, v10
	v_lshlrev_b32_e32 v10, 24, v1
	v_xor_b32_e32 v4, vcc_lo, v4
	v_cmp_gt_i64_e32 vcc, 0, v[9:10]
	v_not_b32_e32 v1, v10
	v_ashrrev_i32_e32 v1, 31, v1
	v_and_b32_e32 v3, v3, v4
	v_xor_b32_e32 v4, vcc_hi, v1
	v_xor_b32_e32 v1, vcc_lo, v1
	; wave barrier
	ds_read_b32 v12, v13 offset:8
	v_and_b32_e32 v1, v3, v1
	v_and_b32_e32 v2, v2, v4
	v_mbcnt_lo_u32_b32 v3, v1, 0
	v_mbcnt_hi_u32_b32 v14, v2, v3
	v_cmp_ne_u64_e32 vcc, 0, v[1:2]
	v_cmp_eq_u32_e64 s[24:25], 0, v14
	s_and_b64 s[36:37], vcc, s[24:25]
	; wave barrier
	s_and_saveexec_b64 s[24:25], s[36:37]
	s_cbranch_execz .LBB15_10
; %bb.9:                                ;   in Loop: Header=BB15_4 Depth=2
	v_bcnt_u32_b32 v1, v1, 0
	v_bcnt_u32_b32 v1, v2, v1
	s_waitcnt lgkmcnt(0)
	v_add_u32_e32 v1, v12, v1
	ds_write_b32 v13, v1 offset:8
.LBB15_10:                              ;   in Loop: Header=BB15_4 Depth=2
	s_or_b64 exec, exec, s[24:25]
	v_lshrrev_b32_e32 v1, v34, v41
	v_lshlrev_b32_sdwa v2, v27, v1 dst_sel:DWORD dst_unused:UNUSED_PAD src0_sel:DWORD src1_sel:BYTE_0
	v_add_u32_e32 v16, v26, v2
	v_and_b32_e32 v2, 1, v1
	v_add_co_u32_e32 v3, vcc, -1, v2
	v_addc_co_u32_e64 v4, s[24:25], 0, -1, vcc
	v_cmp_ne_u32_e32 vcc, 0, v2
	v_lshlrev_b32_e32 v10, 30, v1
	v_xor_b32_e32 v2, vcc_hi, v4
	v_xor_b32_e32 v3, vcc_lo, v3
	v_cmp_gt_i64_e32 vcc, 0, v[9:10]
	v_not_b32_e32 v4, v10
	v_ashrrev_i32_e32 v4, 31, v4
	v_and_b32_e32 v2, exec_hi, v2
	v_xor_b32_e32 v10, vcc_hi, v4
	v_and_b32_e32 v3, exec_lo, v3
	v_xor_b32_e32 v4, vcc_lo, v4
	v_and_b32_e32 v2, v2, v10
	v_lshlrev_b32_e32 v10, 29, v1
	v_and_b32_e32 v3, v3, v4
	v_cmp_gt_i64_e32 vcc, 0, v[9:10]
	v_not_b32_e32 v4, v10
	v_ashrrev_i32_e32 v4, 31, v4
	v_xor_b32_e32 v10, vcc_hi, v4
	v_xor_b32_e32 v4, vcc_lo, v4
	v_and_b32_e32 v2, v2, v10
	v_lshlrev_b32_e32 v10, 28, v1
	v_and_b32_e32 v3, v3, v4
	v_cmp_gt_i64_e32 vcc, 0, v[9:10]
	v_not_b32_e32 v4, v10
	v_ashrrev_i32_e32 v4, 31, v4
	v_xor_b32_e32 v10, vcc_hi, v4
	v_xor_b32_e32 v4, vcc_lo, v4
	v_and_b32_e32 v2, v2, v10
	v_lshlrev_b32_e32 v10, 27, v1
	v_and_b32_e32 v3, v3, v4
	v_cmp_gt_i64_e32 vcc, 0, v[9:10]
	v_not_b32_e32 v4, v10
	v_ashrrev_i32_e32 v4, 31, v4
	v_xor_b32_e32 v10, vcc_hi, v4
	v_xor_b32_e32 v4, vcc_lo, v4
	v_and_b32_e32 v2, v2, v10
	v_lshlrev_b32_e32 v10, 26, v1
	v_and_b32_e32 v3, v3, v4
	v_cmp_gt_i64_e32 vcc, 0, v[9:10]
	v_not_b32_e32 v4, v10
	v_ashrrev_i32_e32 v4, 31, v4
	v_xor_b32_e32 v10, vcc_hi, v4
	v_xor_b32_e32 v4, vcc_lo, v4
	v_and_b32_e32 v2, v2, v10
	v_lshlrev_b32_e32 v10, 25, v1
	v_and_b32_e32 v3, v3, v4
	v_cmp_gt_i64_e32 vcc, 0, v[9:10]
	v_not_b32_e32 v4, v10
	v_ashrrev_i32_e32 v4, 31, v4
	v_xor_b32_e32 v10, vcc_hi, v4
	v_and_b32_e32 v2, v2, v10
	v_lshlrev_b32_e32 v10, 24, v1
	v_xor_b32_e32 v4, vcc_lo, v4
	v_cmp_gt_i64_e32 vcc, 0, v[9:10]
	v_not_b32_e32 v1, v10
	v_ashrrev_i32_e32 v1, 31, v1
	v_and_b32_e32 v3, v3, v4
	v_xor_b32_e32 v4, vcc_hi, v1
	v_xor_b32_e32 v1, vcc_lo, v1
	; wave barrier
	ds_read_b32 v15, v16 offset:8
	v_and_b32_e32 v1, v3, v1
	v_and_b32_e32 v2, v2, v4
	v_mbcnt_lo_u32_b32 v3, v1, 0
	v_mbcnt_hi_u32_b32 v17, v2, v3
	v_cmp_ne_u64_e32 vcc, 0, v[1:2]
	v_cmp_eq_u32_e64 s[24:25], 0, v17
	s_and_b64 s[36:37], vcc, s[24:25]
	; wave barrier
	s_and_saveexec_b64 s[24:25], s[36:37]
	s_cbranch_execz .LBB15_12
; %bb.11:                               ;   in Loop: Header=BB15_4 Depth=2
	v_bcnt_u32_b32 v1, v1, 0
	v_bcnt_u32_b32 v1, v2, v1
	s_waitcnt lgkmcnt(0)
	v_add_u32_e32 v1, v15, v1
	ds_write_b32 v16, v1 offset:8
.LBB15_12:                              ;   in Loop: Header=BB15_4 Depth=2
	s_or_b64 exec, exec, s[24:25]
	v_lshrrev_b32_e32 v1, v34, v40
	v_lshlrev_b32_sdwa v2, v27, v1 dst_sel:DWORD dst_unused:UNUSED_PAD src0_sel:DWORD src1_sel:BYTE_0
	v_add_u32_e32 v46, v26, v2
	v_and_b32_e32 v2, 1, v1
	v_add_co_u32_e32 v3, vcc, -1, v2
	v_addc_co_u32_e64 v4, s[24:25], 0, -1, vcc
	v_cmp_ne_u32_e32 vcc, 0, v2
	v_lshlrev_b32_e32 v10, 30, v1
	v_xor_b32_e32 v2, vcc_hi, v4
	v_xor_b32_e32 v3, vcc_lo, v3
	v_cmp_gt_i64_e32 vcc, 0, v[9:10]
	v_not_b32_e32 v4, v10
	v_ashrrev_i32_e32 v4, 31, v4
	v_and_b32_e32 v2, exec_hi, v2
	v_xor_b32_e32 v10, vcc_hi, v4
	v_and_b32_e32 v3, exec_lo, v3
	v_xor_b32_e32 v4, vcc_lo, v4
	v_and_b32_e32 v2, v2, v10
	v_lshlrev_b32_e32 v10, 29, v1
	v_and_b32_e32 v3, v3, v4
	v_cmp_gt_i64_e32 vcc, 0, v[9:10]
	v_not_b32_e32 v4, v10
	v_ashrrev_i32_e32 v4, 31, v4
	v_xor_b32_e32 v10, vcc_hi, v4
	v_xor_b32_e32 v4, vcc_lo, v4
	v_and_b32_e32 v2, v2, v10
	v_lshlrev_b32_e32 v10, 28, v1
	v_and_b32_e32 v3, v3, v4
	v_cmp_gt_i64_e32 vcc, 0, v[9:10]
	v_not_b32_e32 v4, v10
	v_ashrrev_i32_e32 v4, 31, v4
	v_xor_b32_e32 v10, vcc_hi, v4
	v_xor_b32_e32 v4, vcc_lo, v4
	v_and_b32_e32 v2, v2, v10
	v_lshlrev_b32_e32 v10, 27, v1
	v_and_b32_e32 v3, v3, v4
	v_cmp_gt_i64_e32 vcc, 0, v[9:10]
	v_not_b32_e32 v4, v10
	v_ashrrev_i32_e32 v4, 31, v4
	v_xor_b32_e32 v10, vcc_hi, v4
	v_xor_b32_e32 v4, vcc_lo, v4
	v_and_b32_e32 v2, v2, v10
	v_lshlrev_b32_e32 v10, 26, v1
	v_and_b32_e32 v3, v3, v4
	v_cmp_gt_i64_e32 vcc, 0, v[9:10]
	v_not_b32_e32 v4, v10
	v_ashrrev_i32_e32 v4, 31, v4
	v_xor_b32_e32 v10, vcc_hi, v4
	v_xor_b32_e32 v4, vcc_lo, v4
	v_and_b32_e32 v2, v2, v10
	v_lshlrev_b32_e32 v10, 25, v1
	v_and_b32_e32 v3, v3, v4
	v_cmp_gt_i64_e32 vcc, 0, v[9:10]
	v_not_b32_e32 v4, v10
	v_ashrrev_i32_e32 v4, 31, v4
	v_xor_b32_e32 v10, vcc_hi, v4
	v_and_b32_e32 v2, v2, v10
	v_lshlrev_b32_e32 v10, 24, v1
	v_xor_b32_e32 v4, vcc_lo, v4
	v_cmp_gt_i64_e32 vcc, 0, v[9:10]
	v_not_b32_e32 v1, v10
	v_ashrrev_i32_e32 v1, 31, v1
	v_and_b32_e32 v3, v3, v4
	v_xor_b32_e32 v4, vcc_hi, v1
	v_xor_b32_e32 v1, vcc_lo, v1
	; wave barrier
	ds_read_b32 v45, v46 offset:8
	v_and_b32_e32 v1, v3, v1
	v_and_b32_e32 v2, v2, v4
	v_mbcnt_lo_u32_b32 v3, v1, 0
	v_mbcnt_hi_u32_b32 v47, v2, v3
	v_cmp_ne_u64_e32 vcc, 0, v[1:2]
	v_cmp_eq_u32_e64 s[24:25], 0, v47
	s_and_b64 s[36:37], vcc, s[24:25]
	; wave barrier
	s_and_saveexec_b64 s[24:25], s[36:37]
	s_cbranch_execz .LBB15_14
; %bb.13:                               ;   in Loop: Header=BB15_4 Depth=2
	v_bcnt_u32_b32 v1, v1, 0
	v_bcnt_u32_b32 v1, v2, v1
	s_waitcnt lgkmcnt(0)
	v_add_u32_e32 v1, v45, v1
	ds_write_b32 v46, v1 offset:8
.LBB15_14:                              ;   in Loop: Header=BB15_4 Depth=2
	s_or_b64 exec, exec, s[24:25]
	v_lshrrev_b32_e32 v1, v34, v39
	v_lshlrev_b32_sdwa v2, v27, v1 dst_sel:DWORD dst_unused:UNUSED_PAD src0_sel:DWORD src1_sel:BYTE_0
	v_add_u32_e32 v49, v26, v2
	v_and_b32_e32 v2, 1, v1
	v_add_co_u32_e32 v3, vcc, -1, v2
	v_addc_co_u32_e64 v4, s[24:25], 0, -1, vcc
	v_cmp_ne_u32_e32 vcc, 0, v2
	v_lshlrev_b32_e32 v10, 30, v1
	v_xor_b32_e32 v2, vcc_hi, v4
	v_xor_b32_e32 v3, vcc_lo, v3
	v_cmp_gt_i64_e32 vcc, 0, v[9:10]
	v_not_b32_e32 v4, v10
	v_ashrrev_i32_e32 v4, 31, v4
	v_and_b32_e32 v2, exec_hi, v2
	v_xor_b32_e32 v10, vcc_hi, v4
	v_and_b32_e32 v3, exec_lo, v3
	v_xor_b32_e32 v4, vcc_lo, v4
	v_and_b32_e32 v2, v2, v10
	v_lshlrev_b32_e32 v10, 29, v1
	v_and_b32_e32 v3, v3, v4
	v_cmp_gt_i64_e32 vcc, 0, v[9:10]
	v_not_b32_e32 v4, v10
	v_ashrrev_i32_e32 v4, 31, v4
	v_xor_b32_e32 v10, vcc_hi, v4
	v_xor_b32_e32 v4, vcc_lo, v4
	v_and_b32_e32 v2, v2, v10
	v_lshlrev_b32_e32 v10, 28, v1
	v_and_b32_e32 v3, v3, v4
	v_cmp_gt_i64_e32 vcc, 0, v[9:10]
	v_not_b32_e32 v4, v10
	v_ashrrev_i32_e32 v4, 31, v4
	v_xor_b32_e32 v10, vcc_hi, v4
	v_xor_b32_e32 v4, vcc_lo, v4
	v_and_b32_e32 v2, v2, v10
	v_lshlrev_b32_e32 v10, 27, v1
	v_and_b32_e32 v3, v3, v4
	v_cmp_gt_i64_e32 vcc, 0, v[9:10]
	v_not_b32_e32 v4, v10
	v_ashrrev_i32_e32 v4, 31, v4
	v_xor_b32_e32 v10, vcc_hi, v4
	v_xor_b32_e32 v4, vcc_lo, v4
	v_and_b32_e32 v2, v2, v10
	v_lshlrev_b32_e32 v10, 26, v1
	v_and_b32_e32 v3, v3, v4
	v_cmp_gt_i64_e32 vcc, 0, v[9:10]
	v_not_b32_e32 v4, v10
	v_ashrrev_i32_e32 v4, 31, v4
	v_xor_b32_e32 v10, vcc_hi, v4
	v_xor_b32_e32 v4, vcc_lo, v4
	v_and_b32_e32 v2, v2, v10
	v_lshlrev_b32_e32 v10, 25, v1
	v_and_b32_e32 v3, v3, v4
	v_cmp_gt_i64_e32 vcc, 0, v[9:10]
	v_not_b32_e32 v4, v10
	v_ashrrev_i32_e32 v4, 31, v4
	v_xor_b32_e32 v10, vcc_hi, v4
	v_and_b32_e32 v2, v2, v10
	v_lshlrev_b32_e32 v10, 24, v1
	v_xor_b32_e32 v4, vcc_lo, v4
	v_cmp_gt_i64_e32 vcc, 0, v[9:10]
	v_not_b32_e32 v1, v10
	v_ashrrev_i32_e32 v1, 31, v1
	v_and_b32_e32 v3, v3, v4
	v_xor_b32_e32 v4, vcc_hi, v1
	v_xor_b32_e32 v1, vcc_lo, v1
	; wave barrier
	ds_read_b32 v48, v49 offset:8
	v_and_b32_e32 v1, v3, v1
	v_and_b32_e32 v2, v2, v4
	v_mbcnt_lo_u32_b32 v3, v1, 0
	v_mbcnt_hi_u32_b32 v50, v2, v3
	v_cmp_ne_u64_e32 vcc, 0, v[1:2]
	v_cmp_eq_u32_e64 s[24:25], 0, v50
	s_and_b64 s[36:37], vcc, s[24:25]
	; wave barrier
	s_and_saveexec_b64 s[24:25], s[36:37]
	s_cbranch_execz .LBB15_16
; %bb.15:                               ;   in Loop: Header=BB15_4 Depth=2
	v_bcnt_u32_b32 v1, v1, 0
	v_bcnt_u32_b32 v1, v2, v1
	s_waitcnt lgkmcnt(0)
	v_add_u32_e32 v1, v48, v1
	ds_write_b32 v49, v1 offset:8
.LBB15_16:                              ;   in Loop: Header=BB15_4 Depth=2
	s_or_b64 exec, exec, s[24:25]
	v_lshrrev_b32_e32 v1, v34, v36
	v_lshlrev_b32_sdwa v2, v27, v1 dst_sel:DWORD dst_unused:UNUSED_PAD src0_sel:DWORD src1_sel:BYTE_0
	v_add_u32_e32 v52, v26, v2
	v_and_b32_e32 v2, 1, v1
	v_add_co_u32_e32 v3, vcc, -1, v2
	v_addc_co_u32_e64 v4, s[24:25], 0, -1, vcc
	v_cmp_ne_u32_e32 vcc, 0, v2
	v_lshlrev_b32_e32 v10, 30, v1
	v_xor_b32_e32 v2, vcc_hi, v4
	v_xor_b32_e32 v3, vcc_lo, v3
	v_cmp_gt_i64_e32 vcc, 0, v[9:10]
	v_not_b32_e32 v4, v10
	v_ashrrev_i32_e32 v4, 31, v4
	v_and_b32_e32 v2, exec_hi, v2
	v_xor_b32_e32 v10, vcc_hi, v4
	v_and_b32_e32 v3, exec_lo, v3
	v_xor_b32_e32 v4, vcc_lo, v4
	v_and_b32_e32 v2, v2, v10
	v_lshlrev_b32_e32 v10, 29, v1
	v_and_b32_e32 v3, v3, v4
	v_cmp_gt_i64_e32 vcc, 0, v[9:10]
	v_not_b32_e32 v4, v10
	v_ashrrev_i32_e32 v4, 31, v4
	v_xor_b32_e32 v10, vcc_hi, v4
	v_xor_b32_e32 v4, vcc_lo, v4
	v_and_b32_e32 v2, v2, v10
	v_lshlrev_b32_e32 v10, 28, v1
	v_and_b32_e32 v3, v3, v4
	v_cmp_gt_i64_e32 vcc, 0, v[9:10]
	v_not_b32_e32 v4, v10
	v_ashrrev_i32_e32 v4, 31, v4
	v_xor_b32_e32 v10, vcc_hi, v4
	;; [unrolled: 8-line block ×5, first 2 shown]
	v_and_b32_e32 v2, v2, v10
	v_lshlrev_b32_e32 v10, 24, v1
	v_xor_b32_e32 v4, vcc_lo, v4
	v_cmp_gt_i64_e32 vcc, 0, v[9:10]
	v_not_b32_e32 v1, v10
	v_ashrrev_i32_e32 v1, 31, v1
	v_and_b32_e32 v3, v3, v4
	v_xor_b32_e32 v4, vcc_hi, v1
	v_xor_b32_e32 v1, vcc_lo, v1
	; wave barrier
	ds_read_b32 v51, v52 offset:8
	v_and_b32_e32 v1, v3, v1
	v_and_b32_e32 v2, v2, v4
	v_mbcnt_lo_u32_b32 v3, v1, 0
	v_mbcnt_hi_u32_b32 v53, v2, v3
	v_cmp_ne_u64_e32 vcc, 0, v[1:2]
	v_cmp_eq_u32_e64 s[24:25], 0, v53
	s_and_b64 s[36:37], vcc, s[24:25]
	; wave barrier
	s_and_saveexec_b64 s[24:25], s[36:37]
	s_cbranch_execz .LBB15_18
; %bb.17:                               ;   in Loop: Header=BB15_4 Depth=2
	v_bcnt_u32_b32 v1, v1, 0
	v_bcnt_u32_b32 v1, v2, v1
	s_waitcnt lgkmcnt(0)
	v_add_u32_e32 v1, v51, v1
	ds_write_b32 v52, v1 offset:8
.LBB15_18:                              ;   in Loop: Header=BB15_4 Depth=2
	s_or_b64 exec, exec, s[24:25]
	v_lshrrev_b32_e32 v1, v34, v33
	v_lshlrev_b32_sdwa v2, v27, v1 dst_sel:DWORD dst_unused:UNUSED_PAD src0_sel:DWORD src1_sel:BYTE_0
	v_add_u32_e32 v55, v26, v2
	v_and_b32_e32 v2, 1, v1
	v_add_co_u32_e32 v3, vcc, -1, v2
	v_addc_co_u32_e64 v4, s[24:25], 0, -1, vcc
	v_cmp_ne_u32_e32 vcc, 0, v2
	v_lshlrev_b32_e32 v10, 30, v1
	v_xor_b32_e32 v2, vcc_hi, v4
	v_xor_b32_e32 v3, vcc_lo, v3
	v_cmp_gt_i64_e32 vcc, 0, v[9:10]
	v_not_b32_e32 v4, v10
	v_ashrrev_i32_e32 v4, 31, v4
	v_and_b32_e32 v2, exec_hi, v2
	v_xor_b32_e32 v10, vcc_hi, v4
	v_and_b32_e32 v3, exec_lo, v3
	v_xor_b32_e32 v4, vcc_lo, v4
	v_and_b32_e32 v2, v2, v10
	v_lshlrev_b32_e32 v10, 29, v1
	v_and_b32_e32 v3, v3, v4
	v_cmp_gt_i64_e32 vcc, 0, v[9:10]
	v_not_b32_e32 v4, v10
	v_ashrrev_i32_e32 v4, 31, v4
	v_xor_b32_e32 v10, vcc_hi, v4
	v_xor_b32_e32 v4, vcc_lo, v4
	v_and_b32_e32 v2, v2, v10
	v_lshlrev_b32_e32 v10, 28, v1
	v_and_b32_e32 v3, v3, v4
	v_cmp_gt_i64_e32 vcc, 0, v[9:10]
	v_not_b32_e32 v4, v10
	v_ashrrev_i32_e32 v4, 31, v4
	v_xor_b32_e32 v10, vcc_hi, v4
	;; [unrolled: 8-line block ×5, first 2 shown]
	v_and_b32_e32 v2, v2, v10
	v_lshlrev_b32_e32 v10, 24, v1
	v_xor_b32_e32 v4, vcc_lo, v4
	v_cmp_gt_i64_e32 vcc, 0, v[9:10]
	v_not_b32_e32 v1, v10
	v_ashrrev_i32_e32 v1, 31, v1
	v_and_b32_e32 v3, v3, v4
	v_xor_b32_e32 v4, vcc_hi, v1
	v_xor_b32_e32 v1, vcc_lo, v1
	; wave barrier
	ds_read_b32 v54, v55 offset:8
	v_and_b32_e32 v1, v3, v1
	v_and_b32_e32 v2, v2, v4
	v_mbcnt_lo_u32_b32 v3, v1, 0
	v_mbcnt_hi_u32_b32 v10, v2, v3
	v_cmp_ne_u64_e32 vcc, 0, v[1:2]
	v_cmp_eq_u32_e64 s[24:25], 0, v10
	s_and_b64 s[36:37], vcc, s[24:25]
	; wave barrier
	s_and_saveexec_b64 s[24:25], s[36:37]
	s_cbranch_execz .LBB15_20
; %bb.19:                               ;   in Loop: Header=BB15_4 Depth=2
	v_bcnt_u32_b32 v1, v1, 0
	v_bcnt_u32_b32 v1, v2, v1
	s_waitcnt lgkmcnt(0)
	v_add_u32_e32 v1, v54, v1
	ds_write_b32 v55, v1 offset:8
.LBB15_20:                              ;   in Loop: Header=BB15_4 Depth=2
	s_or_b64 exec, exec, s[24:25]
	; wave barrier
	s_waitcnt lgkmcnt(0)
	s_barrier
	ds_read2_b64 v[1:4], v18 offset0:1 offset1:2
	s_waitcnt lgkmcnt(0)
	v_add_u32_e32 v56, v2, v1
	v_add3_u32 v4, v56, v3, v4
	s_nop 1
	v_mov_b32_dpp v56, v4 row_shr:1 row_mask:0xf bank_mask:0xf
	v_cndmask_b32_e64 v56, v56, 0, s[10:11]
	v_add_u32_e32 v4, v56, v4
	s_nop 1
	v_mov_b32_dpp v56, v4 row_shr:2 row_mask:0xf bank_mask:0xf
	v_cndmask_b32_e64 v56, 0, v56, s[12:13]
	v_add_u32_e32 v4, v4, v56
	;; [unrolled: 4-line block ×4, first 2 shown]
	s_nop 1
	v_mov_b32_dpp v56, v4 row_bcast:15 row_mask:0xf bank_mask:0xf
	v_cndmask_b32_e64 v56, v56, 0, s[18:19]
	v_add_u32_e32 v4, v4, v56
	s_nop 1
	v_mov_b32_dpp v56, v4 row_bcast:31 row_mask:0xf bank_mask:0xf
	v_cndmask_b32_e64 v56, 0, v56, s[6:7]
	v_add_u32_e32 v4, v4, v56
	s_and_saveexec_b64 s[24:25], s[20:21]
; %bb.21:                               ;   in Loop: Header=BB15_4 Depth=2
	ds_write_b32 v20, v4
; %bb.22:                               ;   in Loop: Header=BB15_4 Depth=2
	s_or_b64 exec, exec, s[24:25]
	s_waitcnt lgkmcnt(0)
	s_barrier
	s_and_saveexec_b64 s[24:25], s[0:1]
	s_cbranch_execz .LBB15_24
; %bb.23:                               ;   in Loop: Header=BB15_4 Depth=2
	ds_read_b32 v56, v21
	s_waitcnt lgkmcnt(0)
	s_nop 0
	v_mov_b32_dpp v57, v56 row_shr:1 row_mask:0xf bank_mask:0xf
	v_cndmask_b32_e64 v57, v57, 0, s[22:23]
	v_add_u32_e32 v56, v57, v56
	ds_write_b32 v21, v56
.LBB15_24:                              ;   in Loop: Header=BB15_4 Depth=2
	s_or_b64 exec, exec, s[24:25]
	v_mov_b32_e32 v56, 0
	s_waitcnt lgkmcnt(0)
	s_barrier
	s_and_saveexec_b64 s[24:25], s[2:3]
; %bb.25:                               ;   in Loop: Header=BB15_4 Depth=2
	ds_read_b32 v56, v23
; %bb.26:                               ;   in Loop: Header=BB15_4 Depth=2
	s_or_b64 exec, exec, s[24:25]
	s_waitcnt lgkmcnt(0)
	v_add_u32_e32 v4, v56, v4
	ds_bpermute_b32 v4, v25, v4
	v_cmp_lt_u32_e32 vcc, 23, v34
	s_and_b64 vcc, exec, vcc
	s_mov_b64 s[24:25], -1
	s_waitcnt lgkmcnt(0)
	v_cndmask_b32_e64 v4, v4, v56, s[8:9]
	v_cndmask_b32_e64 v56, v4, 0, s[4:5]
	v_add_u32_e32 v57, v56, v1
	v_add_u32_e32 v1, v57, v2
	;; [unrolled: 1-line block ×3, first 2 shown]
	ds_write2_b64 v18, v[56:57], v[1:2] offset0:1 offset1:2
	s_waitcnt lgkmcnt(0)
	s_barrier
	ds_read_b32 v1, v6 offset:8
	ds_read_b32 v2, v8 offset:8
	;; [unrolled: 1-line block ×8, first 2 shown]
	s_waitcnt lgkmcnt(7)
	v_add_u32_e32 v57, v1, v5
	s_waitcnt lgkmcnt(6)
	v_add3_u32 v56, v11, v7, v2
	s_waitcnt lgkmcnt(5)
	v_add3_u32 v55, v14, v12, v3
	;; [unrolled: 2-line block ×7, first 2 shown]
                                        ; implicit-def: $vgpr17
                                        ; implicit-def: $vgpr15
                                        ; implicit-def: $vgpr13
                                        ; implicit-def: $vgpr11
                                        ; implicit-def: $vgpr8
                                        ; implicit-def: $vgpr6
                                        ; implicit-def: $vgpr4
                                        ; implicit-def: $vgpr2
	s_cbranch_vccnz .LBB15_3
; %bb.27:                               ;   in Loop: Header=BB15_4 Depth=2
	v_lshlrev_b32_e32 v1, 2, v57
	v_lshlrev_b32_e32 v2, 2, v56
	;; [unrolled: 1-line block ×8, first 2 shown]
	s_barrier
	ds_write_b32 v1, v44
	ds_write_b32 v2, v43
	ds_write_b32 v3, v42
	ds_write_b32 v4, v41
	ds_write_b32 v5, v40
	ds_write_b32 v6, v39
	ds_write_b32 v7, v36
	ds_write_b32 v8, v33
	s_waitcnt lgkmcnt(0)
	s_barrier
	ds_read2st64_b32 v[10:11], v22 offset1:1
	ds_read2st64_b32 v[12:13], v22 offset0:2 offset1:3
	ds_read2st64_b32 v[14:15], v22 offset0:4 offset1:5
	;; [unrolled: 1-line block ×3, first 2 shown]
	s_waitcnt lgkmcnt(0)
	s_barrier
	ds_write_b32 v1, v38
	ds_write_b32 v2, v37
	;; [unrolled: 1-line block ×8, first 2 shown]
	s_waitcnt lgkmcnt(0)
	s_barrier
	ds_read2st64_b32 v[1:2], v22 offset1:1
	ds_read2st64_b32 v[3:4], v22 offset0:2 offset1:3
	ds_read2st64_b32 v[5:6], v22 offset0:4 offset1:5
	;; [unrolled: 1-line block ×3, first 2 shown]
	v_add_u32_e32 v34, 8, v34
	s_mov_b64 s[24:25], 0
	s_waitcnt lgkmcnt(0)
	s_barrier
	s_branch .LBB15_3
.LBB15_28:
	s_add_u32 s0, s26, s28
	s_waitcnt lgkmcnt(1)
	v_add_u32_e32 v5, v10, v5
	s_addc_u32 s1, s27, s29
	v_lshlrev_b32_e32 v0, 2, v0
	v_add_u32_e32 v6, v11, v6
	v_add_u32_e32 v7, v12, v7
	;; [unrolled: 1-line block ×3, first 2 shown]
	s_waitcnt lgkmcnt(0)
	v_add_u32_e32 v1, v14, v1
	v_add_u32_e32 v2, v15, v2
	v_add_u32_e32 v3, v16, v3
	v_add_u32_e32 v4, v17, v4
	global_store_dword v0, v5, s[0:1]
	global_store_dword v0, v6, s[0:1] offset:512
	global_store_dword v0, v7, s[0:1] offset:1024
	;; [unrolled: 1-line block ×7, first 2 shown]
	s_endpgm
	.section	.rodata,"a",@progbits
	.p2align	6, 0x0
	.amdhsa_kernel _Z17sort_pairs_kernelI22helper_blocked_blockediLj128ELj8ELj10EEvPKT0_PS1_
		.amdhsa_group_segment_fixed_size 4096
		.amdhsa_private_segment_fixed_size 0
		.amdhsa_kernarg_size 272
		.amdhsa_user_sgpr_count 6
		.amdhsa_user_sgpr_private_segment_buffer 1
		.amdhsa_user_sgpr_dispatch_ptr 0
		.amdhsa_user_sgpr_queue_ptr 0
		.amdhsa_user_sgpr_kernarg_segment_ptr 1
		.amdhsa_user_sgpr_dispatch_id 0
		.amdhsa_user_sgpr_flat_scratch_init 0
		.amdhsa_user_sgpr_private_segment_size 0
		.amdhsa_uses_dynamic_stack 0
		.amdhsa_system_sgpr_private_segment_wavefront_offset 0
		.amdhsa_system_sgpr_workgroup_id_x 1
		.amdhsa_system_sgpr_workgroup_id_y 0
		.amdhsa_system_sgpr_workgroup_id_z 0
		.amdhsa_system_sgpr_workgroup_info 0
		.amdhsa_system_vgpr_workitem_id 2
		.amdhsa_next_free_vgpr 58
		.amdhsa_next_free_sgpr 61
		.amdhsa_reserve_vcc 1
		.amdhsa_reserve_flat_scratch 0
		.amdhsa_float_round_mode_32 0
		.amdhsa_float_round_mode_16_64 0
		.amdhsa_float_denorm_mode_32 3
		.amdhsa_float_denorm_mode_16_64 3
		.amdhsa_dx10_clamp 1
		.amdhsa_ieee_mode 1
		.amdhsa_fp16_overflow 0
		.amdhsa_exception_fp_ieee_invalid_op 0
		.amdhsa_exception_fp_denorm_src 0
		.amdhsa_exception_fp_ieee_div_zero 0
		.amdhsa_exception_fp_ieee_overflow 0
		.amdhsa_exception_fp_ieee_underflow 0
		.amdhsa_exception_fp_ieee_inexact 0
		.amdhsa_exception_int_div_zero 0
	.end_amdhsa_kernel
	.section	.text._Z17sort_pairs_kernelI22helper_blocked_blockediLj128ELj8ELj10EEvPKT0_PS1_,"axG",@progbits,_Z17sort_pairs_kernelI22helper_blocked_blockediLj128ELj8ELj10EEvPKT0_PS1_,comdat
.Lfunc_end15:
	.size	_Z17sort_pairs_kernelI22helper_blocked_blockediLj128ELj8ELj10EEvPKT0_PS1_, .Lfunc_end15-_Z17sort_pairs_kernelI22helper_blocked_blockediLj128ELj8ELj10EEvPKT0_PS1_
                                        ; -- End function
	.set _Z17sort_pairs_kernelI22helper_blocked_blockediLj128ELj8ELj10EEvPKT0_PS1_.num_vgpr, 58
	.set _Z17sort_pairs_kernelI22helper_blocked_blockediLj128ELj8ELj10EEvPKT0_PS1_.num_agpr, 0
	.set _Z17sort_pairs_kernelI22helper_blocked_blockediLj128ELj8ELj10EEvPKT0_PS1_.numbered_sgpr, 38
	.set _Z17sort_pairs_kernelI22helper_blocked_blockediLj128ELj8ELj10EEvPKT0_PS1_.num_named_barrier, 0
	.set _Z17sort_pairs_kernelI22helper_blocked_blockediLj128ELj8ELj10EEvPKT0_PS1_.private_seg_size, 0
	.set _Z17sort_pairs_kernelI22helper_blocked_blockediLj128ELj8ELj10EEvPKT0_PS1_.uses_vcc, 1
	.set _Z17sort_pairs_kernelI22helper_blocked_blockediLj128ELj8ELj10EEvPKT0_PS1_.uses_flat_scratch, 0
	.set _Z17sort_pairs_kernelI22helper_blocked_blockediLj128ELj8ELj10EEvPKT0_PS1_.has_dyn_sized_stack, 0
	.set _Z17sort_pairs_kernelI22helper_blocked_blockediLj128ELj8ELj10EEvPKT0_PS1_.has_recursion, 0
	.set _Z17sort_pairs_kernelI22helper_blocked_blockediLj128ELj8ELj10EEvPKT0_PS1_.has_indirect_call, 0
	.section	.AMDGPU.csdata,"",@progbits
; Kernel info:
; codeLenInByte = 4804
; TotalNumSgprs: 42
; NumVgprs: 58
; ScratchSize: 0
; MemoryBound: 0
; FloatMode: 240
; IeeeMode: 1
; LDSByteSize: 4096 bytes/workgroup (compile time only)
; SGPRBlocks: 8
; VGPRBlocks: 14
; NumSGPRsForWavesPerEU: 65
; NumVGPRsForWavesPerEU: 58
; Occupancy: 4
; WaveLimiterHint : 1
; COMPUTE_PGM_RSRC2:SCRATCH_EN: 0
; COMPUTE_PGM_RSRC2:USER_SGPR: 6
; COMPUTE_PGM_RSRC2:TRAP_HANDLER: 0
; COMPUTE_PGM_RSRC2:TGID_X_EN: 1
; COMPUTE_PGM_RSRC2:TGID_Y_EN: 0
; COMPUTE_PGM_RSRC2:TGID_Z_EN: 0
; COMPUTE_PGM_RSRC2:TIDIG_COMP_CNT: 2
	.section	.text._Z16sort_keys_kernelI22helper_blocked_blockediLj192ELj1ELj10EEvPKT0_PS1_,"axG",@progbits,_Z16sort_keys_kernelI22helper_blocked_blockediLj192ELj1ELj10EEvPKT0_PS1_,comdat
	.protected	_Z16sort_keys_kernelI22helper_blocked_blockediLj192ELj1ELj10EEvPKT0_PS1_ ; -- Begin function _Z16sort_keys_kernelI22helper_blocked_blockediLj192ELj1ELj10EEvPKT0_PS1_
	.globl	_Z16sort_keys_kernelI22helper_blocked_blockediLj192ELj1ELj10EEvPKT0_PS1_
	.p2align	8
	.type	_Z16sort_keys_kernelI22helper_blocked_blockediLj192ELj1ELj10EEvPKT0_PS1_,@function
_Z16sort_keys_kernelI22helper_blocked_blockediLj192ELj1ELj10EEvPKT0_PS1_: ; @_Z16sort_keys_kernelI22helper_blocked_blockediLj192ELj1ELj10EEvPKT0_PS1_
; %bb.0:
	s_load_dwordx4 s[28:31], s[4:5], 0x0
	s_load_dword s24, s[4:5], 0x1c
	s_mul_i32 s0, s6, 0xc0
	s_mov_b32 s1, 0
	s_lshl_b64 s[34:35], s[0:1], 2
	s_waitcnt lgkmcnt(0)
	s_add_u32 s0, s28, s34
	s_addc_u32 s1, s29, s35
	v_lshlrev_b32_e32 v3, 2, v0
	global_load_dword v4, v3, s[0:1]
	v_mbcnt_lo_u32_b32 v5, -1, 0
	v_mbcnt_hi_u32_b32 v5, -1, v5
	v_subrev_co_u32_e64 v20, s[6:7], 1, v5
	v_and_b32_e32 v21, 64, v5
	v_cmp_lt_i32_e64 s[22:23], v20, v21
	v_cndmask_b32_e64 v20, v20, v5, s[22:23]
	s_lshr_b32 s22, s24, 16
	s_and_b32 s23, s24, 0xffff
	v_mad_u32_u24 v1, v2, s22, v1
	v_mad_u64_u32 v[1:2], s[22:23], v1, s23, v[0:1]
	v_and_b32_e32 v15, 0xc0, v0
	v_and_b32_e32 v19, 16, v5
	v_lshlrev_b32_e32 v14, 4, v0
	v_lshrrev_b32_e32 v16, 4, v0
	v_mul_i32_i24_e32 v17, -12, v0
	v_and_b32_e32 v18, 15, v5
	v_cmp_eq_u32_e64 s[16:17], 0, v19
	v_lshlrev_b32_e32 v19, 2, v15
	v_min_u32_e32 v22, 0x80, v15
	v_cmp_lt_u32_e64 s[4:5], 31, v5
	v_cmp_eq_u32_e64 s[8:9], 0, v18
	v_cmp_lt_u32_e64 s[10:11], 1, v18
	v_cmp_lt_u32_e64 s[12:13], 3, v18
	;; [unrolled: 1-line block ×3, first 2 shown]
	v_and_b32_e32 v18, 3, v5
	v_and_b32_e32 v15, 12, v16
	v_add_u32_e32 v16, v14, v17
	v_lshl_add_u32 v17, v5, 2, v19
	v_or_b32_e32 v5, 63, v22
	v_lshrrev_b32_e32 v1, 4, v1
	v_mov_b32_e32 v3, 0
	s_mov_b32 s28, 10
	s_movk_i32 s29, 0xff
	v_mov_b32_e32 v6, 12
	v_mov_b32_e32 v7, 1
	;; [unrolled: 1-line block ×8, first 2 shown]
	v_cmp_gt_u32_e32 vcc, 3, v0
	v_cmp_lt_u32_e64 s[0:1], 63, v0
	v_cmp_eq_u32_e64 s[2:3], 0, v0
	v_cmp_eq_u32_e64 s[18:19], 0, v18
	v_cmp_lt_u32_e64 s[20:21], 1, v18
	v_add_u32_e32 v18, -4, v15
	v_cmp_eq_u32_e64 s[22:23], v0, v5
	v_lshlrev_b32_e32 v19, 2, v20
	v_and_b32_e32 v20, 0xffffffc, v1
	v_mov_b32_e32 v21, 24
	s_waitcnt vmcnt(0)
	v_xor_b32_e32 v22, 0x80000000, v4
	s_branch .LBB16_2
.LBB16_1:                               ;   in Loop: Header=BB16_2 Depth=1
	s_or_b64 exec, exec, s[24:25]
	s_waitcnt lgkmcnt(0)
	v_add_u32_e32 v2, v25, v2
	ds_bpermute_b32 v2, v19, v2
	s_add_i32 s28, s28, -1
	s_cmp_eq_u32 s28, 0
	s_waitcnt lgkmcnt(0)
	v_cndmask_b32_e64 v2, v2, v25, s[6:7]
	v_cndmask_b32_e64 v2, v2, 0, s[2:3]
	v_add_u32_e32 v4, v2, v4
	v_add_u32_e32 v5, v4, v5
	;; [unrolled: 1-line block ×3, first 2 shown]
	ds_write2_b32 v14, v2, v4 offset0:3 offset1:4
	ds_write2_b32 v14, v5, v1 offset0:5 offset1:6
	s_waitcnt lgkmcnt(0)
	s_barrier
	ds_read_b32 v1, v24 offset:12
	v_lshlrev_b32_e32 v2, 2, v23
	s_waitcnt lgkmcnt(0)
	s_barrier
	v_lshl_add_u32 v1, v1, 2, v2
	ds_write_b32 v1, v22
	s_waitcnt lgkmcnt(0)
	s_barrier
	ds_read_b32 v22, v16
	s_cbranch_scc1 .LBB16_34
.LBB16_2:                               ; =>This Inner Loop Header: Depth=1
	s_waitcnt lgkmcnt(0)
	v_and_b32_e32 v1, 1, v22
	v_add_co_u32_e64 v2, s[24:25], -1, v1
	v_addc_co_u32_e64 v4, s[24:25], 0, -1, s[24:25]
	v_cmp_ne_u32_e64 s[24:25], 0, v1
	v_xor_b32_e32 v1, s25, v4
	v_lshlrev_b32_e32 v4, 30, v22
	v_xor_b32_e32 v2, s24, v2
	v_cmp_gt_i64_e64 s[24:25], 0, v[3:4]
	v_not_b32_e32 v4, v4
	v_ashrrev_i32_e32 v4, 31, v4
	v_and_b32_e32 v2, exec_lo, v2
	v_xor_b32_e32 v23, s25, v4
	v_xor_b32_e32 v4, s24, v4
	v_and_b32_e32 v2, v2, v4
	v_lshlrev_b32_e32 v4, 29, v22
	v_cmp_gt_i64_e64 s[24:25], 0, v[3:4]
	v_not_b32_e32 v4, v4
	v_and_b32_e32 v1, exec_hi, v1
	v_ashrrev_i32_e32 v4, 31, v4
	v_and_b32_e32 v1, v1, v23
	v_xor_b32_e32 v23, s25, v4
	v_xor_b32_e32 v4, s24, v4
	v_and_b32_e32 v2, v2, v4
	v_lshlrev_b32_e32 v4, 28, v22
	v_cmp_gt_i64_e64 s[24:25], 0, v[3:4]
	v_not_b32_e32 v4, v4
	v_ashrrev_i32_e32 v4, 31, v4
	v_and_b32_e32 v1, v1, v23
	v_xor_b32_e32 v23, s25, v4
	v_xor_b32_e32 v4, s24, v4
	v_and_b32_e32 v2, v2, v4
	v_lshlrev_b32_e32 v4, 27, v22
	v_cmp_gt_i64_e64 s[24:25], 0, v[3:4]
	v_not_b32_e32 v4, v4
	;; [unrolled: 8-line block ×4, first 2 shown]
	v_ashrrev_i32_e32 v4, 31, v4
	v_and_b32_e32 v1, v1, v23
	v_xor_b32_e32 v23, s25, v4
	v_xor_b32_e32 v4, s24, v4
	v_and_b32_e32 v1, v1, v23
	v_and_b32_e32 v23, v2, v4
	v_lshlrev_b32_e32 v4, 24, v22
	v_cmp_gt_i64_e64 s[24:25], 0, v[3:4]
	v_not_b32_e32 v2, v4
	v_ashrrev_i32_e32 v2, 31, v2
	v_xor_b32_e32 v4, s25, v2
	v_xor_b32_e32 v24, s24, v2
	v_and_b32_e32 v2, v1, v4
	v_and_b32_e32 v1, v23, v24
	v_mbcnt_lo_u32_b32 v4, v1, 0
	v_mbcnt_hi_u32_b32 v23, v2, v4
	v_cmp_ne_u64_e64 s[24:25], 0, v[1:2]
	v_mul_u32_u24_sdwa v5, v22, v6 dst_sel:DWORD dst_unused:UNUSED_PAD src0_sel:BYTE_0 src1_sel:DWORD
	v_cmp_eq_u32_e64 s[26:27], 0, v23
	s_and_b64 s[26:27], s[24:25], s[26:27]
	v_add_u32_e32 v24, v20, v5
	ds_write2_b32 v14, v3, v3 offset0:3 offset1:4
	ds_write2_b32 v14, v3, v3 offset0:5 offset1:6
	s_waitcnt lgkmcnt(0)
	s_barrier
	; wave barrier
	s_and_saveexec_b64 s[24:25], s[26:27]
; %bb.3:                                ;   in Loop: Header=BB16_2 Depth=1
	v_bcnt_u32_b32 v1, v1, 0
	v_bcnt_u32_b32 v1, v2, v1
	ds_write_b32 v24, v1 offset:12
; %bb.4:                                ;   in Loop: Header=BB16_2 Depth=1
	s_or_b64 exec, exec, s[24:25]
	; wave barrier
	s_waitcnt lgkmcnt(0)
	s_barrier
	ds_read2_b32 v[4:5], v14 offset0:3 offset1:4
	ds_read2_b32 v[1:2], v14 offset0:5 offset1:6
	s_waitcnt lgkmcnt(1)
	v_add_u32_e32 v25, v5, v4
	s_waitcnt lgkmcnt(0)
	v_add3_u32 v2, v25, v1, v2
	s_nop 1
	v_mov_b32_dpp v25, v2 row_shr:1 row_mask:0xf bank_mask:0xf
	v_cndmask_b32_e64 v25, v25, 0, s[8:9]
	v_add_u32_e32 v2, v25, v2
	s_nop 1
	v_mov_b32_dpp v25, v2 row_shr:2 row_mask:0xf bank_mask:0xf
	v_cndmask_b32_e64 v25, 0, v25, s[10:11]
	v_add_u32_e32 v2, v2, v25
	s_nop 1
	v_mov_b32_dpp v25, v2 row_shr:4 row_mask:0xf bank_mask:0xf
	v_cndmask_b32_e64 v25, 0, v25, s[12:13]
	v_add_u32_e32 v2, v2, v25
	s_nop 1
	v_mov_b32_dpp v25, v2 row_shr:8 row_mask:0xf bank_mask:0xf
	v_cndmask_b32_e64 v25, 0, v25, s[14:15]
	v_add_u32_e32 v2, v2, v25
	s_nop 1
	v_mov_b32_dpp v25, v2 row_bcast:15 row_mask:0xf bank_mask:0xf
	v_cndmask_b32_e64 v25, v25, 0, s[16:17]
	v_add_u32_e32 v2, v2, v25
	s_nop 1
	v_mov_b32_dpp v25, v2 row_bcast:31 row_mask:0xf bank_mask:0xf
	v_cndmask_b32_e64 v25, 0, v25, s[4:5]
	v_add_u32_e32 v2, v2, v25
	s_and_saveexec_b64 s[24:25], s[22:23]
; %bb.5:                                ;   in Loop: Header=BB16_2 Depth=1
	ds_write_b32 v15, v2
; %bb.6:                                ;   in Loop: Header=BB16_2 Depth=1
	s_or_b64 exec, exec, s[24:25]
	s_waitcnt lgkmcnt(0)
	s_barrier
	s_and_saveexec_b64 s[24:25], vcc
	s_cbranch_execz .LBB16_8
; %bb.7:                                ;   in Loop: Header=BB16_2 Depth=1
	ds_read_b32 v25, v16
	s_waitcnt lgkmcnt(0)
	s_nop 0
	v_mov_b32_dpp v26, v25 row_shr:1 row_mask:0xf bank_mask:0xf
	v_cndmask_b32_e64 v26, v26, 0, s[18:19]
	v_add_u32_e32 v25, v26, v25
	s_nop 1
	v_mov_b32_dpp v26, v25 row_shr:2 row_mask:0xf bank_mask:0xf
	v_cndmask_b32_e64 v26, 0, v26, s[20:21]
	v_add_u32_e32 v25, v25, v26
	ds_write_b32 v16, v25
.LBB16_8:                               ;   in Loop: Header=BB16_2 Depth=1
	s_or_b64 exec, exec, s[24:25]
	v_mov_b32_e32 v25, 0
	s_waitcnt lgkmcnt(0)
	s_barrier
	s_and_saveexec_b64 s[24:25], s[0:1]
; %bb.9:                                ;   in Loop: Header=BB16_2 Depth=1
	ds_read_b32 v25, v18
; %bb.10:                               ;   in Loop: Header=BB16_2 Depth=1
	s_or_b64 exec, exec, s[24:25]
	s_waitcnt lgkmcnt(0)
	v_add_u32_e32 v2, v25, v2
	ds_bpermute_b32 v2, v19, v2
	s_waitcnt lgkmcnt(0)
	v_cndmask_b32_e64 v2, v2, v25, s[6:7]
	v_cndmask_b32_e64 v2, v2, 0, s[2:3]
	v_add_u32_e32 v4, v2, v4
	v_add_u32_e32 v5, v4, v5
	;; [unrolled: 1-line block ×3, first 2 shown]
	ds_write2_b32 v14, v2, v4 offset0:3 offset1:4
	ds_write2_b32 v14, v5, v1 offset0:5 offset1:6
	s_waitcnt lgkmcnt(0)
	s_barrier
	ds_read_b32 v1, v24 offset:12
	v_lshlrev_b32_e32 v2, 2, v23
	s_waitcnt lgkmcnt(0)
	s_barrier
	v_lshl_add_u32 v1, v1, 2, v2
	ds_write_b32 v1, v22
	s_waitcnt lgkmcnt(0)
	s_barrier
	ds_read_b32 v22, v17
	s_waitcnt lgkmcnt(0)
	s_barrier
	ds_write2_b32 v14, v3, v3 offset0:3 offset1:4
	ds_write2_b32 v14, v3, v3 offset0:5 offset1:6
	v_lshrrev_b32_e32 v1, 8, v22
	v_and_b32_e32 v2, 1, v1
	v_add_co_u32_e64 v4, s[24:25], -1, v2
	v_addc_co_u32_e64 v23, s[24:25], 0, -1, s[24:25]
	v_cmp_ne_u32_e64 s[24:25], 0, v2
	v_xor_b32_e32 v4, s24, v4
	v_xor_b32_e32 v2, s25, v23
	v_and_b32_e32 v23, exec_lo, v4
	v_lshlrev_b32_e32 v4, 30, v1
	v_cmp_gt_i64_e64 s[24:25], 0, v[3:4]
	v_not_b32_e32 v4, v4
	v_ashrrev_i32_e32 v4, 31, v4
	v_xor_b32_e32 v24, s25, v4
	v_xor_b32_e32 v4, s24, v4
	v_and_b32_e32 v23, v23, v4
	v_lshlrev_b32_e32 v4, 29, v1
	v_cmp_gt_i64_e64 s[24:25], 0, v[3:4]
	v_not_b32_e32 v4, v4
	v_and_b32_e32 v2, exec_hi, v2
	v_ashrrev_i32_e32 v4, 31, v4
	v_and_b32_e32 v2, v2, v24
	v_xor_b32_e32 v24, s25, v4
	v_xor_b32_e32 v4, s24, v4
	v_and_b32_e32 v23, v23, v4
	v_lshlrev_b32_e32 v4, 28, v1
	v_cmp_gt_i64_e64 s[24:25], 0, v[3:4]
	v_not_b32_e32 v4, v4
	v_ashrrev_i32_e32 v4, 31, v4
	v_and_b32_e32 v2, v2, v24
	v_xor_b32_e32 v24, s25, v4
	v_xor_b32_e32 v4, s24, v4
	v_and_b32_e32 v23, v23, v4
	v_lshlrev_b32_e32 v4, 27, v1
	v_cmp_gt_i64_e64 s[24:25], 0, v[3:4]
	v_not_b32_e32 v4, v4
	;; [unrolled: 8-line block ×4, first 2 shown]
	v_ashrrev_i32_e32 v4, 31, v4
	v_and_b32_e32 v2, v2, v24
	v_xor_b32_e32 v24, s25, v4
	v_xor_b32_e32 v4, s24, v4
	v_and_b32_e32 v23, v23, v4
	v_lshlrev_b32_e32 v4, 24, v1
	v_mul_u32_u24_sdwa v5, v1, v6 dst_sel:DWORD dst_unused:UNUSED_PAD src0_sel:BYTE_0 src1_sel:DWORD
	v_cmp_gt_i64_e64 s[24:25], 0, v[3:4]
	v_not_b32_e32 v1, v4
	v_ashrrev_i32_e32 v1, 31, v1
	v_xor_b32_e32 v4, s25, v1
	v_xor_b32_e32 v1, s24, v1
	v_and_b32_e32 v2, v2, v24
	v_and_b32_e32 v1, v23, v1
	;; [unrolled: 1-line block ×3, first 2 shown]
	v_mbcnt_lo_u32_b32 v4, v1, 0
	v_mbcnt_hi_u32_b32 v23, v2, v4
	v_cmp_ne_u64_e64 s[24:25], 0, v[1:2]
	v_cmp_eq_u32_e64 s[26:27], 0, v23
	s_and_b64 s[26:27], s[24:25], s[26:27]
	v_add_u32_e32 v24, v20, v5
	s_waitcnt lgkmcnt(0)
	s_barrier
	; wave barrier
	s_and_saveexec_b64 s[24:25], s[26:27]
; %bb.11:                               ;   in Loop: Header=BB16_2 Depth=1
	v_bcnt_u32_b32 v1, v1, 0
	v_bcnt_u32_b32 v1, v2, v1
	ds_write_b32 v24, v1 offset:12
; %bb.12:                               ;   in Loop: Header=BB16_2 Depth=1
	s_or_b64 exec, exec, s[24:25]
	; wave barrier
	s_waitcnt lgkmcnt(0)
	s_barrier
	ds_read2_b32 v[4:5], v14 offset0:3 offset1:4
	ds_read2_b32 v[1:2], v14 offset0:5 offset1:6
	s_waitcnt lgkmcnt(1)
	v_add_u32_e32 v25, v5, v4
	s_waitcnt lgkmcnt(0)
	v_add3_u32 v2, v25, v1, v2
	s_nop 1
	v_mov_b32_dpp v25, v2 row_shr:1 row_mask:0xf bank_mask:0xf
	v_cndmask_b32_e64 v25, v25, 0, s[8:9]
	v_add_u32_e32 v2, v25, v2
	s_nop 1
	v_mov_b32_dpp v25, v2 row_shr:2 row_mask:0xf bank_mask:0xf
	v_cndmask_b32_e64 v25, 0, v25, s[10:11]
	v_add_u32_e32 v2, v2, v25
	;; [unrolled: 4-line block ×4, first 2 shown]
	s_nop 1
	v_mov_b32_dpp v25, v2 row_bcast:15 row_mask:0xf bank_mask:0xf
	v_cndmask_b32_e64 v25, v25, 0, s[16:17]
	v_add_u32_e32 v2, v2, v25
	s_nop 1
	v_mov_b32_dpp v25, v2 row_bcast:31 row_mask:0xf bank_mask:0xf
	v_cndmask_b32_e64 v25, 0, v25, s[4:5]
	v_add_u32_e32 v2, v2, v25
	s_and_saveexec_b64 s[24:25], s[22:23]
; %bb.13:                               ;   in Loop: Header=BB16_2 Depth=1
	ds_write_b32 v15, v2
; %bb.14:                               ;   in Loop: Header=BB16_2 Depth=1
	s_or_b64 exec, exec, s[24:25]
	s_waitcnt lgkmcnt(0)
	s_barrier
	s_and_saveexec_b64 s[24:25], vcc
	s_cbranch_execz .LBB16_16
; %bb.15:                               ;   in Loop: Header=BB16_2 Depth=1
	ds_read_b32 v25, v16
	s_waitcnt lgkmcnt(0)
	s_nop 0
	v_mov_b32_dpp v26, v25 row_shr:1 row_mask:0xf bank_mask:0xf
	v_cndmask_b32_e64 v26, v26, 0, s[18:19]
	v_add_u32_e32 v25, v26, v25
	s_nop 1
	v_mov_b32_dpp v26, v25 row_shr:2 row_mask:0xf bank_mask:0xf
	v_cndmask_b32_e64 v26, 0, v26, s[20:21]
	v_add_u32_e32 v25, v25, v26
	ds_write_b32 v16, v25
.LBB16_16:                              ;   in Loop: Header=BB16_2 Depth=1
	s_or_b64 exec, exec, s[24:25]
	v_mov_b32_e32 v25, 0
	s_waitcnt lgkmcnt(0)
	s_barrier
	s_and_saveexec_b64 s[24:25], s[0:1]
; %bb.17:                               ;   in Loop: Header=BB16_2 Depth=1
	ds_read_b32 v25, v18
; %bb.18:                               ;   in Loop: Header=BB16_2 Depth=1
	s_or_b64 exec, exec, s[24:25]
	s_waitcnt lgkmcnt(0)
	v_add_u32_e32 v2, v25, v2
	ds_bpermute_b32 v2, v19, v2
	s_waitcnt lgkmcnt(0)
	v_cndmask_b32_e64 v2, v2, v25, s[6:7]
	v_cndmask_b32_e64 v2, v2, 0, s[2:3]
	v_add_u32_e32 v4, v2, v4
	v_add_u32_e32 v5, v4, v5
	v_add_u32_e32 v1, v5, v1
	ds_write2_b32 v14, v2, v4 offset0:3 offset1:4
	ds_write2_b32 v14, v5, v1 offset0:5 offset1:6
	s_waitcnt lgkmcnt(0)
	s_barrier
	ds_read_b32 v1, v24 offset:12
	v_lshlrev_b32_e32 v2, 2, v23
	s_waitcnt lgkmcnt(0)
	s_barrier
	v_lshl_add_u32 v1, v1, 2, v2
	ds_write_b32 v1, v22
	s_waitcnt lgkmcnt(0)
	s_barrier
	ds_read_b32 v22, v17
	s_waitcnt lgkmcnt(0)
	s_barrier
	ds_write2_b32 v14, v3, v3 offset0:3 offset1:4
	ds_write2_b32 v14, v3, v3 offset0:5 offset1:6
	v_and_b32_sdwa v1, v22, s29 dst_sel:DWORD dst_unused:UNUSED_PAD src0_sel:WORD_1 src1_sel:DWORD
	v_mul_u32_u24_e32 v5, 12, v1
	v_and_b32_sdwa v1, v22, v7 dst_sel:DWORD dst_unused:UNUSED_PAD src0_sel:WORD_1 src1_sel:DWORD
	v_add_co_u32_e64 v2, s[24:25], -1, v1
	v_addc_co_u32_e64 v4, s[24:25], 0, -1, s[24:25]
	v_cmp_ne_u32_e64 s[24:25], 0, v1
	v_xor_b32_e32 v1, s25, v4
	v_lshlrev_b32_sdwa v4, v8, v22 dst_sel:DWORD dst_unused:UNUSED_PAD src0_sel:DWORD src1_sel:WORD_1
	v_xor_b32_e32 v2, s24, v2
	v_cmp_gt_i64_e64 s[24:25], 0, v[3:4]
	v_not_b32_e32 v4, v4
	v_ashrrev_i32_e32 v4, 31, v4
	v_and_b32_e32 v2, exec_lo, v2
	v_xor_b32_e32 v23, s25, v4
	v_xor_b32_e32 v4, s24, v4
	v_and_b32_e32 v2, v2, v4
	v_lshlrev_b32_sdwa v4, v9, v22 dst_sel:DWORD dst_unused:UNUSED_PAD src0_sel:DWORD src1_sel:WORD_1
	v_cmp_gt_i64_e64 s[24:25], 0, v[3:4]
	v_not_b32_e32 v4, v4
	v_and_b32_e32 v1, exec_hi, v1
	v_ashrrev_i32_e32 v4, 31, v4
	v_and_b32_e32 v1, v1, v23
	v_xor_b32_e32 v23, s25, v4
	v_xor_b32_e32 v4, s24, v4
	v_and_b32_e32 v2, v2, v4
	v_lshlrev_b32_sdwa v4, v10, v22 dst_sel:DWORD dst_unused:UNUSED_PAD src0_sel:DWORD src1_sel:WORD_1
	v_cmp_gt_i64_e64 s[24:25], 0, v[3:4]
	v_not_b32_e32 v4, v4
	v_ashrrev_i32_e32 v4, 31, v4
	v_and_b32_e32 v1, v1, v23
	v_xor_b32_e32 v23, s25, v4
	v_xor_b32_e32 v4, s24, v4
	v_and_b32_e32 v2, v2, v4
	v_lshlrev_b32_sdwa v4, v11, v22 dst_sel:DWORD dst_unused:UNUSED_PAD src0_sel:DWORD src1_sel:WORD_1
	v_cmp_gt_i64_e64 s[24:25], 0, v[3:4]
	v_not_b32_e32 v4, v4
	v_ashrrev_i32_e32 v4, 31, v4
	v_and_b32_e32 v1, v1, v23
	v_xor_b32_e32 v23, s25, v4
	v_xor_b32_e32 v4, s24, v4
	v_and_b32_e32 v2, v2, v4
	v_lshlrev_b32_sdwa v4, v12, v22 dst_sel:DWORD dst_unused:UNUSED_PAD src0_sel:DWORD src1_sel:WORD_1
	v_cmp_gt_i64_e64 s[24:25], 0, v[3:4]
	v_not_b32_e32 v4, v4
	v_ashrrev_i32_e32 v4, 31, v4
	v_and_b32_e32 v1, v1, v23
	v_xor_b32_e32 v23, s25, v4
	v_xor_b32_e32 v4, s24, v4
	v_and_b32_e32 v2, v2, v4
	v_lshlrev_b32_sdwa v4, v13, v22 dst_sel:DWORD dst_unused:UNUSED_PAD src0_sel:DWORD src1_sel:WORD_1
	v_cmp_gt_i64_e64 s[24:25], 0, v[3:4]
	v_not_b32_e32 v4, v4
	v_ashrrev_i32_e32 v4, 31, v4
	v_and_b32_e32 v1, v1, v23
	v_xor_b32_e32 v23, s25, v4
	v_xor_b32_e32 v4, s24, v4
	v_and_b32_e32 v1, v1, v23
	v_and_b32_e32 v23, v2, v4
	v_lshlrev_b32_sdwa v4, v21, v22 dst_sel:DWORD dst_unused:UNUSED_PAD src0_sel:DWORD src1_sel:WORD_1
	v_cmp_gt_i64_e64 s[24:25], 0, v[3:4]
	v_not_b32_e32 v2, v4
	v_ashrrev_i32_e32 v2, 31, v2
	v_xor_b32_e32 v4, s25, v2
	v_xor_b32_e32 v24, s24, v2
	v_and_b32_e32 v2, v1, v4
	v_and_b32_e32 v1, v23, v24
	v_mbcnt_lo_u32_b32 v4, v1, 0
	v_mbcnt_hi_u32_b32 v23, v2, v4
	v_cmp_ne_u64_e64 s[24:25], 0, v[1:2]
	v_cmp_eq_u32_e64 s[26:27], 0, v23
	s_and_b64 s[26:27], s[24:25], s[26:27]
	v_add_u32_e32 v24, v20, v5
	s_waitcnt lgkmcnt(0)
	s_barrier
	; wave barrier
	s_and_saveexec_b64 s[24:25], s[26:27]
; %bb.19:                               ;   in Loop: Header=BB16_2 Depth=1
	v_bcnt_u32_b32 v1, v1, 0
	v_bcnt_u32_b32 v1, v2, v1
	ds_write_b32 v24, v1 offset:12
; %bb.20:                               ;   in Loop: Header=BB16_2 Depth=1
	s_or_b64 exec, exec, s[24:25]
	; wave barrier
	s_waitcnt lgkmcnt(0)
	s_barrier
	ds_read2_b32 v[4:5], v14 offset0:3 offset1:4
	ds_read2_b32 v[1:2], v14 offset0:5 offset1:6
	s_waitcnt lgkmcnt(1)
	v_add_u32_e32 v25, v5, v4
	s_waitcnt lgkmcnt(0)
	v_add3_u32 v2, v25, v1, v2
	s_nop 1
	v_mov_b32_dpp v25, v2 row_shr:1 row_mask:0xf bank_mask:0xf
	v_cndmask_b32_e64 v25, v25, 0, s[8:9]
	v_add_u32_e32 v2, v25, v2
	s_nop 1
	v_mov_b32_dpp v25, v2 row_shr:2 row_mask:0xf bank_mask:0xf
	v_cndmask_b32_e64 v25, 0, v25, s[10:11]
	v_add_u32_e32 v2, v2, v25
	;; [unrolled: 4-line block ×4, first 2 shown]
	s_nop 1
	v_mov_b32_dpp v25, v2 row_bcast:15 row_mask:0xf bank_mask:0xf
	v_cndmask_b32_e64 v25, v25, 0, s[16:17]
	v_add_u32_e32 v2, v2, v25
	s_nop 1
	v_mov_b32_dpp v25, v2 row_bcast:31 row_mask:0xf bank_mask:0xf
	v_cndmask_b32_e64 v25, 0, v25, s[4:5]
	v_add_u32_e32 v2, v2, v25
	s_and_saveexec_b64 s[24:25], s[22:23]
; %bb.21:                               ;   in Loop: Header=BB16_2 Depth=1
	ds_write_b32 v15, v2
; %bb.22:                               ;   in Loop: Header=BB16_2 Depth=1
	s_or_b64 exec, exec, s[24:25]
	s_waitcnt lgkmcnt(0)
	s_barrier
	s_and_saveexec_b64 s[24:25], vcc
	s_cbranch_execz .LBB16_24
; %bb.23:                               ;   in Loop: Header=BB16_2 Depth=1
	ds_read_b32 v25, v16
	s_waitcnt lgkmcnt(0)
	s_nop 0
	v_mov_b32_dpp v26, v25 row_shr:1 row_mask:0xf bank_mask:0xf
	v_cndmask_b32_e64 v26, v26, 0, s[18:19]
	v_add_u32_e32 v25, v26, v25
	s_nop 1
	v_mov_b32_dpp v26, v25 row_shr:2 row_mask:0xf bank_mask:0xf
	v_cndmask_b32_e64 v26, 0, v26, s[20:21]
	v_add_u32_e32 v25, v25, v26
	ds_write_b32 v16, v25
.LBB16_24:                              ;   in Loop: Header=BB16_2 Depth=1
	s_or_b64 exec, exec, s[24:25]
	v_mov_b32_e32 v25, 0
	s_waitcnt lgkmcnt(0)
	s_barrier
	s_and_saveexec_b64 s[24:25], s[0:1]
; %bb.25:                               ;   in Loop: Header=BB16_2 Depth=1
	ds_read_b32 v25, v18
; %bb.26:                               ;   in Loop: Header=BB16_2 Depth=1
	s_or_b64 exec, exec, s[24:25]
	s_waitcnt lgkmcnt(0)
	v_add_u32_e32 v2, v25, v2
	ds_bpermute_b32 v2, v19, v2
	s_waitcnt lgkmcnt(0)
	v_cndmask_b32_e64 v2, v2, v25, s[6:7]
	v_cndmask_b32_e64 v2, v2, 0, s[2:3]
	v_add_u32_e32 v4, v2, v4
	v_add_u32_e32 v5, v4, v5
	;; [unrolled: 1-line block ×3, first 2 shown]
	ds_write2_b32 v14, v2, v4 offset0:3 offset1:4
	ds_write2_b32 v14, v5, v1 offset0:5 offset1:6
	s_waitcnt lgkmcnt(0)
	s_barrier
	ds_read_b32 v1, v24 offset:12
	v_lshlrev_b32_e32 v2, 2, v23
	s_waitcnt lgkmcnt(0)
	s_barrier
	v_lshl_add_u32 v1, v1, 2, v2
	ds_write_b32 v1, v22
	s_waitcnt lgkmcnt(0)
	s_barrier
	ds_read_b32 v22, v17
	s_waitcnt lgkmcnt(0)
	s_barrier
	ds_write2_b32 v14, v3, v3 offset0:3 offset1:4
	ds_write2_b32 v14, v3, v3 offset0:5 offset1:6
	v_and_b32_sdwa v1, v22, v7 dst_sel:DWORD dst_unused:UNUSED_PAD src0_sel:BYTE_3 src1_sel:DWORD
	v_add_co_u32_e64 v2, s[24:25], -1, v1
	v_addc_co_u32_e64 v4, s[24:25], 0, -1, s[24:25]
	v_cmp_ne_u32_e64 s[24:25], 0, v1
	v_xor_b32_e32 v1, s25, v4
	v_lshlrev_b32_sdwa v4, v8, v22 dst_sel:DWORD dst_unused:UNUSED_PAD src0_sel:DWORD src1_sel:BYTE_3
	v_xor_b32_e32 v2, s24, v2
	v_cmp_gt_i64_e64 s[24:25], 0, v[3:4]
	v_not_b32_e32 v4, v4
	v_ashrrev_i32_e32 v4, 31, v4
	v_and_b32_e32 v2, exec_lo, v2
	v_xor_b32_e32 v23, s25, v4
	v_xor_b32_e32 v4, s24, v4
	v_and_b32_e32 v2, v2, v4
	v_lshlrev_b32_sdwa v4, v9, v22 dst_sel:DWORD dst_unused:UNUSED_PAD src0_sel:DWORD src1_sel:BYTE_3
	v_cmp_gt_i64_e64 s[24:25], 0, v[3:4]
	v_not_b32_e32 v4, v4
	v_and_b32_e32 v1, exec_hi, v1
	v_ashrrev_i32_e32 v4, 31, v4
	v_and_b32_e32 v1, v1, v23
	v_xor_b32_e32 v23, s25, v4
	v_xor_b32_e32 v4, s24, v4
	v_and_b32_e32 v2, v2, v4
	v_lshlrev_b32_sdwa v4, v10, v22 dst_sel:DWORD dst_unused:UNUSED_PAD src0_sel:DWORD src1_sel:BYTE_3
	v_cmp_gt_i64_e64 s[24:25], 0, v[3:4]
	v_not_b32_e32 v4, v4
	v_ashrrev_i32_e32 v4, 31, v4
	v_and_b32_e32 v1, v1, v23
	v_xor_b32_e32 v23, s25, v4
	v_xor_b32_e32 v4, s24, v4
	v_and_b32_e32 v2, v2, v4
	v_lshlrev_b32_sdwa v4, v11, v22 dst_sel:DWORD dst_unused:UNUSED_PAD src0_sel:DWORD src1_sel:BYTE_3
	v_cmp_gt_i64_e64 s[24:25], 0, v[3:4]
	v_not_b32_e32 v4, v4
	;; [unrolled: 8-line block ×4, first 2 shown]
	v_ashrrev_i32_e32 v4, 31, v4
	v_and_b32_e32 v1, v1, v23
	v_xor_b32_e32 v23, s25, v4
	v_xor_b32_e32 v4, s24, v4
	v_and_b32_e32 v1, v1, v23
	v_and_b32_e32 v23, v2, v4
	v_lshlrev_b32_sdwa v4, v21, v22 dst_sel:DWORD dst_unused:UNUSED_PAD src0_sel:DWORD src1_sel:BYTE_3
	v_cmp_gt_i64_e64 s[24:25], 0, v[3:4]
	v_not_b32_e32 v2, v4
	v_ashrrev_i32_e32 v2, 31, v2
	v_xor_b32_e32 v4, s25, v2
	v_xor_b32_e32 v24, s24, v2
	v_and_b32_e32 v2, v1, v4
	v_and_b32_e32 v1, v23, v24
	v_mbcnt_lo_u32_b32 v4, v1, 0
	v_mbcnt_hi_u32_b32 v23, v2, v4
	v_cmp_ne_u64_e64 s[24:25], 0, v[1:2]
	v_mul_u32_u24_sdwa v5, v22, v6 dst_sel:DWORD dst_unused:UNUSED_PAD src0_sel:BYTE_3 src1_sel:DWORD
	v_cmp_eq_u32_e64 s[26:27], 0, v23
	s_and_b64 s[26:27], s[24:25], s[26:27]
	v_add_u32_e32 v24, v20, v5
	s_waitcnt lgkmcnt(0)
	s_barrier
	; wave barrier
	s_and_saveexec_b64 s[24:25], s[26:27]
; %bb.27:                               ;   in Loop: Header=BB16_2 Depth=1
	v_bcnt_u32_b32 v1, v1, 0
	v_bcnt_u32_b32 v1, v2, v1
	ds_write_b32 v24, v1 offset:12
; %bb.28:                               ;   in Loop: Header=BB16_2 Depth=1
	s_or_b64 exec, exec, s[24:25]
	; wave barrier
	s_waitcnt lgkmcnt(0)
	s_barrier
	ds_read2_b32 v[4:5], v14 offset0:3 offset1:4
	ds_read2_b32 v[1:2], v14 offset0:5 offset1:6
	s_waitcnt lgkmcnt(1)
	v_add_u32_e32 v25, v5, v4
	s_waitcnt lgkmcnt(0)
	v_add3_u32 v2, v25, v1, v2
	s_nop 1
	v_mov_b32_dpp v25, v2 row_shr:1 row_mask:0xf bank_mask:0xf
	v_cndmask_b32_e64 v25, v25, 0, s[8:9]
	v_add_u32_e32 v2, v25, v2
	s_nop 1
	v_mov_b32_dpp v25, v2 row_shr:2 row_mask:0xf bank_mask:0xf
	v_cndmask_b32_e64 v25, 0, v25, s[10:11]
	v_add_u32_e32 v2, v2, v25
	;; [unrolled: 4-line block ×4, first 2 shown]
	s_nop 1
	v_mov_b32_dpp v25, v2 row_bcast:15 row_mask:0xf bank_mask:0xf
	v_cndmask_b32_e64 v25, v25, 0, s[16:17]
	v_add_u32_e32 v2, v2, v25
	s_nop 1
	v_mov_b32_dpp v25, v2 row_bcast:31 row_mask:0xf bank_mask:0xf
	v_cndmask_b32_e64 v25, 0, v25, s[4:5]
	v_add_u32_e32 v2, v2, v25
	s_and_saveexec_b64 s[24:25], s[22:23]
; %bb.29:                               ;   in Loop: Header=BB16_2 Depth=1
	ds_write_b32 v15, v2
; %bb.30:                               ;   in Loop: Header=BB16_2 Depth=1
	s_or_b64 exec, exec, s[24:25]
	s_waitcnt lgkmcnt(0)
	s_barrier
	s_and_saveexec_b64 s[24:25], vcc
	s_cbranch_execz .LBB16_32
; %bb.31:                               ;   in Loop: Header=BB16_2 Depth=1
	ds_read_b32 v25, v16
	s_waitcnt lgkmcnt(0)
	s_nop 0
	v_mov_b32_dpp v26, v25 row_shr:1 row_mask:0xf bank_mask:0xf
	v_cndmask_b32_e64 v26, v26, 0, s[18:19]
	v_add_u32_e32 v25, v26, v25
	s_nop 1
	v_mov_b32_dpp v26, v25 row_shr:2 row_mask:0xf bank_mask:0xf
	v_cndmask_b32_e64 v26, 0, v26, s[20:21]
	v_add_u32_e32 v25, v25, v26
	ds_write_b32 v16, v25
.LBB16_32:                              ;   in Loop: Header=BB16_2 Depth=1
	s_or_b64 exec, exec, s[24:25]
	v_mov_b32_e32 v25, 0
	s_waitcnt lgkmcnt(0)
	s_barrier
	s_and_saveexec_b64 s[24:25], s[0:1]
	s_cbranch_execz .LBB16_1
; %bb.33:                               ;   in Loop: Header=BB16_2 Depth=1
	ds_read_b32 v25, v18
	s_branch .LBB16_1
.LBB16_34:
	s_add_u32 s0, s30, s34
	s_waitcnt lgkmcnt(0)
	v_xor_b32_e32 v1, 0x80000000, v22
	s_addc_u32 s1, s31, s35
	v_lshlrev_b32_e32 v0, 2, v0
	global_store_dword v0, v1, s[0:1]
	s_endpgm
	.section	.rodata,"a",@progbits
	.p2align	6, 0x0
	.amdhsa_kernel _Z16sort_keys_kernelI22helper_blocked_blockediLj192ELj1ELj10EEvPKT0_PS1_
		.amdhsa_group_segment_fixed_size 3088
		.amdhsa_private_segment_fixed_size 0
		.amdhsa_kernarg_size 272
		.amdhsa_user_sgpr_count 6
		.amdhsa_user_sgpr_private_segment_buffer 1
		.amdhsa_user_sgpr_dispatch_ptr 0
		.amdhsa_user_sgpr_queue_ptr 0
		.amdhsa_user_sgpr_kernarg_segment_ptr 1
		.amdhsa_user_sgpr_dispatch_id 0
		.amdhsa_user_sgpr_flat_scratch_init 0
		.amdhsa_user_sgpr_private_segment_size 0
		.amdhsa_uses_dynamic_stack 0
		.amdhsa_system_sgpr_private_segment_wavefront_offset 0
		.amdhsa_system_sgpr_workgroup_id_x 1
		.amdhsa_system_sgpr_workgroup_id_y 0
		.amdhsa_system_sgpr_workgroup_id_z 0
		.amdhsa_system_sgpr_workgroup_info 0
		.amdhsa_system_vgpr_workitem_id 2
		.amdhsa_next_free_vgpr 27
		.amdhsa_next_free_sgpr 36
		.amdhsa_reserve_vcc 1
		.amdhsa_reserve_flat_scratch 0
		.amdhsa_float_round_mode_32 0
		.amdhsa_float_round_mode_16_64 0
		.amdhsa_float_denorm_mode_32 3
		.amdhsa_float_denorm_mode_16_64 3
		.amdhsa_dx10_clamp 1
		.amdhsa_ieee_mode 1
		.amdhsa_fp16_overflow 0
		.amdhsa_exception_fp_ieee_invalid_op 0
		.amdhsa_exception_fp_denorm_src 0
		.amdhsa_exception_fp_ieee_div_zero 0
		.amdhsa_exception_fp_ieee_overflow 0
		.amdhsa_exception_fp_ieee_underflow 0
		.amdhsa_exception_fp_ieee_inexact 0
		.amdhsa_exception_int_div_zero 0
	.end_amdhsa_kernel
	.section	.text._Z16sort_keys_kernelI22helper_blocked_blockediLj192ELj1ELj10EEvPKT0_PS1_,"axG",@progbits,_Z16sort_keys_kernelI22helper_blocked_blockediLj192ELj1ELj10EEvPKT0_PS1_,comdat
.Lfunc_end16:
	.size	_Z16sort_keys_kernelI22helper_blocked_blockediLj192ELj1ELj10EEvPKT0_PS1_, .Lfunc_end16-_Z16sort_keys_kernelI22helper_blocked_blockediLj192ELj1ELj10EEvPKT0_PS1_
                                        ; -- End function
	.set _Z16sort_keys_kernelI22helper_blocked_blockediLj192ELj1ELj10EEvPKT0_PS1_.num_vgpr, 27
	.set _Z16sort_keys_kernelI22helper_blocked_blockediLj192ELj1ELj10EEvPKT0_PS1_.num_agpr, 0
	.set _Z16sort_keys_kernelI22helper_blocked_blockediLj192ELj1ELj10EEvPKT0_PS1_.numbered_sgpr, 36
	.set _Z16sort_keys_kernelI22helper_blocked_blockediLj192ELj1ELj10EEvPKT0_PS1_.num_named_barrier, 0
	.set _Z16sort_keys_kernelI22helper_blocked_blockediLj192ELj1ELj10EEvPKT0_PS1_.private_seg_size, 0
	.set _Z16sort_keys_kernelI22helper_blocked_blockediLj192ELj1ELj10EEvPKT0_PS1_.uses_vcc, 1
	.set _Z16sort_keys_kernelI22helper_blocked_blockediLj192ELj1ELj10EEvPKT0_PS1_.uses_flat_scratch, 0
	.set _Z16sort_keys_kernelI22helper_blocked_blockediLj192ELj1ELj10EEvPKT0_PS1_.has_dyn_sized_stack, 0
	.set _Z16sort_keys_kernelI22helper_blocked_blockediLj192ELj1ELj10EEvPKT0_PS1_.has_recursion, 0
	.set _Z16sort_keys_kernelI22helper_blocked_blockediLj192ELj1ELj10EEvPKT0_PS1_.has_indirect_call, 0
	.section	.AMDGPU.csdata,"",@progbits
; Kernel info:
; codeLenInByte = 3900
; TotalNumSgprs: 40
; NumVgprs: 27
; ScratchSize: 0
; MemoryBound: 0
; FloatMode: 240
; IeeeMode: 1
; LDSByteSize: 3088 bytes/workgroup (compile time only)
; SGPRBlocks: 4
; VGPRBlocks: 6
; NumSGPRsForWavesPerEU: 40
; NumVGPRsForWavesPerEU: 27
; Occupancy: 9
; WaveLimiterHint : 0
; COMPUTE_PGM_RSRC2:SCRATCH_EN: 0
; COMPUTE_PGM_RSRC2:USER_SGPR: 6
; COMPUTE_PGM_RSRC2:TRAP_HANDLER: 0
; COMPUTE_PGM_RSRC2:TGID_X_EN: 1
; COMPUTE_PGM_RSRC2:TGID_Y_EN: 0
; COMPUTE_PGM_RSRC2:TGID_Z_EN: 0
; COMPUTE_PGM_RSRC2:TIDIG_COMP_CNT: 2
	.section	.text._Z17sort_pairs_kernelI22helper_blocked_blockediLj192ELj1ELj10EEvPKT0_PS1_,"axG",@progbits,_Z17sort_pairs_kernelI22helper_blocked_blockediLj192ELj1ELj10EEvPKT0_PS1_,comdat
	.protected	_Z17sort_pairs_kernelI22helper_blocked_blockediLj192ELj1ELj10EEvPKT0_PS1_ ; -- Begin function _Z17sort_pairs_kernelI22helper_blocked_blockediLj192ELj1ELj10EEvPKT0_PS1_
	.globl	_Z17sort_pairs_kernelI22helper_blocked_blockediLj192ELj1ELj10EEvPKT0_PS1_
	.p2align	8
	.type	_Z17sort_pairs_kernelI22helper_blocked_blockediLj192ELj1ELj10EEvPKT0_PS1_,@function
_Z17sort_pairs_kernelI22helper_blocked_blockediLj192ELj1ELj10EEvPKT0_PS1_: ; @_Z17sort_pairs_kernelI22helper_blocked_blockediLj192ELj1ELj10EEvPKT0_PS1_
; %bb.0:
	s_load_dwordx4 s[28:31], s[4:5], 0x0
	s_load_dword s24, s[4:5], 0x1c
	s_mul_i32 s0, s6, 0xc0
	s_mov_b32 s1, 0
	s_lshl_b64 s[34:35], s[0:1], 2
	s_waitcnt lgkmcnt(0)
	s_add_u32 s0, s28, s34
	s_addc_u32 s1, s29, s35
	v_lshlrev_b32_e32 v3, 2, v0
	global_load_dword v3, v3, s[0:1]
	v_mbcnt_lo_u32_b32 v4, -1, 0
	v_mbcnt_hi_u32_b32 v4, -1, v4
	v_subrev_co_u32_e64 v20, s[6:7], 1, v4
	v_and_b32_e32 v21, 64, v4
	v_cmp_lt_i32_e64 s[22:23], v20, v21
	v_cndmask_b32_e64 v20, v20, v4, s[22:23]
	s_lshr_b32 s22, s24, 16
	s_and_b32 s23, s24, 0xffff
	v_mad_u32_u24 v1, v2, s22, v1
	v_mad_u64_u32 v[1:2], s[22:23], v1, s23, v[0:1]
	v_and_b32_e32 v5, 0xc0, v0
	v_lshrrev_b32_e32 v16, 4, v0
	v_and_b32_e32 v18, 15, v4
	v_lshlrev_b32_e32 v23, 2, v5
	v_min_u32_e32 v5, 0x80, v5
	v_lshlrev_b32_e32 v15, 4, v0
	v_mul_i32_i24_e32 v17, -12, v0
	v_and_b32_e32 v19, 16, v4
	v_cmp_lt_u32_e64 s[4:5], 31, v4
	v_and_b32_e32 v22, 3, v4
	v_and_b32_e32 v16, 12, v16
	v_cmp_eq_u32_e64 s[8:9], 0, v18
	v_cmp_lt_u32_e64 s[10:11], 1, v18
	v_cmp_lt_u32_e64 s[12:13], 3, v18
	v_cmp_lt_u32_e64 s[14:15], 7, v18
	v_lshl_add_u32 v18, v4, 2, v23
	v_or_b32_e32 v4, 63, v5
	v_lshrrev_b32_e32 v1, 4, v1
	s_mov_b32 s28, 10
	s_movk_i32 s29, 0xff
	v_mov_b32_e32 v6, 12
	v_mov_b32_e32 v7, 1
	;; [unrolled: 1-line block ×9, first 2 shown]
	v_cmp_gt_u32_e32 vcc, 3, v0
	v_cmp_lt_u32_e64 s[0:1], 63, v0
	v_cmp_eq_u32_e64 s[2:3], 0, v0
	v_add_u32_e32 v17, v15, v17
	v_cmp_eq_u32_e64 s[16:17], 0, v19
	v_cmp_eq_u32_e64 s[18:19], 0, v22
	v_cmp_lt_u32_e64 s[20:21], 1, v22
	v_add_u32_e32 v19, -4, v16
	v_cmp_eq_u32_e64 s[22:23], v0, v4
	v_lshlrev_b32_e32 v20, 2, v20
	v_and_b32_e32 v21, 0xffffffc, v1
	v_mov_b32_e32 v1, 0
	s_waitcnt vmcnt(0)
	v_add_u32_e32 v22, 1, v3
	v_xor_b32_e32 v23, 0x80000000, v3
	s_branch .LBB17_2
.LBB17_1:                               ;   in Loop: Header=BB17_2 Depth=1
	s_or_b64 exec, exec, s[24:25]
	s_waitcnt lgkmcnt(0)
	v_add_u32_e32 v3, v26, v3
	ds_bpermute_b32 v3, v20, v3
	s_add_i32 s28, s28, -1
	s_cmp_eq_u32 s28, 0
	s_waitcnt lgkmcnt(0)
	v_cndmask_b32_e64 v3, v3, v26, s[6:7]
	v_cndmask_b32_e64 v3, v3, 0, s[2:3]
	v_add_u32_e32 v4, v3, v4
	v_add_u32_e32 v5, v4, v5
	;; [unrolled: 1-line block ×3, first 2 shown]
	ds_write2_b32 v15, v3, v4 offset0:3 offset1:4
	ds_write2_b32 v15, v5, v2 offset0:5 offset1:6
	s_waitcnt lgkmcnt(0)
	s_barrier
	ds_read_b32 v2, v25 offset:12
	v_lshlrev_b32_e32 v3, 2, v24
	s_waitcnt lgkmcnt(0)
	s_barrier
	v_lshl_add_u32 v2, v2, 2, v3
	ds_write_b32 v2, v23
	s_waitcnt lgkmcnt(0)
	s_barrier
	ds_read_b32 v23, v17
	s_waitcnt lgkmcnt(0)
	s_barrier
	ds_write_b32 v2, v22
	s_waitcnt lgkmcnt(0)
	s_barrier
	ds_read_b32 v22, v17
	s_cbranch_scc1 .LBB17_34
.LBB17_2:                               ; =>This Inner Loop Header: Depth=1
	v_and_b32_e32 v2, 1, v23
	v_add_co_u32_e64 v3, s[24:25], -1, v2
	v_addc_co_u32_e64 v5, s[24:25], 0, -1, s[24:25]
	v_cmp_ne_u32_e64 s[24:25], 0, v2
	v_xor_b32_e32 v2, s25, v5
	v_and_b32_e32 v5, exec_hi, v2
	v_lshlrev_b32_e32 v2, 30, v23
	v_xor_b32_e32 v3, s24, v3
	v_cmp_gt_i64_e64 s[24:25], 0, v[1:2]
	v_not_b32_e32 v2, v2
	v_ashrrev_i32_e32 v2, 31, v2
	v_and_b32_e32 v3, exec_lo, v3
	v_xor_b32_e32 v24, s25, v2
	v_xor_b32_e32 v2, s24, v2
	v_and_b32_e32 v3, v3, v2
	v_lshlrev_b32_e32 v2, 29, v23
	v_cmp_gt_i64_e64 s[24:25], 0, v[1:2]
	v_not_b32_e32 v2, v2
	v_ashrrev_i32_e32 v2, 31, v2
	v_and_b32_e32 v5, v5, v24
	v_xor_b32_e32 v24, s25, v2
	v_xor_b32_e32 v2, s24, v2
	v_and_b32_e32 v3, v3, v2
	v_lshlrev_b32_e32 v2, 28, v23
	v_cmp_gt_i64_e64 s[24:25], 0, v[1:2]
	v_not_b32_e32 v2, v2
	v_ashrrev_i32_e32 v2, 31, v2
	v_and_b32_e32 v5, v5, v24
	v_xor_b32_e32 v24, s25, v2
	v_xor_b32_e32 v2, s24, v2
	v_and_b32_e32 v3, v3, v2
	v_lshlrev_b32_e32 v2, 27, v23
	v_cmp_gt_i64_e64 s[24:25], 0, v[1:2]
	v_not_b32_e32 v2, v2
	v_ashrrev_i32_e32 v2, 31, v2
	v_and_b32_e32 v5, v5, v24
	v_xor_b32_e32 v24, s25, v2
	v_xor_b32_e32 v2, s24, v2
	v_and_b32_e32 v3, v3, v2
	v_lshlrev_b32_e32 v2, 26, v23
	v_cmp_gt_i64_e64 s[24:25], 0, v[1:2]
	v_not_b32_e32 v2, v2
	v_ashrrev_i32_e32 v2, 31, v2
	v_and_b32_e32 v5, v5, v24
	v_xor_b32_e32 v24, s25, v2
	v_xor_b32_e32 v2, s24, v2
	v_and_b32_e32 v3, v3, v2
	v_lshlrev_b32_e32 v2, 25, v23
	v_cmp_gt_i64_e64 s[24:25], 0, v[1:2]
	v_not_b32_e32 v2, v2
	v_ashrrev_i32_e32 v2, 31, v2
	v_and_b32_e32 v5, v5, v24
	v_xor_b32_e32 v24, s25, v2
	v_xor_b32_e32 v2, s24, v2
	v_and_b32_e32 v5, v5, v24
	v_and_b32_e32 v24, v3, v2
	v_lshlrev_b32_e32 v2, 24, v23
	v_cmp_gt_i64_e64 s[24:25], 0, v[1:2]
	v_not_b32_e32 v2, v2
	v_ashrrev_i32_e32 v2, 31, v2
	v_xor_b32_e32 v3, s25, v2
	v_xor_b32_e32 v2, s24, v2
	v_and_b32_e32 v2, v24, v2
	v_and_b32_e32 v3, v5, v3
	v_mbcnt_lo_u32_b32 v5, v2, 0
	v_mbcnt_hi_u32_b32 v24, v3, v5
	v_cmp_ne_u64_e64 s[24:25], 0, v[2:3]
	v_mul_u32_u24_sdwa v4, v23, v6 dst_sel:DWORD dst_unused:UNUSED_PAD src0_sel:BYTE_0 src1_sel:DWORD
	v_cmp_eq_u32_e64 s[26:27], 0, v24
	s_and_b64 s[26:27], s[24:25], s[26:27]
	v_add_u32_e32 v25, v21, v4
	ds_write2_b32 v15, v1, v1 offset0:3 offset1:4
	ds_write2_b32 v15, v1, v1 offset0:5 offset1:6
	s_waitcnt lgkmcnt(0)
	s_barrier
	; wave barrier
	s_and_saveexec_b64 s[24:25], s[26:27]
; %bb.3:                                ;   in Loop: Header=BB17_2 Depth=1
	v_bcnt_u32_b32 v2, v2, 0
	v_bcnt_u32_b32 v2, v3, v2
	ds_write_b32 v25, v2 offset:12
; %bb.4:                                ;   in Loop: Header=BB17_2 Depth=1
	s_or_b64 exec, exec, s[24:25]
	; wave barrier
	s_waitcnt lgkmcnt(0)
	s_barrier
	ds_read2_b32 v[4:5], v15 offset0:3 offset1:4
	ds_read2_b32 v[2:3], v15 offset0:5 offset1:6
	s_waitcnt lgkmcnt(1)
	v_add_u32_e32 v26, v5, v4
	s_waitcnt lgkmcnt(0)
	v_add3_u32 v3, v26, v2, v3
	s_nop 1
	v_mov_b32_dpp v26, v3 row_shr:1 row_mask:0xf bank_mask:0xf
	v_cndmask_b32_e64 v26, v26, 0, s[8:9]
	v_add_u32_e32 v3, v26, v3
	s_nop 1
	v_mov_b32_dpp v26, v3 row_shr:2 row_mask:0xf bank_mask:0xf
	v_cndmask_b32_e64 v26, 0, v26, s[10:11]
	v_add_u32_e32 v3, v3, v26
	;; [unrolled: 4-line block ×4, first 2 shown]
	s_nop 1
	v_mov_b32_dpp v26, v3 row_bcast:15 row_mask:0xf bank_mask:0xf
	v_cndmask_b32_e64 v26, v26, 0, s[16:17]
	v_add_u32_e32 v3, v3, v26
	s_nop 1
	v_mov_b32_dpp v26, v3 row_bcast:31 row_mask:0xf bank_mask:0xf
	v_cndmask_b32_e64 v26, 0, v26, s[4:5]
	v_add_u32_e32 v3, v3, v26
	s_and_saveexec_b64 s[24:25], s[22:23]
; %bb.5:                                ;   in Loop: Header=BB17_2 Depth=1
	ds_write_b32 v16, v3
; %bb.6:                                ;   in Loop: Header=BB17_2 Depth=1
	s_or_b64 exec, exec, s[24:25]
	s_waitcnt lgkmcnt(0)
	s_barrier
	s_and_saveexec_b64 s[24:25], vcc
	s_cbranch_execz .LBB17_8
; %bb.7:                                ;   in Loop: Header=BB17_2 Depth=1
	ds_read_b32 v26, v17
	s_waitcnt lgkmcnt(0)
	s_nop 0
	v_mov_b32_dpp v27, v26 row_shr:1 row_mask:0xf bank_mask:0xf
	v_cndmask_b32_e64 v27, v27, 0, s[18:19]
	v_add_u32_e32 v26, v27, v26
	s_nop 1
	v_mov_b32_dpp v27, v26 row_shr:2 row_mask:0xf bank_mask:0xf
	v_cndmask_b32_e64 v27, 0, v27, s[20:21]
	v_add_u32_e32 v26, v26, v27
	ds_write_b32 v17, v26
.LBB17_8:                               ;   in Loop: Header=BB17_2 Depth=1
	s_or_b64 exec, exec, s[24:25]
	v_mov_b32_e32 v26, 0
	s_waitcnt lgkmcnt(0)
	s_barrier
	s_and_saveexec_b64 s[24:25], s[0:1]
; %bb.9:                                ;   in Loop: Header=BB17_2 Depth=1
	ds_read_b32 v26, v19
; %bb.10:                               ;   in Loop: Header=BB17_2 Depth=1
	s_or_b64 exec, exec, s[24:25]
	s_waitcnt lgkmcnt(0)
	v_add_u32_e32 v3, v26, v3
	ds_bpermute_b32 v3, v20, v3
	s_waitcnt lgkmcnt(0)
	v_cndmask_b32_e64 v3, v3, v26, s[6:7]
	v_cndmask_b32_e64 v3, v3, 0, s[2:3]
	v_add_u32_e32 v4, v3, v4
	v_add_u32_e32 v5, v4, v5
	;; [unrolled: 1-line block ×3, first 2 shown]
	ds_write2_b32 v15, v3, v4 offset0:3 offset1:4
	ds_write2_b32 v15, v5, v2 offset0:5 offset1:6
	s_waitcnt lgkmcnt(0)
	s_barrier
	ds_read_b32 v2, v25 offset:12
	v_lshlrev_b32_e32 v3, 2, v24
	s_waitcnt lgkmcnt(0)
	s_barrier
	v_lshl_add_u32 v2, v2, 2, v3
	ds_write_b32 v2, v23
	s_waitcnt lgkmcnt(0)
	s_barrier
	ds_read_b32 v23, v18
	s_waitcnt lgkmcnt(0)
	s_barrier
	ds_write_b32 v2, v22
	v_lshrrev_b32_e32 v3, 8, v23
	v_and_b32_e32 v2, 1, v3
	v_add_co_u32_e64 v5, s[24:25], -1, v2
	v_addc_co_u32_e64 v24, s[24:25], 0, -1, s[24:25]
	v_cmp_ne_u32_e64 s[24:25], 0, v2
	v_xor_b32_e32 v2, s25, v24
	v_and_b32_e32 v24, exec_hi, v2
	v_lshlrev_b32_e32 v2, 30, v3
	v_xor_b32_e32 v5, s24, v5
	v_cmp_gt_i64_e64 s[24:25], 0, v[1:2]
	v_not_b32_e32 v2, v2
	v_ashrrev_i32_e32 v2, 31, v2
	v_and_b32_e32 v5, exec_lo, v5
	v_xor_b32_e32 v25, s25, v2
	v_xor_b32_e32 v2, s24, v2
	v_and_b32_e32 v5, v5, v2
	v_lshlrev_b32_e32 v2, 29, v3
	v_cmp_gt_i64_e64 s[24:25], 0, v[1:2]
	v_not_b32_e32 v2, v2
	v_ashrrev_i32_e32 v2, 31, v2
	v_and_b32_e32 v24, v24, v25
	v_xor_b32_e32 v25, s25, v2
	v_xor_b32_e32 v2, s24, v2
	v_and_b32_e32 v5, v5, v2
	v_lshlrev_b32_e32 v2, 28, v3
	v_cmp_gt_i64_e64 s[24:25], 0, v[1:2]
	v_not_b32_e32 v2, v2
	v_ashrrev_i32_e32 v2, 31, v2
	v_and_b32_e32 v24, v24, v25
	;; [unrolled: 8-line block ×5, first 2 shown]
	v_xor_b32_e32 v25, s25, v2
	v_xor_b32_e32 v2, s24, v2
	v_and_b32_e32 v5, v5, v2
	v_lshlrev_b32_e32 v2, 24, v3
	v_cmp_gt_i64_e64 s[24:25], 0, v[1:2]
	v_not_b32_e32 v2, v2
	v_ashrrev_i32_e32 v2, 31, v2
	v_mul_u32_u24_sdwa v4, v3, v6 dst_sel:DWORD dst_unused:UNUSED_PAD src0_sel:BYTE_0 src1_sel:DWORD
	v_xor_b32_e32 v3, s25, v2
	v_xor_b32_e32 v2, s24, v2
	s_waitcnt lgkmcnt(0)
	s_barrier
	ds_read_b32 v22, v18
	v_and_b32_e32 v24, v24, v25
	v_and_b32_e32 v2, v5, v2
	v_and_b32_e32 v3, v24, v3
	v_mbcnt_lo_u32_b32 v5, v2, 0
	v_mbcnt_hi_u32_b32 v24, v3, v5
	v_cmp_ne_u64_e64 s[24:25], 0, v[2:3]
	v_cmp_eq_u32_e64 s[26:27], 0, v24
	s_and_b64 s[26:27], s[24:25], s[26:27]
	v_add_u32_e32 v25, v21, v4
	s_waitcnt lgkmcnt(0)
	s_barrier
	ds_write2_b32 v15, v1, v1 offset0:3 offset1:4
	ds_write2_b32 v15, v1, v1 offset0:5 offset1:6
	s_waitcnt lgkmcnt(0)
	s_barrier
	; wave barrier
	s_and_saveexec_b64 s[24:25], s[26:27]
; %bb.11:                               ;   in Loop: Header=BB17_2 Depth=1
	v_bcnt_u32_b32 v2, v2, 0
	v_bcnt_u32_b32 v2, v3, v2
	ds_write_b32 v25, v2 offset:12
; %bb.12:                               ;   in Loop: Header=BB17_2 Depth=1
	s_or_b64 exec, exec, s[24:25]
	; wave barrier
	s_waitcnt lgkmcnt(0)
	s_barrier
	ds_read2_b32 v[4:5], v15 offset0:3 offset1:4
	ds_read2_b32 v[2:3], v15 offset0:5 offset1:6
	s_waitcnt lgkmcnt(1)
	v_add_u32_e32 v26, v5, v4
	s_waitcnt lgkmcnt(0)
	v_add3_u32 v3, v26, v2, v3
	s_nop 1
	v_mov_b32_dpp v26, v3 row_shr:1 row_mask:0xf bank_mask:0xf
	v_cndmask_b32_e64 v26, v26, 0, s[8:9]
	v_add_u32_e32 v3, v26, v3
	s_nop 1
	v_mov_b32_dpp v26, v3 row_shr:2 row_mask:0xf bank_mask:0xf
	v_cndmask_b32_e64 v26, 0, v26, s[10:11]
	v_add_u32_e32 v3, v3, v26
	;; [unrolled: 4-line block ×4, first 2 shown]
	s_nop 1
	v_mov_b32_dpp v26, v3 row_bcast:15 row_mask:0xf bank_mask:0xf
	v_cndmask_b32_e64 v26, v26, 0, s[16:17]
	v_add_u32_e32 v3, v3, v26
	s_nop 1
	v_mov_b32_dpp v26, v3 row_bcast:31 row_mask:0xf bank_mask:0xf
	v_cndmask_b32_e64 v26, 0, v26, s[4:5]
	v_add_u32_e32 v3, v3, v26
	s_and_saveexec_b64 s[24:25], s[22:23]
; %bb.13:                               ;   in Loop: Header=BB17_2 Depth=1
	ds_write_b32 v16, v3
; %bb.14:                               ;   in Loop: Header=BB17_2 Depth=1
	s_or_b64 exec, exec, s[24:25]
	s_waitcnt lgkmcnt(0)
	s_barrier
	s_and_saveexec_b64 s[24:25], vcc
	s_cbranch_execz .LBB17_16
; %bb.15:                               ;   in Loop: Header=BB17_2 Depth=1
	ds_read_b32 v26, v17
	s_waitcnt lgkmcnt(0)
	s_nop 0
	v_mov_b32_dpp v27, v26 row_shr:1 row_mask:0xf bank_mask:0xf
	v_cndmask_b32_e64 v27, v27, 0, s[18:19]
	v_add_u32_e32 v26, v27, v26
	s_nop 1
	v_mov_b32_dpp v27, v26 row_shr:2 row_mask:0xf bank_mask:0xf
	v_cndmask_b32_e64 v27, 0, v27, s[20:21]
	v_add_u32_e32 v26, v26, v27
	ds_write_b32 v17, v26
.LBB17_16:                              ;   in Loop: Header=BB17_2 Depth=1
	s_or_b64 exec, exec, s[24:25]
	v_mov_b32_e32 v26, 0
	s_waitcnt lgkmcnt(0)
	s_barrier
	s_and_saveexec_b64 s[24:25], s[0:1]
; %bb.17:                               ;   in Loop: Header=BB17_2 Depth=1
	ds_read_b32 v26, v19
; %bb.18:                               ;   in Loop: Header=BB17_2 Depth=1
	s_or_b64 exec, exec, s[24:25]
	s_waitcnt lgkmcnt(0)
	v_add_u32_e32 v3, v26, v3
	ds_bpermute_b32 v3, v20, v3
	s_waitcnt lgkmcnt(0)
	v_cndmask_b32_e64 v3, v3, v26, s[6:7]
	v_cndmask_b32_e64 v3, v3, 0, s[2:3]
	v_add_u32_e32 v4, v3, v4
	v_add_u32_e32 v5, v4, v5
	v_add_u32_e32 v2, v5, v2
	ds_write2_b32 v15, v3, v4 offset0:3 offset1:4
	ds_write2_b32 v15, v5, v2 offset0:5 offset1:6
	s_waitcnt lgkmcnt(0)
	s_barrier
	ds_read_b32 v2, v25 offset:12
	v_lshlrev_b32_e32 v3, 2, v24
	s_waitcnt lgkmcnt(0)
	s_barrier
	v_lshl_add_u32 v2, v2, 2, v3
	ds_write_b32 v2, v23
	s_waitcnt lgkmcnt(0)
	s_barrier
	ds_read_b32 v23, v18
	s_waitcnt lgkmcnt(0)
	s_barrier
	ds_write_b32 v2, v22
	v_and_b32_sdwa v2, v23, s29 dst_sel:DWORD dst_unused:UNUSED_PAD src0_sel:WORD_1 src1_sel:DWORD
	v_mul_u32_u24_e32 v4, 12, v2
	v_and_b32_sdwa v2, v23, v7 dst_sel:DWORD dst_unused:UNUSED_PAD src0_sel:WORD_1 src1_sel:DWORD
	v_add_co_u32_e64 v3, s[24:25], -1, v2
	v_addc_co_u32_e64 v5, s[24:25], 0, -1, s[24:25]
	v_cmp_ne_u32_e64 s[24:25], 0, v2
	v_xor_b32_e32 v2, s25, v5
	v_and_b32_e32 v5, exec_hi, v2
	v_lshlrev_b32_sdwa v2, v8, v23 dst_sel:DWORD dst_unused:UNUSED_PAD src0_sel:DWORD src1_sel:WORD_1
	v_xor_b32_e32 v3, s24, v3
	v_cmp_gt_i64_e64 s[24:25], 0, v[1:2]
	v_not_b32_e32 v2, v2
	v_ashrrev_i32_e32 v2, 31, v2
	v_and_b32_e32 v3, exec_lo, v3
	v_xor_b32_e32 v24, s25, v2
	v_xor_b32_e32 v2, s24, v2
	v_and_b32_e32 v3, v3, v2
	v_lshlrev_b32_sdwa v2, v9, v23 dst_sel:DWORD dst_unused:UNUSED_PAD src0_sel:DWORD src1_sel:WORD_1
	v_cmp_gt_i64_e64 s[24:25], 0, v[1:2]
	v_not_b32_e32 v2, v2
	v_ashrrev_i32_e32 v2, 31, v2
	v_and_b32_e32 v5, v5, v24
	v_xor_b32_e32 v24, s25, v2
	v_xor_b32_e32 v2, s24, v2
	v_and_b32_e32 v3, v3, v2
	v_lshlrev_b32_sdwa v2, v10, v23 dst_sel:DWORD dst_unused:UNUSED_PAD src0_sel:DWORD src1_sel:WORD_1
	v_cmp_gt_i64_e64 s[24:25], 0, v[1:2]
	v_not_b32_e32 v2, v2
	v_ashrrev_i32_e32 v2, 31, v2
	v_and_b32_e32 v5, v5, v24
	;; [unrolled: 8-line block ×5, first 2 shown]
	v_xor_b32_e32 v24, s25, v2
	v_xor_b32_e32 v2, s24, v2
	v_and_b32_e32 v5, v5, v24
	v_and_b32_e32 v24, v3, v2
	v_lshlrev_b32_sdwa v2, v14, v23 dst_sel:DWORD dst_unused:UNUSED_PAD src0_sel:DWORD src1_sel:WORD_1
	v_cmp_gt_i64_e64 s[24:25], 0, v[1:2]
	v_not_b32_e32 v2, v2
	v_ashrrev_i32_e32 v2, 31, v2
	v_xor_b32_e32 v3, s25, v2
	v_xor_b32_e32 v2, s24, v2
	s_waitcnt lgkmcnt(0)
	s_barrier
	ds_read_b32 v22, v18
	v_and_b32_e32 v2, v24, v2
	v_and_b32_e32 v3, v5, v3
	v_mbcnt_lo_u32_b32 v5, v2, 0
	v_mbcnt_hi_u32_b32 v24, v3, v5
	v_cmp_ne_u64_e64 s[24:25], 0, v[2:3]
	v_cmp_eq_u32_e64 s[26:27], 0, v24
	s_and_b64 s[26:27], s[24:25], s[26:27]
	v_add_u32_e32 v25, v21, v4
	s_waitcnt lgkmcnt(0)
	s_barrier
	ds_write2_b32 v15, v1, v1 offset0:3 offset1:4
	ds_write2_b32 v15, v1, v1 offset0:5 offset1:6
	s_waitcnt lgkmcnt(0)
	s_barrier
	; wave barrier
	s_and_saveexec_b64 s[24:25], s[26:27]
; %bb.19:                               ;   in Loop: Header=BB17_2 Depth=1
	v_bcnt_u32_b32 v2, v2, 0
	v_bcnt_u32_b32 v2, v3, v2
	ds_write_b32 v25, v2 offset:12
; %bb.20:                               ;   in Loop: Header=BB17_2 Depth=1
	s_or_b64 exec, exec, s[24:25]
	; wave barrier
	s_waitcnt lgkmcnt(0)
	s_barrier
	ds_read2_b32 v[4:5], v15 offset0:3 offset1:4
	ds_read2_b32 v[2:3], v15 offset0:5 offset1:6
	s_waitcnt lgkmcnt(1)
	v_add_u32_e32 v26, v5, v4
	s_waitcnt lgkmcnt(0)
	v_add3_u32 v3, v26, v2, v3
	s_nop 1
	v_mov_b32_dpp v26, v3 row_shr:1 row_mask:0xf bank_mask:0xf
	v_cndmask_b32_e64 v26, v26, 0, s[8:9]
	v_add_u32_e32 v3, v26, v3
	s_nop 1
	v_mov_b32_dpp v26, v3 row_shr:2 row_mask:0xf bank_mask:0xf
	v_cndmask_b32_e64 v26, 0, v26, s[10:11]
	v_add_u32_e32 v3, v3, v26
	;; [unrolled: 4-line block ×4, first 2 shown]
	s_nop 1
	v_mov_b32_dpp v26, v3 row_bcast:15 row_mask:0xf bank_mask:0xf
	v_cndmask_b32_e64 v26, v26, 0, s[16:17]
	v_add_u32_e32 v3, v3, v26
	s_nop 1
	v_mov_b32_dpp v26, v3 row_bcast:31 row_mask:0xf bank_mask:0xf
	v_cndmask_b32_e64 v26, 0, v26, s[4:5]
	v_add_u32_e32 v3, v3, v26
	s_and_saveexec_b64 s[24:25], s[22:23]
; %bb.21:                               ;   in Loop: Header=BB17_2 Depth=1
	ds_write_b32 v16, v3
; %bb.22:                               ;   in Loop: Header=BB17_2 Depth=1
	s_or_b64 exec, exec, s[24:25]
	s_waitcnt lgkmcnt(0)
	s_barrier
	s_and_saveexec_b64 s[24:25], vcc
	s_cbranch_execz .LBB17_24
; %bb.23:                               ;   in Loop: Header=BB17_2 Depth=1
	ds_read_b32 v26, v17
	s_waitcnt lgkmcnt(0)
	s_nop 0
	v_mov_b32_dpp v27, v26 row_shr:1 row_mask:0xf bank_mask:0xf
	v_cndmask_b32_e64 v27, v27, 0, s[18:19]
	v_add_u32_e32 v26, v27, v26
	s_nop 1
	v_mov_b32_dpp v27, v26 row_shr:2 row_mask:0xf bank_mask:0xf
	v_cndmask_b32_e64 v27, 0, v27, s[20:21]
	v_add_u32_e32 v26, v26, v27
	ds_write_b32 v17, v26
.LBB17_24:                              ;   in Loop: Header=BB17_2 Depth=1
	s_or_b64 exec, exec, s[24:25]
	v_mov_b32_e32 v26, 0
	s_waitcnt lgkmcnt(0)
	s_barrier
	s_and_saveexec_b64 s[24:25], s[0:1]
; %bb.25:                               ;   in Loop: Header=BB17_2 Depth=1
	ds_read_b32 v26, v19
; %bb.26:                               ;   in Loop: Header=BB17_2 Depth=1
	s_or_b64 exec, exec, s[24:25]
	s_waitcnt lgkmcnt(0)
	v_add_u32_e32 v3, v26, v3
	ds_bpermute_b32 v3, v20, v3
	s_waitcnt lgkmcnt(0)
	v_cndmask_b32_e64 v3, v3, v26, s[6:7]
	v_cndmask_b32_e64 v3, v3, 0, s[2:3]
	v_add_u32_e32 v4, v3, v4
	v_add_u32_e32 v5, v4, v5
	;; [unrolled: 1-line block ×3, first 2 shown]
	ds_write2_b32 v15, v3, v4 offset0:3 offset1:4
	ds_write2_b32 v15, v5, v2 offset0:5 offset1:6
	s_waitcnt lgkmcnt(0)
	s_barrier
	ds_read_b32 v2, v25 offset:12
	v_lshlrev_b32_e32 v3, 2, v24
	s_waitcnt lgkmcnt(0)
	s_barrier
	v_lshl_add_u32 v2, v2, 2, v3
	ds_write_b32 v2, v23
	s_waitcnt lgkmcnt(0)
	s_barrier
	ds_read_b32 v23, v18
	s_waitcnt lgkmcnt(0)
	s_barrier
	ds_write_b32 v2, v22
	v_and_b32_sdwa v2, v23, v7 dst_sel:DWORD dst_unused:UNUSED_PAD src0_sel:BYTE_3 src1_sel:DWORD
	v_add_co_u32_e64 v3, s[24:25], -1, v2
	v_addc_co_u32_e64 v5, s[24:25], 0, -1, s[24:25]
	v_cmp_ne_u32_e64 s[24:25], 0, v2
	v_xor_b32_e32 v2, s25, v5
	v_and_b32_e32 v5, exec_hi, v2
	v_lshlrev_b32_sdwa v2, v8, v23 dst_sel:DWORD dst_unused:UNUSED_PAD src0_sel:DWORD src1_sel:BYTE_3
	v_xor_b32_e32 v3, s24, v3
	v_cmp_gt_i64_e64 s[24:25], 0, v[1:2]
	v_not_b32_e32 v2, v2
	v_ashrrev_i32_e32 v2, 31, v2
	v_and_b32_e32 v3, exec_lo, v3
	v_xor_b32_e32 v24, s25, v2
	v_xor_b32_e32 v2, s24, v2
	v_and_b32_e32 v3, v3, v2
	v_lshlrev_b32_sdwa v2, v9, v23 dst_sel:DWORD dst_unused:UNUSED_PAD src0_sel:DWORD src1_sel:BYTE_3
	v_cmp_gt_i64_e64 s[24:25], 0, v[1:2]
	v_not_b32_e32 v2, v2
	v_ashrrev_i32_e32 v2, 31, v2
	v_and_b32_e32 v5, v5, v24
	v_xor_b32_e32 v24, s25, v2
	v_xor_b32_e32 v2, s24, v2
	v_and_b32_e32 v3, v3, v2
	v_lshlrev_b32_sdwa v2, v10, v23 dst_sel:DWORD dst_unused:UNUSED_PAD src0_sel:DWORD src1_sel:BYTE_3
	v_cmp_gt_i64_e64 s[24:25], 0, v[1:2]
	v_not_b32_e32 v2, v2
	v_ashrrev_i32_e32 v2, 31, v2
	v_and_b32_e32 v5, v5, v24
	;; [unrolled: 8-line block ×5, first 2 shown]
	v_xor_b32_e32 v24, s25, v2
	v_xor_b32_e32 v2, s24, v2
	v_and_b32_e32 v5, v5, v24
	v_and_b32_e32 v24, v3, v2
	v_lshlrev_b32_sdwa v2, v14, v23 dst_sel:DWORD dst_unused:UNUSED_PAD src0_sel:DWORD src1_sel:BYTE_3
	v_cmp_gt_i64_e64 s[24:25], 0, v[1:2]
	v_not_b32_e32 v2, v2
	v_ashrrev_i32_e32 v2, 31, v2
	v_xor_b32_e32 v3, s25, v2
	v_xor_b32_e32 v2, s24, v2
	s_waitcnt lgkmcnt(0)
	s_barrier
	ds_read_b32 v22, v18
	v_and_b32_e32 v2, v24, v2
	v_and_b32_e32 v3, v5, v3
	v_mbcnt_lo_u32_b32 v5, v2, 0
	v_mbcnt_hi_u32_b32 v24, v3, v5
	v_cmp_ne_u64_e64 s[24:25], 0, v[2:3]
	v_mul_u32_u24_sdwa v4, v23, v6 dst_sel:DWORD dst_unused:UNUSED_PAD src0_sel:BYTE_3 src1_sel:DWORD
	v_cmp_eq_u32_e64 s[26:27], 0, v24
	s_and_b64 s[26:27], s[24:25], s[26:27]
	v_add_u32_e32 v25, v21, v4
	s_waitcnt lgkmcnt(0)
	s_barrier
	ds_write2_b32 v15, v1, v1 offset0:3 offset1:4
	ds_write2_b32 v15, v1, v1 offset0:5 offset1:6
	s_waitcnt lgkmcnt(0)
	s_barrier
	; wave barrier
	s_and_saveexec_b64 s[24:25], s[26:27]
; %bb.27:                               ;   in Loop: Header=BB17_2 Depth=1
	v_bcnt_u32_b32 v2, v2, 0
	v_bcnt_u32_b32 v2, v3, v2
	ds_write_b32 v25, v2 offset:12
; %bb.28:                               ;   in Loop: Header=BB17_2 Depth=1
	s_or_b64 exec, exec, s[24:25]
	; wave barrier
	s_waitcnt lgkmcnt(0)
	s_barrier
	ds_read2_b32 v[4:5], v15 offset0:3 offset1:4
	ds_read2_b32 v[2:3], v15 offset0:5 offset1:6
	s_waitcnt lgkmcnt(1)
	v_add_u32_e32 v26, v5, v4
	s_waitcnt lgkmcnt(0)
	v_add3_u32 v3, v26, v2, v3
	s_nop 1
	v_mov_b32_dpp v26, v3 row_shr:1 row_mask:0xf bank_mask:0xf
	v_cndmask_b32_e64 v26, v26, 0, s[8:9]
	v_add_u32_e32 v3, v26, v3
	s_nop 1
	v_mov_b32_dpp v26, v3 row_shr:2 row_mask:0xf bank_mask:0xf
	v_cndmask_b32_e64 v26, 0, v26, s[10:11]
	v_add_u32_e32 v3, v3, v26
	;; [unrolled: 4-line block ×4, first 2 shown]
	s_nop 1
	v_mov_b32_dpp v26, v3 row_bcast:15 row_mask:0xf bank_mask:0xf
	v_cndmask_b32_e64 v26, v26, 0, s[16:17]
	v_add_u32_e32 v3, v3, v26
	s_nop 1
	v_mov_b32_dpp v26, v3 row_bcast:31 row_mask:0xf bank_mask:0xf
	v_cndmask_b32_e64 v26, 0, v26, s[4:5]
	v_add_u32_e32 v3, v3, v26
	s_and_saveexec_b64 s[24:25], s[22:23]
; %bb.29:                               ;   in Loop: Header=BB17_2 Depth=1
	ds_write_b32 v16, v3
; %bb.30:                               ;   in Loop: Header=BB17_2 Depth=1
	s_or_b64 exec, exec, s[24:25]
	s_waitcnt lgkmcnt(0)
	s_barrier
	s_and_saveexec_b64 s[24:25], vcc
	s_cbranch_execz .LBB17_32
; %bb.31:                               ;   in Loop: Header=BB17_2 Depth=1
	ds_read_b32 v26, v17
	s_waitcnt lgkmcnt(0)
	s_nop 0
	v_mov_b32_dpp v27, v26 row_shr:1 row_mask:0xf bank_mask:0xf
	v_cndmask_b32_e64 v27, v27, 0, s[18:19]
	v_add_u32_e32 v26, v27, v26
	s_nop 1
	v_mov_b32_dpp v27, v26 row_shr:2 row_mask:0xf bank_mask:0xf
	v_cndmask_b32_e64 v27, 0, v27, s[20:21]
	v_add_u32_e32 v26, v26, v27
	ds_write_b32 v17, v26
.LBB17_32:                              ;   in Loop: Header=BB17_2 Depth=1
	s_or_b64 exec, exec, s[24:25]
	v_mov_b32_e32 v26, 0
	s_waitcnt lgkmcnt(0)
	s_barrier
	s_and_saveexec_b64 s[24:25], s[0:1]
	s_cbranch_execz .LBB17_1
; %bb.33:                               ;   in Loop: Header=BB17_2 Depth=1
	ds_read_b32 v26, v19
	s_branch .LBB17_1
.LBB17_34:
	s_brev_b32 s0, 1
	s_waitcnt lgkmcnt(0)
	v_add3_u32 v1, v22, v23, s0
	s_add_u32 s0, s30, s34
	s_addc_u32 s1, s31, s35
	v_lshlrev_b32_e32 v0, 2, v0
	global_store_dword v0, v1, s[0:1]
	s_endpgm
	.section	.rodata,"a",@progbits
	.p2align	6, 0x0
	.amdhsa_kernel _Z17sort_pairs_kernelI22helper_blocked_blockediLj192ELj1ELj10EEvPKT0_PS1_
		.amdhsa_group_segment_fixed_size 3088
		.amdhsa_private_segment_fixed_size 0
		.amdhsa_kernarg_size 272
		.amdhsa_user_sgpr_count 6
		.amdhsa_user_sgpr_private_segment_buffer 1
		.amdhsa_user_sgpr_dispatch_ptr 0
		.amdhsa_user_sgpr_queue_ptr 0
		.amdhsa_user_sgpr_kernarg_segment_ptr 1
		.amdhsa_user_sgpr_dispatch_id 0
		.amdhsa_user_sgpr_flat_scratch_init 0
		.amdhsa_user_sgpr_private_segment_size 0
		.amdhsa_uses_dynamic_stack 0
		.amdhsa_system_sgpr_private_segment_wavefront_offset 0
		.amdhsa_system_sgpr_workgroup_id_x 1
		.amdhsa_system_sgpr_workgroup_id_y 0
		.amdhsa_system_sgpr_workgroup_id_z 0
		.amdhsa_system_sgpr_workgroup_info 0
		.amdhsa_system_vgpr_workitem_id 2
		.amdhsa_next_free_vgpr 28
		.amdhsa_next_free_sgpr 36
		.amdhsa_reserve_vcc 1
		.amdhsa_reserve_flat_scratch 0
		.amdhsa_float_round_mode_32 0
		.amdhsa_float_round_mode_16_64 0
		.amdhsa_float_denorm_mode_32 3
		.amdhsa_float_denorm_mode_16_64 3
		.amdhsa_dx10_clamp 1
		.amdhsa_ieee_mode 1
		.amdhsa_fp16_overflow 0
		.amdhsa_exception_fp_ieee_invalid_op 0
		.amdhsa_exception_fp_denorm_src 0
		.amdhsa_exception_fp_ieee_div_zero 0
		.amdhsa_exception_fp_ieee_overflow 0
		.amdhsa_exception_fp_ieee_underflow 0
		.amdhsa_exception_fp_ieee_inexact 0
		.amdhsa_exception_int_div_zero 0
	.end_amdhsa_kernel
	.section	.text._Z17sort_pairs_kernelI22helper_blocked_blockediLj192ELj1ELj10EEvPKT0_PS1_,"axG",@progbits,_Z17sort_pairs_kernelI22helper_blocked_blockediLj192ELj1ELj10EEvPKT0_PS1_,comdat
.Lfunc_end17:
	.size	_Z17sort_pairs_kernelI22helper_blocked_blockediLj192ELj1ELj10EEvPKT0_PS1_, .Lfunc_end17-_Z17sort_pairs_kernelI22helper_blocked_blockediLj192ELj1ELj10EEvPKT0_PS1_
                                        ; -- End function
	.set _Z17sort_pairs_kernelI22helper_blocked_blockediLj192ELj1ELj10EEvPKT0_PS1_.num_vgpr, 28
	.set _Z17sort_pairs_kernelI22helper_blocked_blockediLj192ELj1ELj10EEvPKT0_PS1_.num_agpr, 0
	.set _Z17sort_pairs_kernelI22helper_blocked_blockediLj192ELj1ELj10EEvPKT0_PS1_.numbered_sgpr, 36
	.set _Z17sort_pairs_kernelI22helper_blocked_blockediLj192ELj1ELj10EEvPKT0_PS1_.num_named_barrier, 0
	.set _Z17sort_pairs_kernelI22helper_blocked_blockediLj192ELj1ELj10EEvPKT0_PS1_.private_seg_size, 0
	.set _Z17sort_pairs_kernelI22helper_blocked_blockediLj192ELj1ELj10EEvPKT0_PS1_.uses_vcc, 1
	.set _Z17sort_pairs_kernelI22helper_blocked_blockediLj192ELj1ELj10EEvPKT0_PS1_.uses_flat_scratch, 0
	.set _Z17sort_pairs_kernelI22helper_blocked_blockediLj192ELj1ELj10EEvPKT0_PS1_.has_dyn_sized_stack, 0
	.set _Z17sort_pairs_kernelI22helper_blocked_blockediLj192ELj1ELj10EEvPKT0_PS1_.has_recursion, 0
	.set _Z17sort_pairs_kernelI22helper_blocked_blockediLj192ELj1ELj10EEvPKT0_PS1_.has_indirect_call, 0
	.section	.AMDGPU.csdata,"",@progbits
; Kernel info:
; codeLenInByte = 4032
; TotalNumSgprs: 40
; NumVgprs: 28
; ScratchSize: 0
; MemoryBound: 0
; FloatMode: 240
; IeeeMode: 1
; LDSByteSize: 3088 bytes/workgroup (compile time only)
; SGPRBlocks: 4
; VGPRBlocks: 6
; NumSGPRsForWavesPerEU: 40
; NumVGPRsForWavesPerEU: 28
; Occupancy: 9
; WaveLimiterHint : 0
; COMPUTE_PGM_RSRC2:SCRATCH_EN: 0
; COMPUTE_PGM_RSRC2:USER_SGPR: 6
; COMPUTE_PGM_RSRC2:TRAP_HANDLER: 0
; COMPUTE_PGM_RSRC2:TGID_X_EN: 1
; COMPUTE_PGM_RSRC2:TGID_Y_EN: 0
; COMPUTE_PGM_RSRC2:TGID_Z_EN: 0
; COMPUTE_PGM_RSRC2:TIDIG_COMP_CNT: 2
	.section	.text._Z16sort_keys_kernelI22helper_blocked_blockediLj192ELj3ELj10EEvPKT0_PS1_,"axG",@progbits,_Z16sort_keys_kernelI22helper_blocked_blockediLj192ELj3ELj10EEvPKT0_PS1_,comdat
	.protected	_Z16sort_keys_kernelI22helper_blocked_blockediLj192ELj3ELj10EEvPKT0_PS1_ ; -- Begin function _Z16sort_keys_kernelI22helper_blocked_blockediLj192ELj3ELj10EEvPKT0_PS1_
	.globl	_Z16sort_keys_kernelI22helper_blocked_blockediLj192ELj3ELj10EEvPKT0_PS1_
	.p2align	8
	.type	_Z16sort_keys_kernelI22helper_blocked_blockediLj192ELj3ELj10EEvPKT0_PS1_,@function
_Z16sort_keys_kernelI22helper_blocked_blockediLj192ELj3ELj10EEvPKT0_PS1_: ; @_Z16sort_keys_kernelI22helper_blocked_blockediLj192ELj3ELj10EEvPKT0_PS1_
; %bb.0:
	s_load_dwordx4 s[28:31], s[4:5], 0x0
	s_load_dword s2, s[4:5], 0x1c
	s_mul_i32 s34, s6, 0x240
	s_mov_b32 s35, 0
	s_lshl_b64 s[36:37], s[34:35], 2
	s_waitcnt lgkmcnt(0)
	s_add_u32 s0, s28, s36
	s_addc_u32 s1, s29, s37
	v_lshlrev_b32_e32 v3, 2, v0
	global_load_dword v4, v3, s[0:1]
	global_load_dword v5, v3, s[0:1] offset:768
	global_load_dword v17, v3, s[0:1] offset:1536
	s_lshr_b32 s0, s2, 16
	v_mbcnt_lo_u32_b32 v6, -1, 0
	s_and_b32 s1, s2, 0xffff
	v_mad_u32_u24 v1, v2, s0, v1
	v_mbcnt_hi_u32_b32 v12, -1, v6
	v_mad_u64_u32 v[1:2], s[0:1], v1, s1, v[0:1]
	v_and_b32_e32 v2, 15, v12
	v_cmp_eq_u32_e64 s[0:1], 0, v2
	v_cmp_lt_u32_e64 s[2:3], 1, v2
	v_cmp_lt_u32_e64 s[4:5], 3, v2
	v_cmp_lt_u32_e64 s[6:7], 7, v2
	v_and_b32_e32 v2, 16, v12
	v_cmp_eq_u32_e64 s[8:9], 0, v2
	v_and_b32_e32 v2, 0xc0, v0
	v_min_u32_e32 v9, 0x80, v2
	v_lshrrev_b32_e32 v10, 6, v0
	v_or_b32_e32 v9, 63, v9
	v_mul_u32_u24_e32 v6, 0xc0, v10
	v_cmp_eq_u32_e64 s[12:13], v0, v9
	v_subrev_co_u32_e64 v9, s[18:19], 1, v12
	v_and_b32_e32 v11, 64, v12
	v_lshlrev_b32_e32 v7, 2, v6
	v_lshlrev_b32_e32 v8, 4, v0
	v_cmp_lt_i32_e32 vcc, v9, v11
	v_lshrrev_b32_e32 v1, 4, v1
	v_mad_u32_u24 v6, v12, 12, v7
	v_lshlrev_b32_e32 v14, 2, v12
	v_cmp_lt_u32_e64 s[10:11], 31, v12
	v_cndmask_b32_e32 v9, v9, v12, vcc
	v_lshlrev_b32_e32 v10, 2, v10
	v_mad_i32_i24 v11, v0, -12, v8
	v_and_b32_e32 v12, 3, v12
	v_mul_u32_u24_e32 v2, 12, v2
	v_and_b32_e32 v13, 0xffffffc, v1
	v_lshlrev_b32_e32 v1, 3, v0
	v_mov_b32_e32 v3, 0
	v_add_u32_e32 v7, v14, v7
	v_cmp_gt_u32_e64 s[14:15], 3, v0
	v_cmp_lt_u32_e64 s[16:17], 63, v0
	v_lshlrev_b32_e32 v9, 2, v9
	v_cmp_eq_u32_e64 s[20:21], 0, v0
	v_cmp_eq_u32_e64 s[22:23], 0, v12
	v_cmp_lt_u32_e64 s[24:25], 1, v12
	v_add_u32_e32 v12, -4, v10
	v_add_u32_e32 v14, v14, v2
	v_add_u32_e32 v15, v11, v1
	v_mov_b32_e32 v16, 12
	s_branch .LBB18_2
.LBB18_1:                               ;   in Loop: Header=BB18_2 Depth=1
	v_lshlrev_b32_e32 v1, 2, v21
	s_barrier
	ds_write_b32 v1, v20
	v_lshlrev_b32_e32 v1, 2, v5
	ds_write_b32 v1, v18
	v_lshlrev_b32_e32 v1, 2, v4
	ds_write_b32 v1, v17
	s_waitcnt lgkmcnt(0)
	s_barrier
	ds_read2_b32 v[1:2], v15 offset1:1
	ds_read_b32 v17, v15 offset:8
	s_add_i32 s35, s35, 1
	s_cmp_eq_u32 s35, 10
	s_waitcnt lgkmcnt(1)
	v_xor_b32_e32 v4, 0x80000000, v1
	v_xor_b32_e32 v5, 0x80000000, v2
	s_waitcnt lgkmcnt(0)
	v_xor_b32_e32 v17, 0x80000000, v17
	s_cbranch_scc1 .LBB18_18
.LBB18_2:                               ; =>This Loop Header: Depth=1
                                        ;     Child Loop BB18_4 Depth 2
	s_waitcnt vmcnt(2)
	v_xor_b32_e32 v1, 0x80000000, v4
	s_waitcnt vmcnt(1)
	v_xor_b32_e32 v2, 0x80000000, v5
	;; [unrolled: 2-line block ×3, first 2 shown]
	ds_write2_b32 v6, v1, v2 offset1:1
	ds_write_b32 v6, v4 offset:8
	; wave barrier
	ds_read2st64_b32 v[1:2], v7 offset1:1
	ds_read_b32 v22, v7 offset:512
	v_mov_b32_e32 v19, v3
	s_waitcnt lgkmcnt(0)
	s_barrier
	; wave barrier
	s_barrier
	s_branch .LBB18_4
.LBB18_3:                               ;   in Loop: Header=BB18_4 Depth=2
	s_andn2_b64 vcc, exec, s[26:27]
	s_cbranch_vccz .LBB18_1
.LBB18_4:                               ;   Parent Loop BB18_2 Depth=1
                                        ; =>  This Inner Loop Header: Depth=2
	v_mov_b32_e32 v20, v1
	v_lshrrev_b32_e32 v1, v19, v20
	v_mov_b32_e32 v18, v2
	v_and_b32_e32 v2, 1, v1
	v_add_co_u32_e32 v4, vcc, -1, v2
	v_addc_co_u32_e64 v21, s[26:27], 0, -1, vcc
	v_cmp_ne_u32_e32 vcc, 0, v2
	v_xor_b32_e32 v4, vcc_lo, v4
	v_xor_b32_e32 v2, vcc_hi, v21
	v_and_b32_e32 v21, exec_lo, v4
	v_lshlrev_b32_e32 v4, 30, v1
	v_cmp_gt_i64_e32 vcc, 0, v[3:4]
	v_not_b32_e32 v4, v4
	v_ashrrev_i32_e32 v4, 31, v4
	v_mov_b32_e32 v17, v22
	v_xor_b32_e32 v22, vcc_hi, v4
	v_xor_b32_e32 v4, vcc_lo, v4
	v_and_b32_e32 v21, v21, v4
	v_lshlrev_b32_e32 v4, 29, v1
	v_cmp_gt_i64_e32 vcc, 0, v[3:4]
	v_not_b32_e32 v4, v4
	v_and_b32_e32 v2, exec_hi, v2
	v_ashrrev_i32_e32 v4, 31, v4
	v_and_b32_e32 v2, v2, v22
	v_xor_b32_e32 v22, vcc_hi, v4
	v_xor_b32_e32 v4, vcc_lo, v4
	v_and_b32_e32 v21, v21, v4
	v_lshlrev_b32_e32 v4, 28, v1
	v_cmp_gt_i64_e32 vcc, 0, v[3:4]
	v_not_b32_e32 v4, v4
	v_ashrrev_i32_e32 v4, 31, v4
	v_and_b32_e32 v2, v2, v22
	v_xor_b32_e32 v22, vcc_hi, v4
	v_xor_b32_e32 v4, vcc_lo, v4
	v_and_b32_e32 v21, v21, v4
	v_lshlrev_b32_e32 v4, 27, v1
	v_cmp_gt_i64_e32 vcc, 0, v[3:4]
	v_not_b32_e32 v4, v4
	v_ashrrev_i32_e32 v4, 31, v4
	v_and_b32_e32 v2, v2, v22
	v_xor_b32_e32 v22, vcc_hi, v4
	v_xor_b32_e32 v4, vcc_lo, v4
	v_and_b32_e32 v21, v21, v4
	v_lshlrev_b32_e32 v4, 26, v1
	v_cmp_gt_i64_e32 vcc, 0, v[3:4]
	v_not_b32_e32 v4, v4
	v_ashrrev_i32_e32 v4, 31, v4
	v_and_b32_e32 v2, v2, v22
	v_xor_b32_e32 v22, vcc_hi, v4
	v_xor_b32_e32 v4, vcc_lo, v4
	v_and_b32_e32 v21, v21, v4
	v_lshlrev_b32_e32 v4, 25, v1
	v_cmp_gt_i64_e32 vcc, 0, v[3:4]
	v_not_b32_e32 v4, v4
	v_ashrrev_i32_e32 v4, 31, v4
	v_and_b32_e32 v2, v2, v22
	v_xor_b32_e32 v22, vcc_hi, v4
	v_xor_b32_e32 v4, vcc_lo, v4
	v_and_b32_e32 v21, v21, v4
	v_lshlrev_b32_e32 v4, 24, v1
	v_mul_u32_u24_sdwa v5, v1, v16 dst_sel:DWORD dst_unused:UNUSED_PAD src0_sel:BYTE_0 src1_sel:DWORD
	v_cmp_gt_i64_e32 vcc, 0, v[3:4]
	v_not_b32_e32 v1, v4
	v_ashrrev_i32_e32 v1, 31, v1
	v_xor_b32_e32 v4, vcc_hi, v1
	v_xor_b32_e32 v1, vcc_lo, v1
	v_and_b32_e32 v2, v2, v22
	v_and_b32_e32 v1, v21, v1
	;; [unrolled: 1-line block ×3, first 2 shown]
	v_mbcnt_lo_u32_b32 v4, v1, 0
	v_mbcnt_hi_u32_b32 v21, v2, v4
	v_cmp_ne_u64_e32 vcc, 0, v[1:2]
	v_cmp_eq_u32_e64 s[26:27], 0, v21
	s_and_b64 s[28:29], vcc, s[26:27]
	v_add_u32_e32 v22, v13, v5
	ds_write2_b32 v8, v3, v3 offset0:3 offset1:4
	ds_write2_b32 v8, v3, v3 offset0:5 offset1:6
	s_waitcnt lgkmcnt(0)
	s_barrier
	; wave barrier
	s_and_saveexec_b64 s[26:27], s[28:29]
; %bb.5:                                ;   in Loop: Header=BB18_4 Depth=2
	v_bcnt_u32_b32 v1, v1, 0
	v_bcnt_u32_b32 v1, v2, v1
	ds_write_b32 v22, v1 offset:12
; %bb.6:                                ;   in Loop: Header=BB18_4 Depth=2
	s_or_b64 exec, exec, s[26:27]
	v_lshrrev_b32_e32 v1, v19, v18
	v_and_b32_e32 v2, 0xff, v1
	v_mul_u32_u24_e32 v5, 12, v2
	v_mad_u32_u24 v2, v2, 12, v13
	; wave barrier
	ds_read_b32 v23, v2 offset:12
	v_and_b32_e32 v2, 1, v1
	v_add_co_u32_e32 v4, vcc, -1, v2
	v_addc_co_u32_e64 v24, s[26:27], 0, -1, vcc
	v_cmp_ne_u32_e32 vcc, 0, v2
	v_xor_b32_e32 v4, vcc_lo, v4
	v_xor_b32_e32 v2, vcc_hi, v24
	v_and_b32_e32 v24, exec_lo, v4
	v_lshlrev_b32_e32 v4, 30, v1
	v_cmp_gt_i64_e32 vcc, 0, v[3:4]
	v_not_b32_e32 v4, v4
	v_ashrrev_i32_e32 v4, 31, v4
	v_xor_b32_e32 v25, vcc_hi, v4
	v_xor_b32_e32 v4, vcc_lo, v4
	v_and_b32_e32 v24, v24, v4
	v_lshlrev_b32_e32 v4, 29, v1
	v_cmp_gt_i64_e32 vcc, 0, v[3:4]
	v_not_b32_e32 v4, v4
	v_and_b32_e32 v2, exec_hi, v2
	v_ashrrev_i32_e32 v4, 31, v4
	v_and_b32_e32 v2, v2, v25
	v_xor_b32_e32 v25, vcc_hi, v4
	v_xor_b32_e32 v4, vcc_lo, v4
	v_and_b32_e32 v24, v24, v4
	v_lshlrev_b32_e32 v4, 28, v1
	v_cmp_gt_i64_e32 vcc, 0, v[3:4]
	v_not_b32_e32 v4, v4
	v_ashrrev_i32_e32 v4, 31, v4
	v_and_b32_e32 v2, v2, v25
	v_xor_b32_e32 v25, vcc_hi, v4
	v_xor_b32_e32 v4, vcc_lo, v4
	v_and_b32_e32 v24, v24, v4
	v_lshlrev_b32_e32 v4, 27, v1
	v_cmp_gt_i64_e32 vcc, 0, v[3:4]
	v_not_b32_e32 v4, v4
	;; [unrolled: 8-line block ×5, first 2 shown]
	v_ashrrev_i32_e32 v1, 31, v1
	v_xor_b32_e32 v4, vcc_hi, v1
	v_xor_b32_e32 v1, vcc_lo, v1
	v_and_b32_e32 v2, v2, v25
	v_and_b32_e32 v1, v24, v1
	;; [unrolled: 1-line block ×3, first 2 shown]
	v_mbcnt_lo_u32_b32 v4, v1, 0
	v_mbcnt_hi_u32_b32 v24, v2, v4
	v_cmp_ne_u64_e32 vcc, 0, v[1:2]
	v_cmp_eq_u32_e64 s[26:27], 0, v24
	s_and_b64 s[28:29], vcc, s[26:27]
	v_add_u32_e32 v25, v13, v5
	; wave barrier
	s_and_saveexec_b64 s[26:27], s[28:29]
	s_cbranch_execz .LBB18_8
; %bb.7:                                ;   in Loop: Header=BB18_4 Depth=2
	v_bcnt_u32_b32 v1, v1, 0
	v_bcnt_u32_b32 v1, v2, v1
	s_waitcnt lgkmcnt(0)
	v_add_u32_e32 v1, v23, v1
	ds_write_b32 v25, v1 offset:12
.LBB18_8:                               ;   in Loop: Header=BB18_4 Depth=2
	s_or_b64 exec, exec, s[26:27]
	v_lshrrev_b32_e32 v1, v19, v17
	v_and_b32_e32 v2, 0xff, v1
	v_mul_u32_u24_e32 v5, 12, v2
	v_mad_u32_u24 v2, v2, 12, v13
	; wave barrier
	ds_read_b32 v26, v2 offset:12
	v_and_b32_e32 v2, 1, v1
	v_add_co_u32_e32 v4, vcc, -1, v2
	v_addc_co_u32_e64 v27, s[26:27], 0, -1, vcc
	v_cmp_ne_u32_e32 vcc, 0, v2
	v_xor_b32_e32 v4, vcc_lo, v4
	v_xor_b32_e32 v2, vcc_hi, v27
	v_and_b32_e32 v27, exec_lo, v4
	v_lshlrev_b32_e32 v4, 30, v1
	v_cmp_gt_i64_e32 vcc, 0, v[3:4]
	v_not_b32_e32 v4, v4
	v_ashrrev_i32_e32 v4, 31, v4
	v_xor_b32_e32 v28, vcc_hi, v4
	v_xor_b32_e32 v4, vcc_lo, v4
	v_and_b32_e32 v27, v27, v4
	v_lshlrev_b32_e32 v4, 29, v1
	v_cmp_gt_i64_e32 vcc, 0, v[3:4]
	v_not_b32_e32 v4, v4
	v_and_b32_e32 v2, exec_hi, v2
	v_ashrrev_i32_e32 v4, 31, v4
	v_and_b32_e32 v2, v2, v28
	v_xor_b32_e32 v28, vcc_hi, v4
	v_xor_b32_e32 v4, vcc_lo, v4
	v_and_b32_e32 v27, v27, v4
	v_lshlrev_b32_e32 v4, 28, v1
	v_cmp_gt_i64_e32 vcc, 0, v[3:4]
	v_not_b32_e32 v4, v4
	v_ashrrev_i32_e32 v4, 31, v4
	v_and_b32_e32 v2, v2, v28
	v_xor_b32_e32 v28, vcc_hi, v4
	v_xor_b32_e32 v4, vcc_lo, v4
	v_and_b32_e32 v27, v27, v4
	v_lshlrev_b32_e32 v4, 27, v1
	v_cmp_gt_i64_e32 vcc, 0, v[3:4]
	v_not_b32_e32 v4, v4
	;; [unrolled: 8-line block ×5, first 2 shown]
	v_ashrrev_i32_e32 v1, 31, v1
	v_xor_b32_e32 v4, vcc_hi, v1
	v_xor_b32_e32 v1, vcc_lo, v1
	v_and_b32_e32 v2, v2, v28
	v_and_b32_e32 v1, v27, v1
	;; [unrolled: 1-line block ×3, first 2 shown]
	v_mbcnt_lo_u32_b32 v4, v1, 0
	v_mbcnt_hi_u32_b32 v27, v2, v4
	v_cmp_ne_u64_e32 vcc, 0, v[1:2]
	v_cmp_eq_u32_e64 s[26:27], 0, v27
	s_and_b64 s[28:29], vcc, s[26:27]
	v_add_u32_e32 v28, v13, v5
	; wave barrier
	s_and_saveexec_b64 s[26:27], s[28:29]
	s_cbranch_execz .LBB18_10
; %bb.9:                                ;   in Loop: Header=BB18_4 Depth=2
	v_bcnt_u32_b32 v1, v1, 0
	v_bcnt_u32_b32 v1, v2, v1
	s_waitcnt lgkmcnt(0)
	v_add_u32_e32 v1, v26, v1
	ds_write_b32 v28, v1 offset:12
.LBB18_10:                              ;   in Loop: Header=BB18_4 Depth=2
	s_or_b64 exec, exec, s[26:27]
	; wave barrier
	s_waitcnt lgkmcnt(0)
	s_barrier
	ds_read2_b32 v[4:5], v8 offset0:3 offset1:4
	ds_read2_b32 v[1:2], v8 offset0:5 offset1:6
	s_waitcnt lgkmcnt(1)
	v_add_u32_e32 v29, v5, v4
	s_waitcnt lgkmcnt(0)
	v_add3_u32 v2, v29, v1, v2
	s_nop 1
	v_mov_b32_dpp v29, v2 row_shr:1 row_mask:0xf bank_mask:0xf
	v_cndmask_b32_e64 v29, v29, 0, s[0:1]
	v_add_u32_e32 v2, v29, v2
	s_nop 1
	v_mov_b32_dpp v29, v2 row_shr:2 row_mask:0xf bank_mask:0xf
	v_cndmask_b32_e64 v29, 0, v29, s[2:3]
	v_add_u32_e32 v2, v2, v29
	;; [unrolled: 4-line block ×4, first 2 shown]
	s_nop 1
	v_mov_b32_dpp v29, v2 row_bcast:15 row_mask:0xf bank_mask:0xf
	v_cndmask_b32_e64 v29, v29, 0, s[8:9]
	v_add_u32_e32 v2, v2, v29
	s_nop 1
	v_mov_b32_dpp v29, v2 row_bcast:31 row_mask:0xf bank_mask:0xf
	v_cndmask_b32_e64 v29, 0, v29, s[10:11]
	v_add_u32_e32 v2, v2, v29
	s_and_saveexec_b64 s[26:27], s[12:13]
; %bb.11:                               ;   in Loop: Header=BB18_4 Depth=2
	ds_write_b32 v10, v2
; %bb.12:                               ;   in Loop: Header=BB18_4 Depth=2
	s_or_b64 exec, exec, s[26:27]
	s_waitcnt lgkmcnt(0)
	s_barrier
	s_and_saveexec_b64 s[26:27], s[14:15]
	s_cbranch_execz .LBB18_14
; %bb.13:                               ;   in Loop: Header=BB18_4 Depth=2
	ds_read_b32 v29, v11
	s_waitcnt lgkmcnt(0)
	s_nop 0
	v_mov_b32_dpp v30, v29 row_shr:1 row_mask:0xf bank_mask:0xf
	v_cndmask_b32_e64 v30, v30, 0, s[22:23]
	v_add_u32_e32 v29, v30, v29
	s_nop 1
	v_mov_b32_dpp v30, v29 row_shr:2 row_mask:0xf bank_mask:0xf
	v_cndmask_b32_e64 v30, 0, v30, s[24:25]
	v_add_u32_e32 v29, v29, v30
	ds_write_b32 v11, v29
.LBB18_14:                              ;   in Loop: Header=BB18_4 Depth=2
	s_or_b64 exec, exec, s[26:27]
	v_mov_b32_e32 v29, 0
	s_waitcnt lgkmcnt(0)
	s_barrier
	s_and_saveexec_b64 s[26:27], s[16:17]
; %bb.15:                               ;   in Loop: Header=BB18_4 Depth=2
	ds_read_b32 v29, v12
; %bb.16:                               ;   in Loop: Header=BB18_4 Depth=2
	s_or_b64 exec, exec, s[26:27]
	s_waitcnt lgkmcnt(0)
	v_add_u32_e32 v2, v29, v2
	ds_bpermute_b32 v2, v9, v2
	v_cmp_lt_u32_e32 vcc, 23, v19
	s_and_b64 vcc, exec, vcc
	s_mov_b64 s[26:27], -1
	s_waitcnt lgkmcnt(0)
	v_cndmask_b32_e64 v2, v2, v29, s[18:19]
	v_cndmask_b32_e64 v2, v2, 0, s[20:21]
	v_add_u32_e32 v4, v2, v4
	v_add_u32_e32 v5, v4, v5
	;; [unrolled: 1-line block ×3, first 2 shown]
	ds_write2_b32 v8, v2, v4 offset0:3 offset1:4
	ds_write2_b32 v8, v5, v1 offset0:5 offset1:6
	s_waitcnt lgkmcnt(0)
	s_barrier
	ds_read_b32 v1, v22 offset:12
	ds_read_b32 v2, v25 offset:12
	ds_read_b32 v4, v28 offset:12
                                        ; implicit-def: $vgpr22
	s_waitcnt lgkmcnt(2)
	v_add_u32_e32 v21, v1, v21
	s_waitcnt lgkmcnt(1)
	v_add3_u32 v5, v24, v23, v2
	s_waitcnt lgkmcnt(0)
	v_add3_u32 v4, v27, v26, v4
                                        ; implicit-def: $vgpr2
	s_cbranch_vccnz .LBB18_3
; %bb.17:                               ;   in Loop: Header=BB18_4 Depth=2
	v_lshlrev_b32_e32 v1, 2, v21
	s_barrier
	ds_write_b32 v1, v20
	v_lshlrev_b32_e32 v1, 2, v5
	ds_write_b32 v1, v18
	v_lshlrev_b32_e32 v1, 2, v4
	ds_write_b32 v1, v17
	s_waitcnt lgkmcnt(0)
	s_barrier
	ds_read2st64_b32 v[1:2], v14 offset1:1
	ds_read_b32 v22, v14 offset:512
	v_add_u32_e32 v19, 8, v19
	s_mov_b64 s[26:27], 0
	s_waitcnt lgkmcnt(0)
	s_barrier
	s_branch .LBB18_3
.LBB18_18:
	s_add_u32 s0, s30, s36
	s_addc_u32 s1, s31, s37
	v_lshlrev_b32_e32 v0, 2, v0
	global_store_dword v0, v4, s[0:1]
	global_store_dword v0, v5, s[0:1] offset:768
	global_store_dword v0, v17, s[0:1] offset:1536
	s_endpgm
	.section	.rodata,"a",@progbits
	.p2align	6, 0x0
	.amdhsa_kernel _Z16sort_keys_kernelI22helper_blocked_blockediLj192ELj3ELj10EEvPKT0_PS1_
		.amdhsa_group_segment_fixed_size 3088
		.amdhsa_private_segment_fixed_size 0
		.amdhsa_kernarg_size 272
		.amdhsa_user_sgpr_count 6
		.amdhsa_user_sgpr_private_segment_buffer 1
		.amdhsa_user_sgpr_dispatch_ptr 0
		.amdhsa_user_sgpr_queue_ptr 0
		.amdhsa_user_sgpr_kernarg_segment_ptr 1
		.amdhsa_user_sgpr_dispatch_id 0
		.amdhsa_user_sgpr_flat_scratch_init 0
		.amdhsa_user_sgpr_private_segment_size 0
		.amdhsa_uses_dynamic_stack 0
		.amdhsa_system_sgpr_private_segment_wavefront_offset 0
		.amdhsa_system_sgpr_workgroup_id_x 1
		.amdhsa_system_sgpr_workgroup_id_y 0
		.amdhsa_system_sgpr_workgroup_id_z 0
		.amdhsa_system_sgpr_workgroup_info 0
		.amdhsa_system_vgpr_workitem_id 2
		.amdhsa_next_free_vgpr 31
		.amdhsa_next_free_sgpr 38
		.amdhsa_reserve_vcc 1
		.amdhsa_reserve_flat_scratch 0
		.amdhsa_float_round_mode_32 0
		.amdhsa_float_round_mode_16_64 0
		.amdhsa_float_denorm_mode_32 3
		.amdhsa_float_denorm_mode_16_64 3
		.amdhsa_dx10_clamp 1
		.amdhsa_ieee_mode 1
		.amdhsa_fp16_overflow 0
		.amdhsa_exception_fp_ieee_invalid_op 0
		.amdhsa_exception_fp_denorm_src 0
		.amdhsa_exception_fp_ieee_div_zero 0
		.amdhsa_exception_fp_ieee_overflow 0
		.amdhsa_exception_fp_ieee_underflow 0
		.amdhsa_exception_fp_ieee_inexact 0
		.amdhsa_exception_int_div_zero 0
	.end_amdhsa_kernel
	.section	.text._Z16sort_keys_kernelI22helper_blocked_blockediLj192ELj3ELj10EEvPKT0_PS1_,"axG",@progbits,_Z16sort_keys_kernelI22helper_blocked_blockediLj192ELj3ELj10EEvPKT0_PS1_,comdat
.Lfunc_end18:
	.size	_Z16sort_keys_kernelI22helper_blocked_blockediLj192ELj3ELj10EEvPKT0_PS1_, .Lfunc_end18-_Z16sort_keys_kernelI22helper_blocked_blockediLj192ELj3ELj10EEvPKT0_PS1_
                                        ; -- End function
	.set _Z16sort_keys_kernelI22helper_blocked_blockediLj192ELj3ELj10EEvPKT0_PS1_.num_vgpr, 31
	.set _Z16sort_keys_kernelI22helper_blocked_blockediLj192ELj3ELj10EEvPKT0_PS1_.num_agpr, 0
	.set _Z16sort_keys_kernelI22helper_blocked_blockediLj192ELj3ELj10EEvPKT0_PS1_.numbered_sgpr, 38
	.set _Z16sort_keys_kernelI22helper_blocked_blockediLj192ELj3ELj10EEvPKT0_PS1_.num_named_barrier, 0
	.set _Z16sort_keys_kernelI22helper_blocked_blockediLj192ELj3ELj10EEvPKT0_PS1_.private_seg_size, 0
	.set _Z16sort_keys_kernelI22helper_blocked_blockediLj192ELj3ELj10EEvPKT0_PS1_.uses_vcc, 1
	.set _Z16sort_keys_kernelI22helper_blocked_blockediLj192ELj3ELj10EEvPKT0_PS1_.uses_flat_scratch, 0
	.set _Z16sort_keys_kernelI22helper_blocked_blockediLj192ELj3ELj10EEvPKT0_PS1_.has_dyn_sized_stack, 0
	.set _Z16sort_keys_kernelI22helper_blocked_blockediLj192ELj3ELj10EEvPKT0_PS1_.has_recursion, 0
	.set _Z16sort_keys_kernelI22helper_blocked_blockediLj192ELj3ELj10EEvPKT0_PS1_.has_indirect_call, 0
	.section	.AMDGPU.csdata,"",@progbits
; Kernel info:
; codeLenInByte = 2272
; TotalNumSgprs: 42
; NumVgprs: 31
; ScratchSize: 0
; MemoryBound: 0
; FloatMode: 240
; IeeeMode: 1
; LDSByteSize: 3088 bytes/workgroup (compile time only)
; SGPRBlocks: 5
; VGPRBlocks: 7
; NumSGPRsForWavesPerEU: 42
; NumVGPRsForWavesPerEU: 31
; Occupancy: 8
; WaveLimiterHint : 1
; COMPUTE_PGM_RSRC2:SCRATCH_EN: 0
; COMPUTE_PGM_RSRC2:USER_SGPR: 6
; COMPUTE_PGM_RSRC2:TRAP_HANDLER: 0
; COMPUTE_PGM_RSRC2:TGID_X_EN: 1
; COMPUTE_PGM_RSRC2:TGID_Y_EN: 0
; COMPUTE_PGM_RSRC2:TGID_Z_EN: 0
; COMPUTE_PGM_RSRC2:TIDIG_COMP_CNT: 2
	.section	.text._Z17sort_pairs_kernelI22helper_blocked_blockediLj192ELj3ELj10EEvPKT0_PS1_,"axG",@progbits,_Z17sort_pairs_kernelI22helper_blocked_blockediLj192ELj3ELj10EEvPKT0_PS1_,comdat
	.protected	_Z17sort_pairs_kernelI22helper_blocked_blockediLj192ELj3ELj10EEvPKT0_PS1_ ; -- Begin function _Z17sort_pairs_kernelI22helper_blocked_blockediLj192ELj3ELj10EEvPKT0_PS1_
	.globl	_Z17sort_pairs_kernelI22helper_blocked_blockediLj192ELj3ELj10EEvPKT0_PS1_
	.p2align	8
	.type	_Z17sort_pairs_kernelI22helper_blocked_blockediLj192ELj3ELj10EEvPKT0_PS1_,@function
_Z17sort_pairs_kernelI22helper_blocked_blockediLj192ELj3ELj10EEvPKT0_PS1_: ; @_Z17sort_pairs_kernelI22helper_blocked_blockediLj192ELj3ELj10EEvPKT0_PS1_
; %bb.0:
	s_load_dwordx4 s[28:31], s[4:5], 0x0
	s_load_dword s24, s[4:5], 0x1c
	s_mul_i32 s36, s6, 0x240
	s_mov_b32 s37, 0
	s_lshl_b64 s[34:35], s[36:37], 2
	s_waitcnt lgkmcnt(0)
	s_add_u32 s0, s28, s34
	s_addc_u32 s1, s29, s35
	v_lshlrev_b32_e32 v3, 2, v0
	global_load_dword v17, v3, s[0:1]
	global_load_dword v18, v3, s[0:1] offset:768
	global_load_dword v19, v3, s[0:1] offset:1536
	s_lshr_b32 s25, s24, 16
	s_and_b32 s24, s24, 0xffff
	v_mad_u32_u24 v1, v2, s25, v1
	v_mbcnt_lo_u32_b32 v4, -1, 0
	v_mad_u64_u32 v[1:2], s[24:25], v1, s24, v[0:1]
	v_mbcnt_hi_u32_b32 v4, -1, v4
	v_lshrrev_b32_e32 v5, 6, v0
	v_and_b32_e32 v9, 0xc0, v0
	v_subrev_co_u32_e64 v16, s[8:9], 1, v4
	v_and_b32_e32 v20, 64, v4
	v_lshlrev_b32_e32 v6, 4, v0
	v_mul_u32_u24_e32 v10, 0xc0, v5
	v_and_b32_e32 v14, 16, v4
	v_min_u32_e32 v15, 0x80, v9
	v_cmp_lt_i32_e32 vcc, v16, v20
	v_lshlrev_b32_e32 v11, 3, v0
	v_lshlrev_b32_e32 v13, 2, v4
	v_and_b32_e32 v12, 15, v4
	v_lshlrev_b32_e32 v7, 2, v5
	v_mad_i32_i24 v8, v0, -12, v6
	v_and_b32_e32 v5, 3, v4
	v_mul_u32_u24_e32 v21, 12, v9
	v_cmp_eq_u32_e64 s[18:19], 0, v14
	v_lshlrev_b32_e32 v14, 2, v10
	v_or_b32_e32 v15, 63, v15
	v_cndmask_b32_e32 v16, v16, v4, vcc
	v_lshrrev_b32_e32 v1, 4, v1
	v_mov_b32_e32 v3, 0
	v_cmp_gt_u32_e64 s[0:1], 3, v0
	v_cmp_lt_u32_e64 s[2:3], 63, v0
	v_cmp_eq_u32_e64 s[4:5], 0, v0
	v_cmp_lt_u32_e64 s[6:7], 31, v4
	v_cmp_eq_u32_e64 s[10:11], 0, v12
	v_cmp_lt_u32_e64 s[12:13], 1, v12
	v_cmp_lt_u32_e64 s[14:15], 3, v12
	;; [unrolled: 1-line block ×3, first 2 shown]
	v_cmp_eq_u32_e64 s[20:21], 0, v5
	v_cmp_lt_u32_e64 s[22:23], 1, v5
	v_add_u32_e32 v9, -4, v7
	v_add_u32_e32 v10, v13, v21
	v_add_u32_e32 v11, v8, v11
	v_mad_u32_u24 v12, v4, 12, v14
	v_add_u32_e32 v13, v13, v14
	v_cmp_eq_u32_e64 s[24:25], v0, v15
	v_lshlrev_b32_e32 v14, 2, v16
	v_and_b32_e32 v15, 0xffffffc, v1
	v_mov_b32_e32 v16, 12
	s_waitcnt vmcnt(2)
	v_add_u32_e32 v4, 1, v17
	s_waitcnt vmcnt(1)
	v_add_u32_e32 v5, 1, v18
	;; [unrolled: 2-line block ×3, first 2 shown]
	s_branch .LBB19_2
.LBB19_1:                               ;   in Loop: Header=BB19_2 Depth=1
	v_lshlrev_b32_e32 v4, 2, v28
	v_lshlrev_b32_e32 v5, 2, v25
	;; [unrolled: 1-line block ×3, first 2 shown]
	s_barrier
	ds_write_b32 v4, v23
	ds_write_b32 v5, v22
	;; [unrolled: 1-line block ×3, first 2 shown]
	s_waitcnt lgkmcnt(0)
	s_barrier
	ds_read2_b32 v[1:2], v11 offset1:1
	ds_read_b32 v22, v11 offset:8
	s_waitcnt lgkmcnt(0)
	s_barrier
	ds_write_b32 v4, v19
	ds_write_b32 v5, v18
	ds_write_b32 v21, v17
	s_waitcnt lgkmcnt(0)
	s_barrier
	ds_read2_b32 v[4:5], v11 offset1:1
	ds_read_b32 v20, v11 offset:8
	s_add_i32 s37, s37, 1
	v_xor_b32_e32 v17, 0x80000000, v1
	v_xor_b32_e32 v18, 0x80000000, v2
	s_cmp_eq_u32 s37, 10
	v_xor_b32_e32 v19, 0x80000000, v22
	s_cbranch_scc1 .LBB19_18
.LBB19_2:                               ; =>This Loop Header: Depth=1
                                        ;     Child Loop BB19_4 Depth 2
	v_xor_b32_e32 v1, 0x80000000, v17
	v_xor_b32_e32 v2, 0x80000000, v18
	;; [unrolled: 1-line block ×3, first 2 shown]
	ds_write2_b32 v12, v1, v2 offset1:1
	ds_write_b32 v12, v17 offset:8
	; wave barrier
	ds_read2st64_b32 v[1:2], v13 offset1:1
	ds_read_b32 v26, v13 offset:512
	; wave barrier
	s_waitcnt lgkmcnt(5)
	ds_write2_b32 v12, v4, v5 offset1:1
	s_waitcnt lgkmcnt(5)
	ds_write_b32 v12, v20 offset:8
	; wave barrier
	ds_read2st64_b32 v[4:5], v13 offset1:1
	ds_read_b32 v27, v13 offset:512
	v_mov_b32_e32 v21, v3
	s_waitcnt lgkmcnt(0)
	s_barrier
	s_branch .LBB19_4
.LBB19_3:                               ;   in Loop: Header=BB19_4 Depth=2
	s_andn2_b64 vcc, exec, s[26:27]
	s_cbranch_vccz .LBB19_1
.LBB19_4:                               ;   Parent Loop BB19_2 Depth=1
                                        ; =>  This Inner Loop Header: Depth=2
	v_mov_b32_e32 v23, v1
	v_lshrrev_b32_e32 v1, v21, v23
	v_mov_b32_e32 v22, v2
	v_and_b32_e32 v2, 1, v1
	v_mov_b32_e32 v19, v4
	v_add_co_u32_e32 v4, vcc, -1, v2
	v_addc_co_u32_e64 v24, s[26:27], 0, -1, vcc
	v_cmp_ne_u32_e32 vcc, 0, v2
	v_xor_b32_e32 v4, vcc_lo, v4
	v_xor_b32_e32 v2, vcc_hi, v24
	v_and_b32_e32 v24, exec_lo, v4
	v_lshlrev_b32_e32 v4, 30, v1
	v_cmp_gt_i64_e32 vcc, 0, v[3:4]
	v_not_b32_e32 v4, v4
	v_ashrrev_i32_e32 v4, 31, v4
	v_xor_b32_e32 v25, vcc_hi, v4
	v_xor_b32_e32 v4, vcc_lo, v4
	v_and_b32_e32 v24, v24, v4
	v_lshlrev_b32_e32 v4, 29, v1
	v_cmp_gt_i64_e32 vcc, 0, v[3:4]
	v_not_b32_e32 v4, v4
	v_and_b32_e32 v2, exec_hi, v2
	v_ashrrev_i32_e32 v4, 31, v4
	v_and_b32_e32 v2, v2, v25
	v_xor_b32_e32 v25, vcc_hi, v4
	v_xor_b32_e32 v4, vcc_lo, v4
	v_and_b32_e32 v24, v24, v4
	v_lshlrev_b32_e32 v4, 28, v1
	v_cmp_gt_i64_e32 vcc, 0, v[3:4]
	v_not_b32_e32 v4, v4
	v_ashrrev_i32_e32 v4, 31, v4
	v_and_b32_e32 v2, v2, v25
	v_xor_b32_e32 v25, vcc_hi, v4
	v_xor_b32_e32 v4, vcc_lo, v4
	v_and_b32_e32 v24, v24, v4
	v_lshlrev_b32_e32 v4, 27, v1
	v_cmp_gt_i64_e32 vcc, 0, v[3:4]
	v_not_b32_e32 v4, v4
	;; [unrolled: 8-line block ×4, first 2 shown]
	v_ashrrev_i32_e32 v4, 31, v4
	v_and_b32_e32 v2, v2, v25
	v_xor_b32_e32 v25, vcc_hi, v4
	v_xor_b32_e32 v4, vcc_lo, v4
	v_and_b32_e32 v24, v24, v4
	v_lshlrev_b32_e32 v4, 24, v1
	v_mov_b32_e32 v18, v5
	v_mul_u32_u24_sdwa v5, v1, v16 dst_sel:DWORD dst_unused:UNUSED_PAD src0_sel:BYTE_0 src1_sel:DWORD
	v_cmp_gt_i64_e32 vcc, 0, v[3:4]
	v_not_b32_e32 v1, v4
	v_ashrrev_i32_e32 v1, 31, v1
	v_xor_b32_e32 v4, vcc_hi, v1
	v_xor_b32_e32 v1, vcc_lo, v1
	v_and_b32_e32 v2, v2, v25
	v_and_b32_e32 v1, v24, v1
	;; [unrolled: 1-line block ×3, first 2 shown]
	v_mbcnt_lo_u32_b32 v4, v1, 0
	v_mbcnt_hi_u32_b32 v24, v2, v4
	v_cmp_ne_u64_e32 vcc, 0, v[1:2]
	v_cmp_eq_u32_e64 s[26:27], 0, v24
	v_mov_b32_e32 v20, v26
	v_mov_b32_e32 v17, v27
	s_and_b64 s[28:29], vcc, s[26:27]
	v_add_u32_e32 v25, v15, v5
	ds_write2_b32 v6, v3, v3 offset0:3 offset1:4
	ds_write2_b32 v6, v3, v3 offset0:5 offset1:6
	s_waitcnt lgkmcnt(0)
	s_barrier
	; wave barrier
	s_and_saveexec_b64 s[26:27], s[28:29]
; %bb.5:                                ;   in Loop: Header=BB19_4 Depth=2
	v_bcnt_u32_b32 v1, v1, 0
	v_bcnt_u32_b32 v1, v2, v1
	ds_write_b32 v25, v1 offset:12
; %bb.6:                                ;   in Loop: Header=BB19_4 Depth=2
	s_or_b64 exec, exec, s[26:27]
	v_lshrrev_b32_e32 v1, v21, v22
	v_and_b32_e32 v2, 0xff, v1
	v_mul_u32_u24_e32 v5, 12, v2
	v_mad_u32_u24 v2, v2, 12, v15
	; wave barrier
	ds_read_b32 v26, v2 offset:12
	v_and_b32_e32 v2, 1, v1
	v_add_co_u32_e32 v4, vcc, -1, v2
	v_addc_co_u32_e64 v27, s[26:27], 0, -1, vcc
	v_cmp_ne_u32_e32 vcc, 0, v2
	v_xor_b32_e32 v4, vcc_lo, v4
	v_xor_b32_e32 v2, vcc_hi, v27
	v_and_b32_e32 v27, exec_lo, v4
	v_lshlrev_b32_e32 v4, 30, v1
	v_cmp_gt_i64_e32 vcc, 0, v[3:4]
	v_not_b32_e32 v4, v4
	v_ashrrev_i32_e32 v4, 31, v4
	v_xor_b32_e32 v28, vcc_hi, v4
	v_xor_b32_e32 v4, vcc_lo, v4
	v_and_b32_e32 v27, v27, v4
	v_lshlrev_b32_e32 v4, 29, v1
	v_cmp_gt_i64_e32 vcc, 0, v[3:4]
	v_not_b32_e32 v4, v4
	v_and_b32_e32 v2, exec_hi, v2
	v_ashrrev_i32_e32 v4, 31, v4
	v_and_b32_e32 v2, v2, v28
	v_xor_b32_e32 v28, vcc_hi, v4
	v_xor_b32_e32 v4, vcc_lo, v4
	v_and_b32_e32 v27, v27, v4
	v_lshlrev_b32_e32 v4, 28, v1
	v_cmp_gt_i64_e32 vcc, 0, v[3:4]
	v_not_b32_e32 v4, v4
	v_ashrrev_i32_e32 v4, 31, v4
	v_and_b32_e32 v2, v2, v28
	v_xor_b32_e32 v28, vcc_hi, v4
	v_xor_b32_e32 v4, vcc_lo, v4
	v_and_b32_e32 v27, v27, v4
	v_lshlrev_b32_e32 v4, 27, v1
	v_cmp_gt_i64_e32 vcc, 0, v[3:4]
	v_not_b32_e32 v4, v4
	;; [unrolled: 8-line block ×5, first 2 shown]
	v_ashrrev_i32_e32 v1, 31, v1
	v_xor_b32_e32 v4, vcc_hi, v1
	v_xor_b32_e32 v1, vcc_lo, v1
	v_and_b32_e32 v2, v2, v28
	v_and_b32_e32 v1, v27, v1
	;; [unrolled: 1-line block ×3, first 2 shown]
	v_mbcnt_lo_u32_b32 v4, v1, 0
	v_mbcnt_hi_u32_b32 v27, v2, v4
	v_cmp_ne_u64_e32 vcc, 0, v[1:2]
	v_cmp_eq_u32_e64 s[26:27], 0, v27
	s_and_b64 s[28:29], vcc, s[26:27]
	v_add_u32_e32 v28, v15, v5
	; wave barrier
	s_and_saveexec_b64 s[26:27], s[28:29]
	s_cbranch_execz .LBB19_8
; %bb.7:                                ;   in Loop: Header=BB19_4 Depth=2
	v_bcnt_u32_b32 v1, v1, 0
	v_bcnt_u32_b32 v1, v2, v1
	s_waitcnt lgkmcnt(0)
	v_add_u32_e32 v1, v26, v1
	ds_write_b32 v28, v1 offset:12
.LBB19_8:                               ;   in Loop: Header=BB19_4 Depth=2
	s_or_b64 exec, exec, s[26:27]
	v_lshrrev_b32_e32 v1, v21, v20
	v_and_b32_e32 v2, 0xff, v1
	v_mul_u32_u24_e32 v5, 12, v2
	v_mad_u32_u24 v2, v2, 12, v15
	; wave barrier
	ds_read_b32 v29, v2 offset:12
	v_and_b32_e32 v2, 1, v1
	v_add_co_u32_e32 v4, vcc, -1, v2
	v_addc_co_u32_e64 v30, s[26:27], 0, -1, vcc
	v_cmp_ne_u32_e32 vcc, 0, v2
	v_xor_b32_e32 v4, vcc_lo, v4
	v_xor_b32_e32 v2, vcc_hi, v30
	v_and_b32_e32 v30, exec_lo, v4
	v_lshlrev_b32_e32 v4, 30, v1
	v_cmp_gt_i64_e32 vcc, 0, v[3:4]
	v_not_b32_e32 v4, v4
	v_ashrrev_i32_e32 v4, 31, v4
	v_xor_b32_e32 v31, vcc_hi, v4
	v_xor_b32_e32 v4, vcc_lo, v4
	v_and_b32_e32 v30, v30, v4
	v_lshlrev_b32_e32 v4, 29, v1
	v_cmp_gt_i64_e32 vcc, 0, v[3:4]
	v_not_b32_e32 v4, v4
	v_and_b32_e32 v2, exec_hi, v2
	v_ashrrev_i32_e32 v4, 31, v4
	v_and_b32_e32 v2, v2, v31
	v_xor_b32_e32 v31, vcc_hi, v4
	v_xor_b32_e32 v4, vcc_lo, v4
	v_and_b32_e32 v30, v30, v4
	v_lshlrev_b32_e32 v4, 28, v1
	v_cmp_gt_i64_e32 vcc, 0, v[3:4]
	v_not_b32_e32 v4, v4
	v_ashrrev_i32_e32 v4, 31, v4
	v_and_b32_e32 v2, v2, v31
	v_xor_b32_e32 v31, vcc_hi, v4
	v_xor_b32_e32 v4, vcc_lo, v4
	v_and_b32_e32 v30, v30, v4
	v_lshlrev_b32_e32 v4, 27, v1
	v_cmp_gt_i64_e32 vcc, 0, v[3:4]
	v_not_b32_e32 v4, v4
	;; [unrolled: 8-line block ×5, first 2 shown]
	v_ashrrev_i32_e32 v1, 31, v1
	v_xor_b32_e32 v4, vcc_hi, v1
	v_xor_b32_e32 v1, vcc_lo, v1
	v_and_b32_e32 v2, v2, v31
	v_and_b32_e32 v1, v30, v1
	;; [unrolled: 1-line block ×3, first 2 shown]
	v_mbcnt_lo_u32_b32 v4, v1, 0
	v_mbcnt_hi_u32_b32 v30, v2, v4
	v_cmp_ne_u64_e32 vcc, 0, v[1:2]
	v_cmp_eq_u32_e64 s[26:27], 0, v30
	s_and_b64 s[28:29], vcc, s[26:27]
	v_add_u32_e32 v31, v15, v5
	; wave barrier
	s_and_saveexec_b64 s[26:27], s[28:29]
	s_cbranch_execz .LBB19_10
; %bb.9:                                ;   in Loop: Header=BB19_4 Depth=2
	v_bcnt_u32_b32 v1, v1, 0
	v_bcnt_u32_b32 v1, v2, v1
	s_waitcnt lgkmcnt(0)
	v_add_u32_e32 v1, v29, v1
	ds_write_b32 v31, v1 offset:12
.LBB19_10:                              ;   in Loop: Header=BB19_4 Depth=2
	s_or_b64 exec, exec, s[26:27]
	; wave barrier
	s_waitcnt lgkmcnt(0)
	s_barrier
	ds_read2_b32 v[4:5], v6 offset0:3 offset1:4
	ds_read2_b32 v[1:2], v6 offset0:5 offset1:6
	s_waitcnt lgkmcnt(1)
	v_add_u32_e32 v32, v5, v4
	s_waitcnt lgkmcnt(0)
	v_add3_u32 v2, v32, v1, v2
	s_nop 1
	v_mov_b32_dpp v32, v2 row_shr:1 row_mask:0xf bank_mask:0xf
	v_cndmask_b32_e64 v32, v32, 0, s[10:11]
	v_add_u32_e32 v2, v32, v2
	s_nop 1
	v_mov_b32_dpp v32, v2 row_shr:2 row_mask:0xf bank_mask:0xf
	v_cndmask_b32_e64 v32, 0, v32, s[12:13]
	v_add_u32_e32 v2, v2, v32
	;; [unrolled: 4-line block ×4, first 2 shown]
	s_nop 1
	v_mov_b32_dpp v32, v2 row_bcast:15 row_mask:0xf bank_mask:0xf
	v_cndmask_b32_e64 v32, v32, 0, s[18:19]
	v_add_u32_e32 v2, v2, v32
	s_nop 1
	v_mov_b32_dpp v32, v2 row_bcast:31 row_mask:0xf bank_mask:0xf
	v_cndmask_b32_e64 v32, 0, v32, s[6:7]
	v_add_u32_e32 v2, v2, v32
	s_and_saveexec_b64 s[26:27], s[24:25]
; %bb.11:                               ;   in Loop: Header=BB19_4 Depth=2
	ds_write_b32 v7, v2
; %bb.12:                               ;   in Loop: Header=BB19_4 Depth=2
	s_or_b64 exec, exec, s[26:27]
	s_waitcnt lgkmcnt(0)
	s_barrier
	s_and_saveexec_b64 s[26:27], s[0:1]
	s_cbranch_execz .LBB19_14
; %bb.13:                               ;   in Loop: Header=BB19_4 Depth=2
	ds_read_b32 v32, v8
	s_waitcnt lgkmcnt(0)
	s_nop 0
	v_mov_b32_dpp v33, v32 row_shr:1 row_mask:0xf bank_mask:0xf
	v_cndmask_b32_e64 v33, v33, 0, s[20:21]
	v_add_u32_e32 v32, v33, v32
	s_nop 1
	v_mov_b32_dpp v33, v32 row_shr:2 row_mask:0xf bank_mask:0xf
	v_cndmask_b32_e64 v33, 0, v33, s[22:23]
	v_add_u32_e32 v32, v32, v33
	ds_write_b32 v8, v32
.LBB19_14:                              ;   in Loop: Header=BB19_4 Depth=2
	s_or_b64 exec, exec, s[26:27]
	v_mov_b32_e32 v32, 0
	s_waitcnt lgkmcnt(0)
	s_barrier
	s_and_saveexec_b64 s[26:27], s[2:3]
; %bb.15:                               ;   in Loop: Header=BB19_4 Depth=2
	ds_read_b32 v32, v9
; %bb.16:                               ;   in Loop: Header=BB19_4 Depth=2
	s_or_b64 exec, exec, s[26:27]
	s_waitcnt lgkmcnt(0)
	v_add_u32_e32 v2, v32, v2
	ds_bpermute_b32 v2, v14, v2
	v_cmp_lt_u32_e32 vcc, 23, v21
	s_and_b64 vcc, exec, vcc
	s_mov_b64 s[26:27], -1
	s_waitcnt lgkmcnt(0)
	v_cndmask_b32_e64 v2, v2, v32, s[8:9]
	v_cndmask_b32_e64 v2, v2, 0, s[4:5]
	v_add_u32_e32 v4, v2, v4
	v_add_u32_e32 v5, v4, v5
	;; [unrolled: 1-line block ×3, first 2 shown]
	ds_write2_b32 v6, v2, v4 offset0:3 offset1:4
	ds_write2_b32 v6, v5, v1 offset0:5 offset1:6
	s_waitcnt lgkmcnt(0)
	s_barrier
	ds_read_b32 v1, v25 offset:12
	ds_read_b32 v2, v28 offset:12
	;; [unrolled: 1-line block ×3, first 2 shown]
	s_waitcnt lgkmcnt(2)
	v_add_u32_e32 v28, v1, v24
	s_waitcnt lgkmcnt(1)
	v_add3_u32 v25, v27, v26, v2
	s_waitcnt lgkmcnt(0)
	v_add3_u32 v24, v30, v29, v4
                                        ; implicit-def: $vgpr26
                                        ; implicit-def: $vgpr2
                                        ; implicit-def: $vgpr27
                                        ; implicit-def: $vgpr5
	s_cbranch_vccnz .LBB19_3
; %bb.17:                               ;   in Loop: Header=BB19_4 Depth=2
	v_lshlrev_b32_e32 v4, 2, v28
	v_lshlrev_b32_e32 v5, 2, v25
	;; [unrolled: 1-line block ×3, first 2 shown]
	s_barrier
	ds_write_b32 v4, v23
	ds_write_b32 v5, v22
	;; [unrolled: 1-line block ×3, first 2 shown]
	s_waitcnt lgkmcnt(0)
	s_barrier
	ds_read2st64_b32 v[1:2], v10 offset1:1
	ds_read_b32 v26, v10 offset:512
	s_waitcnt lgkmcnt(0)
	s_barrier
	ds_write_b32 v4, v19
	ds_write_b32 v5, v18
	ds_write_b32 v27, v17
	s_waitcnt lgkmcnt(0)
	s_barrier
	ds_read2st64_b32 v[4:5], v10 offset1:1
	ds_read_b32 v27, v10 offset:512
	v_add_u32_e32 v21, 8, v21
	s_mov_b64 s[26:27], 0
	s_waitcnt lgkmcnt(0)
	s_barrier
	s_branch .LBB19_3
.LBB19_18:
	s_add_u32 s0, s30, s34
	s_waitcnt lgkmcnt(1)
	v_add_u32_e32 v1, v17, v4
	s_addc_u32 s1, s31, s35
	v_lshlrev_b32_e32 v0, 2, v0
	v_add_u32_e32 v2, v18, v5
	s_waitcnt lgkmcnt(0)
	v_add_u32_e32 v3, v19, v20
	global_store_dword v0, v1, s[0:1]
	global_store_dword v0, v2, s[0:1] offset:768
	global_store_dword v0, v3, s[0:1] offset:1536
	s_endpgm
	.section	.rodata,"a",@progbits
	.p2align	6, 0x0
	.amdhsa_kernel _Z17sort_pairs_kernelI22helper_blocked_blockediLj192ELj3ELj10EEvPKT0_PS1_
		.amdhsa_group_segment_fixed_size 3088
		.amdhsa_private_segment_fixed_size 0
		.amdhsa_kernarg_size 272
		.amdhsa_user_sgpr_count 6
		.amdhsa_user_sgpr_private_segment_buffer 1
		.amdhsa_user_sgpr_dispatch_ptr 0
		.amdhsa_user_sgpr_queue_ptr 0
		.amdhsa_user_sgpr_kernarg_segment_ptr 1
		.amdhsa_user_sgpr_dispatch_id 0
		.amdhsa_user_sgpr_flat_scratch_init 0
		.amdhsa_user_sgpr_private_segment_size 0
		.amdhsa_uses_dynamic_stack 0
		.amdhsa_system_sgpr_private_segment_wavefront_offset 0
		.amdhsa_system_sgpr_workgroup_id_x 1
		.amdhsa_system_sgpr_workgroup_id_y 0
		.amdhsa_system_sgpr_workgroup_id_z 0
		.amdhsa_system_sgpr_workgroup_info 0
		.amdhsa_system_vgpr_workitem_id 2
		.amdhsa_next_free_vgpr 34
		.amdhsa_next_free_sgpr 38
		.amdhsa_reserve_vcc 1
		.amdhsa_reserve_flat_scratch 0
		.amdhsa_float_round_mode_32 0
		.amdhsa_float_round_mode_16_64 0
		.amdhsa_float_denorm_mode_32 3
		.amdhsa_float_denorm_mode_16_64 3
		.amdhsa_dx10_clamp 1
		.amdhsa_ieee_mode 1
		.amdhsa_fp16_overflow 0
		.amdhsa_exception_fp_ieee_invalid_op 0
		.amdhsa_exception_fp_denorm_src 0
		.amdhsa_exception_fp_ieee_div_zero 0
		.amdhsa_exception_fp_ieee_overflow 0
		.amdhsa_exception_fp_ieee_underflow 0
		.amdhsa_exception_fp_ieee_inexact 0
		.amdhsa_exception_int_div_zero 0
	.end_amdhsa_kernel
	.section	.text._Z17sort_pairs_kernelI22helper_blocked_blockediLj192ELj3ELj10EEvPKT0_PS1_,"axG",@progbits,_Z17sort_pairs_kernelI22helper_blocked_blockediLj192ELj3ELj10EEvPKT0_PS1_,comdat
.Lfunc_end19:
	.size	_Z17sort_pairs_kernelI22helper_blocked_blockediLj192ELj3ELj10EEvPKT0_PS1_, .Lfunc_end19-_Z17sort_pairs_kernelI22helper_blocked_blockediLj192ELj3ELj10EEvPKT0_PS1_
                                        ; -- End function
	.set _Z17sort_pairs_kernelI22helper_blocked_blockediLj192ELj3ELj10EEvPKT0_PS1_.num_vgpr, 34
	.set _Z17sort_pairs_kernelI22helper_blocked_blockediLj192ELj3ELj10EEvPKT0_PS1_.num_agpr, 0
	.set _Z17sort_pairs_kernelI22helper_blocked_blockediLj192ELj3ELj10EEvPKT0_PS1_.numbered_sgpr, 38
	.set _Z17sort_pairs_kernelI22helper_blocked_blockediLj192ELj3ELj10EEvPKT0_PS1_.num_named_barrier, 0
	.set _Z17sort_pairs_kernelI22helper_blocked_blockediLj192ELj3ELj10EEvPKT0_PS1_.private_seg_size, 0
	.set _Z17sort_pairs_kernelI22helper_blocked_blockediLj192ELj3ELj10EEvPKT0_PS1_.uses_vcc, 1
	.set _Z17sort_pairs_kernelI22helper_blocked_blockediLj192ELj3ELj10EEvPKT0_PS1_.uses_flat_scratch, 0
	.set _Z17sort_pairs_kernelI22helper_blocked_blockediLj192ELj3ELj10EEvPKT0_PS1_.has_dyn_sized_stack, 0
	.set _Z17sort_pairs_kernelI22helper_blocked_blockediLj192ELj3ELj10EEvPKT0_PS1_.has_recursion, 0
	.set _Z17sort_pairs_kernelI22helper_blocked_blockediLj192ELj3ELj10EEvPKT0_PS1_.has_indirect_call, 0
	.section	.AMDGPU.csdata,"",@progbits
; Kernel info:
; codeLenInByte = 2456
; TotalNumSgprs: 42
; NumVgprs: 34
; ScratchSize: 0
; MemoryBound: 0
; FloatMode: 240
; IeeeMode: 1
; LDSByteSize: 3088 bytes/workgroup (compile time only)
; SGPRBlocks: 5
; VGPRBlocks: 8
; NumSGPRsForWavesPerEU: 42
; NumVGPRsForWavesPerEU: 34
; Occupancy: 7
; WaveLimiterHint : 1
; COMPUTE_PGM_RSRC2:SCRATCH_EN: 0
; COMPUTE_PGM_RSRC2:USER_SGPR: 6
; COMPUTE_PGM_RSRC2:TRAP_HANDLER: 0
; COMPUTE_PGM_RSRC2:TGID_X_EN: 1
; COMPUTE_PGM_RSRC2:TGID_Y_EN: 0
; COMPUTE_PGM_RSRC2:TGID_Z_EN: 0
; COMPUTE_PGM_RSRC2:TIDIG_COMP_CNT: 2
	.section	.text._Z16sort_keys_kernelI22helper_blocked_blockediLj192ELj4ELj10EEvPKT0_PS1_,"axG",@progbits,_Z16sort_keys_kernelI22helper_blocked_blockediLj192ELj4ELj10EEvPKT0_PS1_,comdat
	.protected	_Z16sort_keys_kernelI22helper_blocked_blockediLj192ELj4ELj10EEvPKT0_PS1_ ; -- Begin function _Z16sort_keys_kernelI22helper_blocked_blockediLj192ELj4ELj10EEvPKT0_PS1_
	.globl	_Z16sort_keys_kernelI22helper_blocked_blockediLj192ELj4ELj10EEvPKT0_PS1_
	.p2align	8
	.type	_Z16sort_keys_kernelI22helper_blocked_blockediLj192ELj4ELj10EEvPKT0_PS1_,@function
_Z16sort_keys_kernelI22helper_blocked_blockediLj192ELj4ELj10EEvPKT0_PS1_: ; @_Z16sort_keys_kernelI22helper_blocked_blockediLj192ELj4ELj10EEvPKT0_PS1_
; %bb.0:
	s_load_dwordx4 s[36:39], s[4:5], 0x0
	s_load_dword s8, s[4:5], 0x1c
	s_mul_i32 s40, s6, 0x300
	s_mov_b32 s41, 0
	s_lshl_b64 s[42:43], s[40:41], 2
	s_waitcnt lgkmcnt(0)
	s_add_u32 s0, s36, s42
	s_addc_u32 s1, s37, s43
	v_lshlrev_b32_e32 v3, 2, v0
	global_load_dword v18, v3, s[0:1]
	global_load_dword v4, v3, s[0:1] offset:768
	global_load_dword v5, v3, s[0:1] offset:1536
	;; [unrolled: 1-line block ×3, first 2 shown]
	s_lshr_b32 s9, s8, 16
	v_mbcnt_lo_u32_b32 v6, -1, 0
	s_and_b32 s8, s8, 0xffff
	v_mad_u32_u24 v1, v2, s9, v1
	v_mbcnt_hi_u32_b32 v14, -1, v6
	v_mad_u64_u32 v[1:2], s[8:9], v1, s8, v[0:1]
	v_and_b32_e32 v2, 15, v14
	v_cmp_eq_u32_e64 s[8:9], 0, v2
	v_cmp_lt_u32_e64 s[10:11], 1, v2
	v_cmp_lt_u32_e64 s[12:13], 3, v2
	;; [unrolled: 1-line block ×3, first 2 shown]
	v_and_b32_e32 v2, 16, v14
	v_cmp_eq_u32_e64 s[16:17], 0, v2
	v_and_b32_e32 v2, 0xc0, v0
	v_min_u32_e32 v2, 0x80, v2
	v_or_b32_e32 v2, 63, v2
	v_and_b32_e32 v11, 64, v14
	v_cmp_eq_u32_e64 s[20:21], v0, v2
	v_subrev_co_u32_e64 v2, s[26:27], 1, v14
	v_lshrrev_b32_e32 v9, 2, v14
	v_cmp_lt_i32_e32 vcc, v2, v11
	v_or_b32_e32 v6, v9, v11
	v_add_u32_e32 v9, 48, v9
	v_cndmask_b32_e32 v2, v2, v14, vcc
	v_and_b32_e32 v15, 3, v14
	v_and_or_b32 v9, v9, 63, v11
	v_lshlrev_b32_e32 v10, 4, v0
	v_lshlrev_b32_e32 v11, 2, v2
	v_lshrrev_b32_e32 v2, 4, v0
	v_lshrrev_b32_e32 v1, 4, v1
	v_cmp_eq_u32_e64 s[0:1], 3, v15
	v_cmp_eq_u32_e64 s[2:3], 2, v15
	;; [unrolled: 1-line block ×4, first 2 shown]
	v_lshlrev_b32_e32 v6, 2, v6
	v_and_b32_e32 v12, 12, v2
	v_mad_i32_i24 v13, v0, -12, v10
	v_cmp_lt_u32_e64 s[30:31], 1, v15
	v_and_b32_e32 v2, 0xc00, v10
	v_and_b32_e32 v15, 0xffffffc, v1
	v_mul_u32_u24_e32 v1, 12, v0
	v_mov_b32_e32 v3, 0
	v_add_u32_e32 v7, 64, v6
	v_or_b32_e32 v8, 0x80, v6
	v_lshlrev_b32_e32 v9, 2, v9
	v_cmp_lt_u32_e64 s[18:19], 31, v14
	v_cmp_gt_u32_e64 s[22:23], 3, v0
	v_cmp_lt_u32_e64 s[24:25], 63, v0
	v_cmp_eq_u32_e64 s[28:29], 0, v0
	v_lshl_or_b32 v14, v14, 2, v2
	v_add_u32_e32 v16, v13, v1
	s_branch .LBB20_2
.LBB20_1:                               ;   in Loop: Header=BB20_2 Depth=1
	v_lshlrev_b32_e32 v1, 2, v26
	s_barrier
	ds_write_b32 v1, v21
	v_lshlrev_b32_e32 v1, 2, v24
	ds_write_b32 v1, v20
	v_lshlrev_b32_e32 v1, 2, v23
	;; [unrolled: 2-line block ×3, first 2 shown]
	ds_write_b32 v1, v17
	s_waitcnt lgkmcnt(0)
	s_barrier
	ds_read2_b64 v[18:21], v16 offset1:1
	s_add_i32 s41, s41, 1
	s_cmp_eq_u32 s41, 10
	s_waitcnt lgkmcnt(0)
	v_xor_b32_e32 v18, 0x80000000, v18
	v_xor_b32_e32 v4, 0x80000000, v19
	v_xor_b32_e32 v5, 0x80000000, v20
	v_xor_b32_e32 v17, 0x80000000, v21
	s_cbranch_scc1 .LBB20_20
.LBB20_2:                               ; =>This Loop Header: Depth=1
                                        ;     Child Loop BB20_4 Depth 2
	s_waitcnt vmcnt(3)
	v_xor_b32_e32 v18, 0x80000000, v18
	ds_bpermute_b32 v1, v6, v18
	s_waitcnt vmcnt(2)
	v_xor_b32_e32 v4, 0x80000000, v4
	s_waitcnt vmcnt(1)
	v_xor_b32_e32 v5, 0x80000000, v5
	ds_bpermute_b32 v2, v6, v4
	ds_bpermute_b32 v19, v6, v5
	;; [unrolled: 1-line block ×3, first 2 shown]
	s_waitcnt vmcnt(0)
	v_xor_b32_e32 v17, 0x80000000, v17
	ds_bpermute_b32 v20, v6, v17
	s_waitcnt lgkmcnt(4)
	v_cndmask_b32_e64 v1, 0, v1, s[6:7]
	ds_bpermute_b32 v22, v7, v4
	s_waitcnt lgkmcnt(4)
	v_cndmask_b32_e64 v1, v1, v2, s[4:5]
	s_waitcnt lgkmcnt(3)
	v_cndmask_b32_e64 v1, v1, v19, s[2:3]
	;; [unrolled: 2-line block ×3, first 2 shown]
	ds_bpermute_b32 v19, v7, v5
	ds_bpermute_b32 v21, v8, v18
	s_waitcnt lgkmcnt(3)
	v_cndmask_b32_e64 v1, v1, v20, s[0:1]
	ds_bpermute_b32 v20, v7, v17
	s_waitcnt lgkmcnt(3)
	v_cndmask_b32_e64 v2, v2, v22, s[4:5]
	ds_bpermute_b32 v18, v9, v18
	ds_bpermute_b32 v22, v8, v4
	s_waitcnt lgkmcnt(4)
	v_cndmask_b32_e64 v2, v2, v19, s[2:3]
	s_waitcnt lgkmcnt(3)
	v_cndmask_b32_e64 v19, 0, v21, s[6:7]
	ds_bpermute_b32 v21, v9, v4
	ds_bpermute_b32 v23, v8, v5
	;; [unrolled: 1-line block ×3, first 2 shown]
	s_waitcnt lgkmcnt(5)
	v_cndmask_b32_e64 v2, v2, v20, s[0:1]
	ds_bpermute_b32 v20, v8, v17
	ds_bpermute_b32 v17, v9, v17
	s_waitcnt lgkmcnt(6)
	v_cndmask_b32_e64 v18, 0, v18, s[6:7]
	s_waitcnt lgkmcnt(5)
	v_cndmask_b32_e64 v19, v19, v22, s[4:5]
	s_waitcnt lgkmcnt(4)
	v_cndmask_b32_e64 v18, v18, v21, s[4:5]
	s_waitcnt lgkmcnt(3)
	v_cndmask_b32_e64 v19, v19, v23, s[2:3]
	s_waitcnt lgkmcnt(2)
	v_cndmask_b32_e64 v5, v18, v5, s[2:3]
	s_waitcnt lgkmcnt(1)
	v_cndmask_b32_e64 v4, v19, v20, s[0:1]
	s_waitcnt lgkmcnt(0)
	v_cndmask_b32_e64 v5, v5, v17, s[0:1]
	v_mov_b32_e32 v19, v3
	s_barrier
	s_branch .LBB20_4
.LBB20_3:                               ;   in Loop: Header=BB20_4 Depth=2
	s_andn2_b64 vcc, exec, s[34:35]
	s_cbranch_vccz .LBB20_1
.LBB20_4:                               ;   Parent Loop BB20_2 Depth=1
                                        ; =>  This Inner Loop Header: Depth=2
	v_mov_b32_e32 v21, v1
	v_mov_b32_e32 v20, v2
	v_lshrrev_b32_e32 v1, v19, v21
	v_mov_b32_e32 v2, 12
	v_mov_b32_e32 v17, v5
	v_mul_u32_u24_sdwa v5, v1, v2 dst_sel:DWORD dst_unused:UNUSED_PAD src0_sel:BYTE_0 src1_sel:DWORD
	v_and_b32_e32 v2, 1, v1
	v_mov_b32_e32 v18, v4
	v_add_co_u32_e32 v4, vcc, -1, v2
	v_addc_co_u32_e64 v22, s[34:35], 0, -1, vcc
	v_cmp_ne_u32_e32 vcc, 0, v2
	v_xor_b32_e32 v4, vcc_lo, v4
	v_xor_b32_e32 v2, vcc_hi, v22
	v_and_b32_e32 v22, exec_lo, v4
	v_lshlrev_b32_e32 v4, 30, v1
	v_cmp_gt_i64_e32 vcc, 0, v[3:4]
	v_not_b32_e32 v4, v4
	v_ashrrev_i32_e32 v4, 31, v4
	v_xor_b32_e32 v23, vcc_hi, v4
	v_xor_b32_e32 v4, vcc_lo, v4
	v_and_b32_e32 v22, v22, v4
	v_lshlrev_b32_e32 v4, 29, v1
	v_cmp_gt_i64_e32 vcc, 0, v[3:4]
	v_not_b32_e32 v4, v4
	v_and_b32_e32 v2, exec_hi, v2
	v_ashrrev_i32_e32 v4, 31, v4
	v_and_b32_e32 v2, v2, v23
	v_xor_b32_e32 v23, vcc_hi, v4
	v_xor_b32_e32 v4, vcc_lo, v4
	v_and_b32_e32 v22, v22, v4
	v_lshlrev_b32_e32 v4, 28, v1
	v_cmp_gt_i64_e32 vcc, 0, v[3:4]
	v_not_b32_e32 v4, v4
	v_ashrrev_i32_e32 v4, 31, v4
	v_and_b32_e32 v2, v2, v23
	v_xor_b32_e32 v23, vcc_hi, v4
	v_xor_b32_e32 v4, vcc_lo, v4
	v_and_b32_e32 v22, v22, v4
	v_lshlrev_b32_e32 v4, 27, v1
	v_cmp_gt_i64_e32 vcc, 0, v[3:4]
	v_not_b32_e32 v4, v4
	;; [unrolled: 8-line block ×5, first 2 shown]
	v_ashrrev_i32_e32 v1, 31, v1
	v_xor_b32_e32 v4, vcc_hi, v1
	v_xor_b32_e32 v1, vcc_lo, v1
	v_and_b32_e32 v2, v2, v23
	v_and_b32_e32 v1, v22, v1
	;; [unrolled: 1-line block ×3, first 2 shown]
	v_mbcnt_lo_u32_b32 v4, v1, 0
	v_mbcnt_hi_u32_b32 v22, v2, v4
	v_cmp_ne_u64_e32 vcc, 0, v[1:2]
	v_cmp_eq_u32_e64 s[34:35], 0, v22
	s_and_b64 s[36:37], vcc, s[34:35]
	v_add_u32_e32 v23, v15, v5
	ds_write2_b32 v10, v3, v3 offset0:3 offset1:4
	ds_write2_b32 v10, v3, v3 offset0:5 offset1:6
	s_waitcnt lgkmcnt(0)
	s_barrier
	; wave barrier
	s_and_saveexec_b64 s[34:35], s[36:37]
; %bb.5:                                ;   in Loop: Header=BB20_4 Depth=2
	v_bcnt_u32_b32 v1, v1, 0
	v_bcnt_u32_b32 v1, v2, v1
	ds_write_b32 v23, v1 offset:12
; %bb.6:                                ;   in Loop: Header=BB20_4 Depth=2
	s_or_b64 exec, exec, s[34:35]
	v_lshrrev_b32_e32 v1, v19, v20
	v_and_b32_e32 v2, 0xff, v1
	v_mul_u32_u24_e32 v5, 12, v2
	v_mad_u32_u24 v2, v2, 12, v15
	; wave barrier
	ds_read_b32 v24, v2 offset:12
	v_and_b32_e32 v2, 1, v1
	v_add_co_u32_e32 v4, vcc, -1, v2
	v_addc_co_u32_e64 v25, s[34:35], 0, -1, vcc
	v_cmp_ne_u32_e32 vcc, 0, v2
	v_xor_b32_e32 v4, vcc_lo, v4
	v_xor_b32_e32 v2, vcc_hi, v25
	v_and_b32_e32 v25, exec_lo, v4
	v_lshlrev_b32_e32 v4, 30, v1
	v_cmp_gt_i64_e32 vcc, 0, v[3:4]
	v_not_b32_e32 v4, v4
	v_ashrrev_i32_e32 v4, 31, v4
	v_xor_b32_e32 v26, vcc_hi, v4
	v_xor_b32_e32 v4, vcc_lo, v4
	v_and_b32_e32 v25, v25, v4
	v_lshlrev_b32_e32 v4, 29, v1
	v_cmp_gt_i64_e32 vcc, 0, v[3:4]
	v_not_b32_e32 v4, v4
	v_and_b32_e32 v2, exec_hi, v2
	v_ashrrev_i32_e32 v4, 31, v4
	v_and_b32_e32 v2, v2, v26
	v_xor_b32_e32 v26, vcc_hi, v4
	v_xor_b32_e32 v4, vcc_lo, v4
	v_and_b32_e32 v25, v25, v4
	v_lshlrev_b32_e32 v4, 28, v1
	v_cmp_gt_i64_e32 vcc, 0, v[3:4]
	v_not_b32_e32 v4, v4
	v_ashrrev_i32_e32 v4, 31, v4
	v_and_b32_e32 v2, v2, v26
	v_xor_b32_e32 v26, vcc_hi, v4
	v_xor_b32_e32 v4, vcc_lo, v4
	v_and_b32_e32 v25, v25, v4
	v_lshlrev_b32_e32 v4, 27, v1
	v_cmp_gt_i64_e32 vcc, 0, v[3:4]
	v_not_b32_e32 v4, v4
	;; [unrolled: 8-line block ×5, first 2 shown]
	v_ashrrev_i32_e32 v1, 31, v1
	v_xor_b32_e32 v4, vcc_hi, v1
	v_xor_b32_e32 v1, vcc_lo, v1
	v_and_b32_e32 v2, v2, v26
	v_and_b32_e32 v1, v25, v1
	v_and_b32_e32 v2, v2, v4
	v_mbcnt_lo_u32_b32 v4, v1, 0
	v_mbcnt_hi_u32_b32 v25, v2, v4
	v_cmp_ne_u64_e32 vcc, 0, v[1:2]
	v_cmp_eq_u32_e64 s[34:35], 0, v25
	s_and_b64 s[36:37], vcc, s[34:35]
	v_add_u32_e32 v26, v15, v5
	; wave barrier
	s_and_saveexec_b64 s[34:35], s[36:37]
	s_cbranch_execz .LBB20_8
; %bb.7:                                ;   in Loop: Header=BB20_4 Depth=2
	v_bcnt_u32_b32 v1, v1, 0
	v_bcnt_u32_b32 v1, v2, v1
	s_waitcnt lgkmcnt(0)
	v_add_u32_e32 v1, v24, v1
	ds_write_b32 v26, v1 offset:12
.LBB20_8:                               ;   in Loop: Header=BB20_4 Depth=2
	s_or_b64 exec, exec, s[34:35]
	v_lshrrev_b32_e32 v1, v19, v18
	v_and_b32_e32 v2, 0xff, v1
	v_mul_u32_u24_e32 v5, 12, v2
	v_mad_u32_u24 v2, v2, 12, v15
	; wave barrier
	ds_read_b32 v27, v2 offset:12
	v_and_b32_e32 v2, 1, v1
	v_add_co_u32_e32 v4, vcc, -1, v2
	v_addc_co_u32_e64 v28, s[34:35], 0, -1, vcc
	v_cmp_ne_u32_e32 vcc, 0, v2
	v_xor_b32_e32 v4, vcc_lo, v4
	v_xor_b32_e32 v2, vcc_hi, v28
	v_and_b32_e32 v28, exec_lo, v4
	v_lshlrev_b32_e32 v4, 30, v1
	v_cmp_gt_i64_e32 vcc, 0, v[3:4]
	v_not_b32_e32 v4, v4
	v_ashrrev_i32_e32 v4, 31, v4
	v_xor_b32_e32 v29, vcc_hi, v4
	v_xor_b32_e32 v4, vcc_lo, v4
	v_and_b32_e32 v28, v28, v4
	v_lshlrev_b32_e32 v4, 29, v1
	v_cmp_gt_i64_e32 vcc, 0, v[3:4]
	v_not_b32_e32 v4, v4
	v_and_b32_e32 v2, exec_hi, v2
	v_ashrrev_i32_e32 v4, 31, v4
	v_and_b32_e32 v2, v2, v29
	v_xor_b32_e32 v29, vcc_hi, v4
	v_xor_b32_e32 v4, vcc_lo, v4
	v_and_b32_e32 v28, v28, v4
	v_lshlrev_b32_e32 v4, 28, v1
	v_cmp_gt_i64_e32 vcc, 0, v[3:4]
	v_not_b32_e32 v4, v4
	v_ashrrev_i32_e32 v4, 31, v4
	v_and_b32_e32 v2, v2, v29
	v_xor_b32_e32 v29, vcc_hi, v4
	v_xor_b32_e32 v4, vcc_lo, v4
	v_and_b32_e32 v28, v28, v4
	v_lshlrev_b32_e32 v4, 27, v1
	v_cmp_gt_i64_e32 vcc, 0, v[3:4]
	v_not_b32_e32 v4, v4
	;; [unrolled: 8-line block ×5, first 2 shown]
	v_ashrrev_i32_e32 v1, 31, v1
	v_xor_b32_e32 v4, vcc_hi, v1
	v_xor_b32_e32 v1, vcc_lo, v1
	v_and_b32_e32 v2, v2, v29
	v_and_b32_e32 v1, v28, v1
	;; [unrolled: 1-line block ×3, first 2 shown]
	v_mbcnt_lo_u32_b32 v4, v1, 0
	v_mbcnt_hi_u32_b32 v28, v2, v4
	v_cmp_ne_u64_e32 vcc, 0, v[1:2]
	v_cmp_eq_u32_e64 s[34:35], 0, v28
	s_and_b64 s[36:37], vcc, s[34:35]
	v_add_u32_e32 v29, v15, v5
	; wave barrier
	s_and_saveexec_b64 s[34:35], s[36:37]
	s_cbranch_execz .LBB20_10
; %bb.9:                                ;   in Loop: Header=BB20_4 Depth=2
	v_bcnt_u32_b32 v1, v1, 0
	v_bcnt_u32_b32 v1, v2, v1
	s_waitcnt lgkmcnt(0)
	v_add_u32_e32 v1, v27, v1
	ds_write_b32 v29, v1 offset:12
.LBB20_10:                              ;   in Loop: Header=BB20_4 Depth=2
	s_or_b64 exec, exec, s[34:35]
	v_lshrrev_b32_e32 v1, v19, v17
	v_and_b32_e32 v2, 0xff, v1
	v_mul_u32_u24_e32 v5, 12, v2
	v_mad_u32_u24 v2, v2, 12, v15
	; wave barrier
	ds_read_b32 v30, v2 offset:12
	v_and_b32_e32 v2, 1, v1
	v_add_co_u32_e32 v4, vcc, -1, v2
	v_addc_co_u32_e64 v31, s[34:35], 0, -1, vcc
	v_cmp_ne_u32_e32 vcc, 0, v2
	v_xor_b32_e32 v4, vcc_lo, v4
	v_xor_b32_e32 v2, vcc_hi, v31
	v_and_b32_e32 v31, exec_lo, v4
	v_lshlrev_b32_e32 v4, 30, v1
	v_cmp_gt_i64_e32 vcc, 0, v[3:4]
	v_not_b32_e32 v4, v4
	v_ashrrev_i32_e32 v4, 31, v4
	v_xor_b32_e32 v32, vcc_hi, v4
	v_xor_b32_e32 v4, vcc_lo, v4
	v_and_b32_e32 v31, v31, v4
	v_lshlrev_b32_e32 v4, 29, v1
	v_cmp_gt_i64_e32 vcc, 0, v[3:4]
	v_not_b32_e32 v4, v4
	v_and_b32_e32 v2, exec_hi, v2
	v_ashrrev_i32_e32 v4, 31, v4
	v_and_b32_e32 v2, v2, v32
	v_xor_b32_e32 v32, vcc_hi, v4
	v_xor_b32_e32 v4, vcc_lo, v4
	v_and_b32_e32 v31, v31, v4
	v_lshlrev_b32_e32 v4, 28, v1
	v_cmp_gt_i64_e32 vcc, 0, v[3:4]
	v_not_b32_e32 v4, v4
	v_ashrrev_i32_e32 v4, 31, v4
	v_and_b32_e32 v2, v2, v32
	v_xor_b32_e32 v32, vcc_hi, v4
	v_xor_b32_e32 v4, vcc_lo, v4
	v_and_b32_e32 v31, v31, v4
	v_lshlrev_b32_e32 v4, 27, v1
	v_cmp_gt_i64_e32 vcc, 0, v[3:4]
	v_not_b32_e32 v4, v4
	;; [unrolled: 8-line block ×5, first 2 shown]
	v_ashrrev_i32_e32 v1, 31, v1
	v_xor_b32_e32 v4, vcc_hi, v1
	v_xor_b32_e32 v1, vcc_lo, v1
	v_and_b32_e32 v2, v2, v32
	v_and_b32_e32 v1, v31, v1
	;; [unrolled: 1-line block ×3, first 2 shown]
	v_mbcnt_lo_u32_b32 v4, v1, 0
	v_mbcnt_hi_u32_b32 v31, v2, v4
	v_cmp_ne_u64_e32 vcc, 0, v[1:2]
	v_cmp_eq_u32_e64 s[34:35], 0, v31
	s_and_b64 s[36:37], vcc, s[34:35]
	v_add_u32_e32 v32, v15, v5
	; wave barrier
	s_and_saveexec_b64 s[34:35], s[36:37]
	s_cbranch_execz .LBB20_12
; %bb.11:                               ;   in Loop: Header=BB20_4 Depth=2
	v_bcnt_u32_b32 v1, v1, 0
	v_bcnt_u32_b32 v1, v2, v1
	s_waitcnt lgkmcnt(0)
	v_add_u32_e32 v1, v30, v1
	ds_write_b32 v32, v1 offset:12
.LBB20_12:                              ;   in Loop: Header=BB20_4 Depth=2
	s_or_b64 exec, exec, s[34:35]
	; wave barrier
	s_waitcnt lgkmcnt(0)
	s_barrier
	ds_read2_b32 v[4:5], v10 offset0:3 offset1:4
	ds_read2_b32 v[1:2], v10 offset0:5 offset1:6
	s_waitcnt lgkmcnt(1)
	v_add_u32_e32 v33, v5, v4
	s_waitcnt lgkmcnt(0)
	v_add3_u32 v2, v33, v1, v2
	s_nop 1
	v_mov_b32_dpp v33, v2 row_shr:1 row_mask:0xf bank_mask:0xf
	v_cndmask_b32_e64 v33, v33, 0, s[8:9]
	v_add_u32_e32 v2, v33, v2
	s_nop 1
	v_mov_b32_dpp v33, v2 row_shr:2 row_mask:0xf bank_mask:0xf
	v_cndmask_b32_e64 v33, 0, v33, s[10:11]
	v_add_u32_e32 v2, v2, v33
	;; [unrolled: 4-line block ×4, first 2 shown]
	s_nop 1
	v_mov_b32_dpp v33, v2 row_bcast:15 row_mask:0xf bank_mask:0xf
	v_cndmask_b32_e64 v33, v33, 0, s[16:17]
	v_add_u32_e32 v2, v2, v33
	s_nop 1
	v_mov_b32_dpp v33, v2 row_bcast:31 row_mask:0xf bank_mask:0xf
	v_cndmask_b32_e64 v33, 0, v33, s[18:19]
	v_add_u32_e32 v2, v2, v33
	s_and_saveexec_b64 s[34:35], s[20:21]
; %bb.13:                               ;   in Loop: Header=BB20_4 Depth=2
	ds_write_b32 v12, v2
; %bb.14:                               ;   in Loop: Header=BB20_4 Depth=2
	s_or_b64 exec, exec, s[34:35]
	s_waitcnt lgkmcnt(0)
	s_barrier
	s_and_saveexec_b64 s[34:35], s[22:23]
	s_cbranch_execz .LBB20_16
; %bb.15:                               ;   in Loop: Header=BB20_4 Depth=2
	ds_read_b32 v33, v13
	s_waitcnt lgkmcnt(0)
	s_nop 0
	v_mov_b32_dpp v34, v33 row_shr:1 row_mask:0xf bank_mask:0xf
	v_cndmask_b32_e64 v34, v34, 0, s[6:7]
	v_add_u32_e32 v33, v34, v33
	s_nop 1
	v_mov_b32_dpp v34, v33 row_shr:2 row_mask:0xf bank_mask:0xf
	v_cndmask_b32_e64 v34, 0, v34, s[30:31]
	v_add_u32_e32 v33, v33, v34
	ds_write_b32 v13, v33
.LBB20_16:                              ;   in Loop: Header=BB20_4 Depth=2
	s_or_b64 exec, exec, s[34:35]
	v_mov_b32_e32 v33, 0
	s_waitcnt lgkmcnt(0)
	s_barrier
	s_and_saveexec_b64 s[34:35], s[24:25]
; %bb.17:                               ;   in Loop: Header=BB20_4 Depth=2
	v_add_u32_e32 v33, -4, v12
	ds_read_b32 v33, v33
; %bb.18:                               ;   in Loop: Header=BB20_4 Depth=2
	s_or_b64 exec, exec, s[34:35]
	s_waitcnt lgkmcnt(0)
	v_add_u32_e32 v2, v33, v2
	ds_bpermute_b32 v2, v11, v2
	v_cmp_lt_u32_e32 vcc, 23, v19
	s_and_b64 vcc, exec, vcc
	s_mov_b64 s[34:35], -1
	s_waitcnt lgkmcnt(0)
	v_cndmask_b32_e64 v2, v2, v33, s[26:27]
	v_cndmask_b32_e64 v2, v2, 0, s[28:29]
	v_add_u32_e32 v4, v2, v4
	v_add_u32_e32 v5, v4, v5
	;; [unrolled: 1-line block ×3, first 2 shown]
	ds_write2_b32 v10, v2, v4 offset0:3 offset1:4
	ds_write2_b32 v10, v5, v1 offset0:5 offset1:6
	s_waitcnt lgkmcnt(0)
	s_barrier
	ds_read_b32 v1, v23 offset:12
	ds_read_b32 v2, v26 offset:12
	;; [unrolled: 1-line block ×4, first 2 shown]
	s_waitcnt lgkmcnt(3)
	v_add_u32_e32 v26, v1, v22
	s_waitcnt lgkmcnt(2)
	v_add3_u32 v24, v25, v24, v2
	s_waitcnt lgkmcnt(1)
	v_add3_u32 v23, v28, v27, v4
	;; [unrolled: 2-line block ×3, first 2 shown]
                                        ; implicit-def: $vgpr5
                                        ; implicit-def: $vgpr2
	s_cbranch_vccnz .LBB20_3
; %bb.19:                               ;   in Loop: Header=BB20_4 Depth=2
	v_lshlrev_b32_e32 v1, 2, v26
	s_barrier
	ds_write_b32 v1, v21
	v_lshlrev_b32_e32 v1, 2, v24
	ds_write_b32 v1, v20
	v_lshlrev_b32_e32 v1, 2, v23
	ds_write_b32 v1, v18
	v_lshlrev_b32_e32 v1, 2, v22
	ds_write_b32 v1, v17
	s_waitcnt lgkmcnt(0)
	s_barrier
	ds_read2st64_b32 v[1:2], v14 offset1:1
	ds_read2st64_b32 v[4:5], v14 offset0:2 offset1:3
	v_add_u32_e32 v19, 8, v19
	s_mov_b64 s[34:35], 0
	s_waitcnt lgkmcnt(0)
	s_barrier
	s_branch .LBB20_3
.LBB20_20:
	s_add_u32 s0, s38, s42
	s_addc_u32 s1, s39, s43
	v_lshlrev_b32_e32 v0, 2, v0
	global_store_dword v0, v18, s[0:1]
	global_store_dword v0, v4, s[0:1] offset:768
	global_store_dword v0, v5, s[0:1] offset:1536
	;; [unrolled: 1-line block ×3, first 2 shown]
	s_endpgm
	.section	.rodata,"a",@progbits
	.p2align	6, 0x0
	.amdhsa_kernel _Z16sort_keys_kernelI22helper_blocked_blockediLj192ELj4ELj10EEvPKT0_PS1_
		.amdhsa_group_segment_fixed_size 3088
		.amdhsa_private_segment_fixed_size 0
		.amdhsa_kernarg_size 272
		.amdhsa_user_sgpr_count 6
		.amdhsa_user_sgpr_private_segment_buffer 1
		.amdhsa_user_sgpr_dispatch_ptr 0
		.amdhsa_user_sgpr_queue_ptr 0
		.amdhsa_user_sgpr_kernarg_segment_ptr 1
		.amdhsa_user_sgpr_dispatch_id 0
		.amdhsa_user_sgpr_flat_scratch_init 0
		.amdhsa_user_sgpr_private_segment_size 0
		.amdhsa_uses_dynamic_stack 0
		.amdhsa_system_sgpr_private_segment_wavefront_offset 0
		.amdhsa_system_sgpr_workgroup_id_x 1
		.amdhsa_system_sgpr_workgroup_id_y 0
		.amdhsa_system_sgpr_workgroup_id_z 0
		.amdhsa_system_sgpr_workgroup_info 0
		.amdhsa_system_vgpr_workitem_id 2
		.amdhsa_next_free_vgpr 35
		.amdhsa_next_free_sgpr 44
		.amdhsa_reserve_vcc 1
		.amdhsa_reserve_flat_scratch 0
		.amdhsa_float_round_mode_32 0
		.amdhsa_float_round_mode_16_64 0
		.amdhsa_float_denorm_mode_32 3
		.amdhsa_float_denorm_mode_16_64 3
		.amdhsa_dx10_clamp 1
		.amdhsa_ieee_mode 1
		.amdhsa_fp16_overflow 0
		.amdhsa_exception_fp_ieee_invalid_op 0
		.amdhsa_exception_fp_denorm_src 0
		.amdhsa_exception_fp_ieee_div_zero 0
		.amdhsa_exception_fp_ieee_overflow 0
		.amdhsa_exception_fp_ieee_underflow 0
		.amdhsa_exception_fp_ieee_inexact 0
		.amdhsa_exception_int_div_zero 0
	.end_amdhsa_kernel
	.section	.text._Z16sort_keys_kernelI22helper_blocked_blockediLj192ELj4ELj10EEvPKT0_PS1_,"axG",@progbits,_Z16sort_keys_kernelI22helper_blocked_blockediLj192ELj4ELj10EEvPKT0_PS1_,comdat
.Lfunc_end20:
	.size	_Z16sort_keys_kernelI22helper_blocked_blockediLj192ELj4ELj10EEvPKT0_PS1_, .Lfunc_end20-_Z16sort_keys_kernelI22helper_blocked_blockediLj192ELj4ELj10EEvPKT0_PS1_
                                        ; -- End function
	.set _Z16sort_keys_kernelI22helper_blocked_blockediLj192ELj4ELj10EEvPKT0_PS1_.num_vgpr, 35
	.set _Z16sort_keys_kernelI22helper_blocked_blockediLj192ELj4ELj10EEvPKT0_PS1_.num_agpr, 0
	.set _Z16sort_keys_kernelI22helper_blocked_blockediLj192ELj4ELj10EEvPKT0_PS1_.numbered_sgpr, 44
	.set _Z16sort_keys_kernelI22helper_blocked_blockediLj192ELj4ELj10EEvPKT0_PS1_.num_named_barrier, 0
	.set _Z16sort_keys_kernelI22helper_blocked_blockediLj192ELj4ELj10EEvPKT0_PS1_.private_seg_size, 0
	.set _Z16sort_keys_kernelI22helper_blocked_blockediLj192ELj4ELj10EEvPKT0_PS1_.uses_vcc, 1
	.set _Z16sort_keys_kernelI22helper_blocked_blockediLj192ELj4ELj10EEvPKT0_PS1_.uses_flat_scratch, 0
	.set _Z16sort_keys_kernelI22helper_blocked_blockediLj192ELj4ELj10EEvPKT0_PS1_.has_dyn_sized_stack, 0
	.set _Z16sort_keys_kernelI22helper_blocked_blockediLj192ELj4ELj10EEvPKT0_PS1_.has_recursion, 0
	.set _Z16sort_keys_kernelI22helper_blocked_blockediLj192ELj4ELj10EEvPKT0_PS1_.has_indirect_call, 0
	.section	.AMDGPU.csdata,"",@progbits
; Kernel info:
; codeLenInByte = 3040
; TotalNumSgprs: 48
; NumVgprs: 35
; ScratchSize: 0
; MemoryBound: 0
; FloatMode: 240
; IeeeMode: 1
; LDSByteSize: 3088 bytes/workgroup (compile time only)
; SGPRBlocks: 5
; VGPRBlocks: 8
; NumSGPRsForWavesPerEU: 48
; NumVGPRsForWavesPerEU: 35
; Occupancy: 7
; WaveLimiterHint : 1
; COMPUTE_PGM_RSRC2:SCRATCH_EN: 0
; COMPUTE_PGM_RSRC2:USER_SGPR: 6
; COMPUTE_PGM_RSRC2:TRAP_HANDLER: 0
; COMPUTE_PGM_RSRC2:TGID_X_EN: 1
; COMPUTE_PGM_RSRC2:TGID_Y_EN: 0
; COMPUTE_PGM_RSRC2:TGID_Z_EN: 0
; COMPUTE_PGM_RSRC2:TIDIG_COMP_CNT: 2
	.section	.text._Z17sort_pairs_kernelI22helper_blocked_blockediLj192ELj4ELj10EEvPKT0_PS1_,"axG",@progbits,_Z17sort_pairs_kernelI22helper_blocked_blockediLj192ELj4ELj10EEvPKT0_PS1_,comdat
	.protected	_Z17sort_pairs_kernelI22helper_blocked_blockediLj192ELj4ELj10EEvPKT0_PS1_ ; -- Begin function _Z17sort_pairs_kernelI22helper_blocked_blockediLj192ELj4ELj10EEvPKT0_PS1_
	.globl	_Z17sort_pairs_kernelI22helper_blocked_blockediLj192ELj4ELj10EEvPKT0_PS1_
	.p2align	8
	.type	_Z17sort_pairs_kernelI22helper_blocked_blockediLj192ELj4ELj10EEvPKT0_PS1_,@function
_Z17sort_pairs_kernelI22helper_blocked_blockediLj192ELj4ELj10EEvPKT0_PS1_: ; @_Z17sort_pairs_kernelI22helper_blocked_blockediLj192ELj4ELj10EEvPKT0_PS1_
; %bb.0:
	s_load_dwordx4 s[36:39], s[4:5], 0x0
	s_load_dword s33, s[4:5], 0x1c
	s_mul_i32 s42, s6, 0x300
	s_mov_b32 s43, 0
	s_lshl_b64 s[40:41], s[42:43], 2
	s_waitcnt lgkmcnt(0)
	s_add_u32 s0, s36, s40
	s_addc_u32 s1, s37, s41
	v_lshlrev_b32_e32 v3, 2, v0
	global_load_dword v9, v3, s[0:1]
	global_load_dword v8, v3, s[0:1] offset:768
	global_load_dword v7, v3, s[0:1] offset:1536
	global_load_dword v6, v3, s[0:1] offset:2304
	s_lshr_b32 s34, s33, 16
	s_and_b32 s33, s33, 0xffff
	v_mad_u32_u24 v1, v2, s34, v1
	v_mbcnt_lo_u32_b32 v3, -1, 0
	v_mad_u64_u32 v[1:2], s[34:35], v1, s33, v[0:1]
	v_mbcnt_hi_u32_b32 v3, -1, v3
	v_lshlrev_b32_e32 v11, 4, v0
	v_and_b32_e32 v4, 0xc0, v0
	v_lshrrev_b32_e32 v5, 4, v0
	v_lshrrev_b32_e32 v14, 2, v3
	v_and_b32_e32 v18, 64, v3
	v_and_b32_e32 v17, 15, v3
	;; [unrolled: 1-line block ×3, first 2 shown]
	v_subrev_co_u32_e64 v20, s[8:9], 1, v3
	v_min_u32_e32 v4, 0x80, v4
	v_and_b32_e32 v12, 12, v5
	v_and_b32_e32 v5, 0xc00, v11
	v_cmp_eq_u32_e64 s[10:11], 0, v17
	v_cmp_lt_u32_e64 s[12:13], 1, v17
	v_cmp_lt_u32_e64 s[14:15], 3, v17
	;; [unrolled: 1-line block ×3, first 2 shown]
	v_cmp_eq_u32_e64 s[18:19], 0, v19
	v_or_b32_e32 v17, v14, v18
	v_add_u32_e32 v19, 48, v14
	v_cmp_lt_i32_e32 vcc, v20, v18
	v_mul_u32_u24_e32 v15, 12, v0
	v_and_b32_e32 v16, 3, v3
	v_cmp_lt_u32_e64 s[6:7], 31, v3
	v_mad_i32_i24 v13, v0, -12, v11
	v_or_b32_e32 v4, 63, v4
	v_cndmask_b32_e32 v20, v20, v3, vcc
	v_lshl_or_b32 v14, v3, 2, v5
	v_lshlrev_b32_e32 v17, 2, v17
	v_and_or_b32 v3, v19, 63, v18
	v_lshrrev_b32_e32 v1, 4, v1
	v_mov_b32_e32 v10, 12
	v_cmp_gt_u32_e64 s[0:1], 3, v0
	v_cmp_lt_u32_e64 s[2:3], 63, v0
	v_cmp_eq_u32_e64 s[4:5], 0, v0
	v_cmp_eq_u32_e64 s[20:21], 3, v16
	;; [unrolled: 1-line block ×5, first 2 shown]
	v_cmp_lt_u32_e64 s[28:29], 1, v16
	v_add_u32_e32 v15, v13, v15
	v_add_u32_e32 v16, -4, v12
	v_cmp_eq_u32_e64 s[30:31], v0, v4
	v_lshlrev_b32_e32 v18, 2, v20
	v_lshlrev_b32_e32 v19, 2, v3
	v_add_u32_e32 v20, 64, v17
	v_or_b32_e32 v21, 0x80, v17
	v_and_b32_e32 v22, 0xffffffc, v1
	v_mov_b32_e32 v5, 0
	s_waitcnt vmcnt(3)
	v_add_u32_e32 v1, 1, v9
	s_waitcnt vmcnt(2)
	v_add_u32_e32 v2, 1, v8
	;; [unrolled: 2-line block ×4, first 2 shown]
	s_branch .LBB21_2
.LBB21_1:                               ;   in Loop: Header=BB21_2 Depth=1
	v_lshlrev_b32_e32 v1, 2, v38
	v_lshlrev_b32_e32 v2, 2, v36
	;; [unrolled: 1-line block ×4, first 2 shown]
	s_barrier
	ds_write_b32 v1, v31
	ds_write_b32 v2, v30
	;; [unrolled: 1-line block ×4, first 2 shown]
	s_waitcnt lgkmcnt(0)
	s_barrier
	ds_read2_b64 v[27:30], v15 offset1:1
	s_waitcnt lgkmcnt(0)
	s_barrier
	ds_write_b32 v1, v26
	ds_write_b32 v2, v25
	;; [unrolled: 1-line block ×4, first 2 shown]
	s_waitcnt lgkmcnt(0)
	s_barrier
	ds_read2_b64 v[1:4], v15 offset1:1
	s_add_i32 s43, s43, 1
	v_xor_b32_e32 v9, 0x80000000, v27
	v_xor_b32_e32 v8, 0x80000000, v28
	;; [unrolled: 1-line block ×3, first 2 shown]
	s_cmp_eq_u32 s43, 10
	v_xor_b32_e32 v6, 0x80000000, v30
	s_cbranch_scc1 .LBB21_20
.LBB21_2:                               ; =>This Loop Header: Depth=1
                                        ;     Child Loop BB21_4 Depth 2
	v_xor_b32_e32 v9, 0x80000000, v9
	s_waitcnt lgkmcnt(0)
	ds_bpermute_b32 v23, v17, v1
	ds_bpermute_b32 v25, v17, v3
	;; [unrolled: 1-line block ×9, first 2 shown]
	v_xor_b32_e32 v3, 0x80000000, v8
	ds_bpermute_b32 v24, v17, v2
	ds_bpermute_b32 v28, v20, v2
	;; [unrolled: 1-line block ×10, first 2 shown]
	v_xor_b32_e32 v4, 0x80000000, v7
	ds_bpermute_b32 v39, v20, v3
	s_waitcnt lgkmcnt(12)
	v_cndmask_b32_e64 v1, 0, v1, s[26:27]
	ds_bpermute_b32 v40, v20, v4
	v_xor_b32_e32 v6, 0x80000000, v6
	ds_bpermute_b32 v7, v17, v4
	s_waitcnt lgkmcnt(8)
	v_cndmask_b32_e64 v1, v1, v2, s[24:25]
	s_waitcnt lgkmcnt(7)
	v_cndmask_b32_e64 v2, 0, v8, s[26:27]
	ds_bpermute_b32 v8, v20, v6
	s_waitcnt lgkmcnt(3)
	v_cndmask_b32_e64 v2, v2, v39, s[24:25]
	s_waitcnt lgkmcnt(2)
	v_cndmask_b32_e64 v2, v2, v40, s[22:23]
	;; [unrolled: 2-line block ×3, first 2 shown]
	ds_bpermute_b32 v7, v17, v6
	ds_bpermute_b32 v39, v21, v9
	s_waitcnt lgkmcnt(2)
	v_cndmask_b32_e64 v2, v2, v8, s[20:21]
	ds_bpermute_b32 v8, v19, v9
	ds_bpermute_b32 v40, v21, v3
	;; [unrolled: 1-line block ×7, first 2 shown]
	s_waitcnt lgkmcnt(8)
	v_cndmask_b32_e64 v1, v1, v7, s[20:21]
	s_waitcnt lgkmcnt(7)
	v_cndmask_b32_e64 v7, 0, v39, s[26:27]
	;; [unrolled: 2-line block ×9, first 2 shown]
	v_cndmask_b32_e64 v6, 0, v23, s[26:27]
	v_cndmask_b32_e64 v7, 0, v27, s[26:27]
	;; [unrolled: 1-line block ×16, first 2 shown]
	v_mov_b32_e32 v28, v5
	s_barrier
	s_branch .LBB21_4
.LBB21_3:                               ;   in Loop: Header=BB21_4 Depth=2
	s_andn2_b64 vcc, exec, s[34:35]
	s_cbranch_vccz .LBB21_1
.LBB21_4:                               ;   Parent Loop BB21_2 Depth=1
                                        ; =>  This Inner Loop Header: Depth=2
	v_mov_b32_e32 v31, v1
	v_lshrrev_b32_e32 v1, v28, v31
	v_mov_b32_e32 v30, v2
	v_and_b32_e32 v2, 1, v1
	v_mov_b32_e32 v27, v4
	v_add_co_u32_e32 v4, vcc, -1, v2
	v_mov_b32_e32 v26, v6
	v_addc_co_u32_e64 v6, s[34:35], 0, -1, vcc
	v_cmp_ne_u32_e32 vcc, 0, v2
	v_xor_b32_e32 v2, vcc_hi, v6
	v_lshlrev_b32_e32 v6, 30, v1
	v_xor_b32_e32 v4, vcc_lo, v4
	v_cmp_gt_i64_e32 vcc, 0, v[5:6]
	v_not_b32_e32 v6, v6
	v_ashrrev_i32_e32 v6, 31, v6
	v_mov_b32_e32 v25, v7
	v_and_b32_e32 v4, exec_lo, v4
	v_xor_b32_e32 v7, vcc_hi, v6
	v_xor_b32_e32 v6, vcc_lo, v6
	v_and_b32_e32 v4, v4, v6
	v_lshlrev_b32_e32 v6, 29, v1
	v_cmp_gt_i64_e32 vcc, 0, v[5:6]
	v_not_b32_e32 v6, v6
	v_and_b32_e32 v2, exec_hi, v2
	v_ashrrev_i32_e32 v6, 31, v6
	v_and_b32_e32 v2, v2, v7
	v_xor_b32_e32 v7, vcc_hi, v6
	v_xor_b32_e32 v6, vcc_lo, v6
	v_and_b32_e32 v4, v4, v6
	v_lshlrev_b32_e32 v6, 28, v1
	v_cmp_gt_i64_e32 vcc, 0, v[5:6]
	v_not_b32_e32 v6, v6
	v_ashrrev_i32_e32 v6, 31, v6
	v_and_b32_e32 v2, v2, v7
	v_xor_b32_e32 v7, vcc_hi, v6
	v_xor_b32_e32 v6, vcc_lo, v6
	v_and_b32_e32 v4, v4, v6
	v_lshlrev_b32_e32 v6, 27, v1
	v_cmp_gt_i64_e32 vcc, 0, v[5:6]
	v_not_b32_e32 v6, v6
	;; [unrolled: 8-line block ×4, first 2 shown]
	v_ashrrev_i32_e32 v6, 31, v6
	v_and_b32_e32 v2, v2, v7
	v_xor_b32_e32 v7, vcc_hi, v6
	v_xor_b32_e32 v6, vcc_lo, v6
	v_and_b32_e32 v4, v4, v6
	v_lshlrev_b32_e32 v6, 24, v1
	v_mov_b32_e32 v29, v3
	v_mul_u32_u24_sdwa v3, v1, v10 dst_sel:DWORD dst_unused:UNUSED_PAD src0_sel:BYTE_0 src1_sel:DWORD
	v_cmp_gt_i64_e32 vcc, 0, v[5:6]
	v_not_b32_e32 v1, v6
	v_ashrrev_i32_e32 v1, 31, v1
	v_xor_b32_e32 v6, vcc_hi, v1
	v_xor_b32_e32 v1, vcc_lo, v1
	v_and_b32_e32 v2, v2, v7
	v_and_b32_e32 v1, v4, v1
	;; [unrolled: 1-line block ×3, first 2 shown]
	v_mbcnt_lo_u32_b32 v4, v1, 0
	v_mbcnt_hi_u32_b32 v7, v2, v4
	v_cmp_ne_u64_e32 vcc, 0, v[1:2]
	v_cmp_eq_u32_e64 s[34:35], 0, v7
	v_mov_b32_e32 v23, v9
	v_mov_b32_e32 v24, v8
	s_and_b64 s[36:37], vcc, s[34:35]
	v_add_u32_e32 v8, v22, v3
	ds_write2_b32 v11, v5, v5 offset0:3 offset1:4
	ds_write2_b32 v11, v5, v5 offset0:5 offset1:6
	s_waitcnt lgkmcnt(0)
	s_barrier
	; wave barrier
	s_and_saveexec_b64 s[34:35], s[36:37]
; %bb.5:                                ;   in Loop: Header=BB21_4 Depth=2
	v_bcnt_u32_b32 v1, v1, 0
	v_bcnt_u32_b32 v1, v2, v1
	ds_write_b32 v8, v1 offset:12
; %bb.6:                                ;   in Loop: Header=BB21_4 Depth=2
	s_or_b64 exec, exec, s[34:35]
	v_lshrrev_b32_e32 v1, v28, v30
	v_and_b32_e32 v2, 0xff, v1
	v_mul_u32_u24_e32 v3, 12, v2
	v_mad_u32_u24 v2, v2, 12, v22
	; wave barrier
	ds_read_b32 v9, v2 offset:12
	v_and_b32_e32 v2, 1, v1
	v_add_co_u32_e32 v4, vcc, -1, v2
	v_addc_co_u32_e64 v6, s[34:35], 0, -1, vcc
	v_cmp_ne_u32_e32 vcc, 0, v2
	v_xor_b32_e32 v2, vcc_hi, v6
	v_lshlrev_b32_e32 v6, 30, v1
	v_xor_b32_e32 v4, vcc_lo, v4
	v_cmp_gt_i64_e32 vcc, 0, v[5:6]
	v_not_b32_e32 v6, v6
	v_ashrrev_i32_e32 v6, 31, v6
	v_and_b32_e32 v4, exec_lo, v4
	v_xor_b32_e32 v32, vcc_hi, v6
	v_xor_b32_e32 v6, vcc_lo, v6
	v_and_b32_e32 v4, v4, v6
	v_lshlrev_b32_e32 v6, 29, v1
	v_cmp_gt_i64_e32 vcc, 0, v[5:6]
	v_not_b32_e32 v6, v6
	v_and_b32_e32 v2, exec_hi, v2
	v_ashrrev_i32_e32 v6, 31, v6
	v_and_b32_e32 v2, v2, v32
	v_xor_b32_e32 v32, vcc_hi, v6
	v_xor_b32_e32 v6, vcc_lo, v6
	v_and_b32_e32 v4, v4, v6
	v_lshlrev_b32_e32 v6, 28, v1
	v_cmp_gt_i64_e32 vcc, 0, v[5:6]
	v_not_b32_e32 v6, v6
	v_ashrrev_i32_e32 v6, 31, v6
	v_and_b32_e32 v2, v2, v32
	v_xor_b32_e32 v32, vcc_hi, v6
	v_xor_b32_e32 v6, vcc_lo, v6
	v_and_b32_e32 v4, v4, v6
	v_lshlrev_b32_e32 v6, 27, v1
	v_cmp_gt_i64_e32 vcc, 0, v[5:6]
	v_not_b32_e32 v6, v6
	;; [unrolled: 8-line block ×5, first 2 shown]
	v_ashrrev_i32_e32 v1, 31, v1
	v_xor_b32_e32 v6, vcc_hi, v1
	v_xor_b32_e32 v1, vcc_lo, v1
	v_and_b32_e32 v2, v2, v32
	v_and_b32_e32 v1, v4, v1
	;; [unrolled: 1-line block ×3, first 2 shown]
	v_mbcnt_lo_u32_b32 v4, v1, 0
	v_mbcnt_hi_u32_b32 v32, v2, v4
	v_cmp_ne_u64_e32 vcc, 0, v[1:2]
	v_cmp_eq_u32_e64 s[34:35], 0, v32
	s_and_b64 s[36:37], vcc, s[34:35]
	v_add_u32_e32 v33, v22, v3
	; wave barrier
	s_and_saveexec_b64 s[34:35], s[36:37]
	s_cbranch_execz .LBB21_8
; %bb.7:                                ;   in Loop: Header=BB21_4 Depth=2
	v_bcnt_u32_b32 v1, v1, 0
	v_bcnt_u32_b32 v1, v2, v1
	s_waitcnt lgkmcnt(0)
	v_add_u32_e32 v1, v9, v1
	ds_write_b32 v33, v1 offset:12
.LBB21_8:                               ;   in Loop: Header=BB21_4 Depth=2
	s_or_b64 exec, exec, s[34:35]
	v_lshrrev_b32_e32 v1, v28, v29
	v_and_b32_e32 v2, 0xff, v1
	v_mul_u32_u24_e32 v3, 12, v2
	v_mad_u32_u24 v2, v2, 12, v22
	; wave barrier
	ds_read_b32 v34, v2 offset:12
	v_and_b32_e32 v2, 1, v1
	v_add_co_u32_e32 v4, vcc, -1, v2
	v_addc_co_u32_e64 v6, s[34:35], 0, -1, vcc
	v_cmp_ne_u32_e32 vcc, 0, v2
	v_xor_b32_e32 v2, vcc_hi, v6
	v_lshlrev_b32_e32 v6, 30, v1
	v_xor_b32_e32 v4, vcc_lo, v4
	v_cmp_gt_i64_e32 vcc, 0, v[5:6]
	v_not_b32_e32 v6, v6
	v_ashrrev_i32_e32 v6, 31, v6
	v_and_b32_e32 v4, exec_lo, v4
	v_xor_b32_e32 v35, vcc_hi, v6
	v_xor_b32_e32 v6, vcc_lo, v6
	v_and_b32_e32 v4, v4, v6
	v_lshlrev_b32_e32 v6, 29, v1
	v_cmp_gt_i64_e32 vcc, 0, v[5:6]
	v_not_b32_e32 v6, v6
	v_and_b32_e32 v2, exec_hi, v2
	v_ashrrev_i32_e32 v6, 31, v6
	v_and_b32_e32 v2, v2, v35
	v_xor_b32_e32 v35, vcc_hi, v6
	v_xor_b32_e32 v6, vcc_lo, v6
	v_and_b32_e32 v4, v4, v6
	v_lshlrev_b32_e32 v6, 28, v1
	v_cmp_gt_i64_e32 vcc, 0, v[5:6]
	v_not_b32_e32 v6, v6
	v_ashrrev_i32_e32 v6, 31, v6
	v_and_b32_e32 v2, v2, v35
	v_xor_b32_e32 v35, vcc_hi, v6
	v_xor_b32_e32 v6, vcc_lo, v6
	v_and_b32_e32 v4, v4, v6
	v_lshlrev_b32_e32 v6, 27, v1
	v_cmp_gt_i64_e32 vcc, 0, v[5:6]
	v_not_b32_e32 v6, v6
	;; [unrolled: 8-line block ×5, first 2 shown]
	v_ashrrev_i32_e32 v1, 31, v1
	v_xor_b32_e32 v6, vcc_hi, v1
	v_xor_b32_e32 v1, vcc_lo, v1
	v_and_b32_e32 v2, v2, v35
	v_and_b32_e32 v1, v4, v1
	;; [unrolled: 1-line block ×3, first 2 shown]
	v_mbcnt_lo_u32_b32 v4, v1, 0
	v_mbcnt_hi_u32_b32 v35, v2, v4
	v_cmp_ne_u64_e32 vcc, 0, v[1:2]
	v_cmp_eq_u32_e64 s[34:35], 0, v35
	s_and_b64 s[36:37], vcc, s[34:35]
	v_add_u32_e32 v36, v22, v3
	; wave barrier
	s_and_saveexec_b64 s[34:35], s[36:37]
	s_cbranch_execz .LBB21_10
; %bb.9:                                ;   in Loop: Header=BB21_4 Depth=2
	v_bcnt_u32_b32 v1, v1, 0
	v_bcnt_u32_b32 v1, v2, v1
	s_waitcnt lgkmcnt(0)
	v_add_u32_e32 v1, v34, v1
	ds_write_b32 v36, v1 offset:12
.LBB21_10:                              ;   in Loop: Header=BB21_4 Depth=2
	s_or_b64 exec, exec, s[34:35]
	v_lshrrev_b32_e32 v1, v28, v27
	v_and_b32_e32 v2, 0xff, v1
	v_mul_u32_u24_e32 v3, 12, v2
	v_mad_u32_u24 v2, v2, 12, v22
	; wave barrier
	ds_read_b32 v37, v2 offset:12
	v_and_b32_e32 v2, 1, v1
	v_add_co_u32_e32 v4, vcc, -1, v2
	v_addc_co_u32_e64 v6, s[34:35], 0, -1, vcc
	v_cmp_ne_u32_e32 vcc, 0, v2
	v_xor_b32_e32 v2, vcc_hi, v6
	v_lshlrev_b32_e32 v6, 30, v1
	v_xor_b32_e32 v4, vcc_lo, v4
	v_cmp_gt_i64_e32 vcc, 0, v[5:6]
	v_not_b32_e32 v6, v6
	v_ashrrev_i32_e32 v6, 31, v6
	v_and_b32_e32 v4, exec_lo, v4
	v_xor_b32_e32 v38, vcc_hi, v6
	v_xor_b32_e32 v6, vcc_lo, v6
	v_and_b32_e32 v4, v4, v6
	v_lshlrev_b32_e32 v6, 29, v1
	v_cmp_gt_i64_e32 vcc, 0, v[5:6]
	v_not_b32_e32 v6, v6
	v_and_b32_e32 v2, exec_hi, v2
	v_ashrrev_i32_e32 v6, 31, v6
	v_and_b32_e32 v2, v2, v38
	v_xor_b32_e32 v38, vcc_hi, v6
	v_xor_b32_e32 v6, vcc_lo, v6
	v_and_b32_e32 v4, v4, v6
	v_lshlrev_b32_e32 v6, 28, v1
	v_cmp_gt_i64_e32 vcc, 0, v[5:6]
	v_not_b32_e32 v6, v6
	v_ashrrev_i32_e32 v6, 31, v6
	v_and_b32_e32 v2, v2, v38
	v_xor_b32_e32 v38, vcc_hi, v6
	v_xor_b32_e32 v6, vcc_lo, v6
	v_and_b32_e32 v4, v4, v6
	v_lshlrev_b32_e32 v6, 27, v1
	v_cmp_gt_i64_e32 vcc, 0, v[5:6]
	v_not_b32_e32 v6, v6
	;; [unrolled: 8-line block ×5, first 2 shown]
	v_ashrrev_i32_e32 v1, 31, v1
	v_xor_b32_e32 v6, vcc_hi, v1
	v_xor_b32_e32 v1, vcc_lo, v1
	v_and_b32_e32 v2, v2, v38
	v_and_b32_e32 v1, v4, v1
	;; [unrolled: 1-line block ×3, first 2 shown]
	v_mbcnt_lo_u32_b32 v4, v1, 0
	v_mbcnt_hi_u32_b32 v6, v2, v4
	v_cmp_ne_u64_e32 vcc, 0, v[1:2]
	v_cmp_eq_u32_e64 s[34:35], 0, v6
	s_and_b64 s[36:37], vcc, s[34:35]
	v_add_u32_e32 v38, v22, v3
	; wave barrier
	s_and_saveexec_b64 s[34:35], s[36:37]
	s_cbranch_execz .LBB21_12
; %bb.11:                               ;   in Loop: Header=BB21_4 Depth=2
	v_bcnt_u32_b32 v1, v1, 0
	v_bcnt_u32_b32 v1, v2, v1
	s_waitcnt lgkmcnt(0)
	v_add_u32_e32 v1, v37, v1
	ds_write_b32 v38, v1 offset:12
.LBB21_12:                              ;   in Loop: Header=BB21_4 Depth=2
	s_or_b64 exec, exec, s[34:35]
	; wave barrier
	s_waitcnt lgkmcnt(0)
	s_barrier
	ds_read2_b32 v[3:4], v11 offset0:3 offset1:4
	ds_read2_b32 v[1:2], v11 offset0:5 offset1:6
	s_waitcnt lgkmcnt(1)
	v_add_u32_e32 v39, v4, v3
	s_waitcnt lgkmcnt(0)
	v_add3_u32 v2, v39, v1, v2
	s_nop 1
	v_mov_b32_dpp v39, v2 row_shr:1 row_mask:0xf bank_mask:0xf
	v_cndmask_b32_e64 v39, v39, 0, s[10:11]
	v_add_u32_e32 v2, v39, v2
	s_nop 1
	v_mov_b32_dpp v39, v2 row_shr:2 row_mask:0xf bank_mask:0xf
	v_cndmask_b32_e64 v39, 0, v39, s[12:13]
	v_add_u32_e32 v2, v2, v39
	;; [unrolled: 4-line block ×4, first 2 shown]
	s_nop 1
	v_mov_b32_dpp v39, v2 row_bcast:15 row_mask:0xf bank_mask:0xf
	v_cndmask_b32_e64 v39, v39, 0, s[18:19]
	v_add_u32_e32 v2, v2, v39
	s_nop 1
	v_mov_b32_dpp v39, v2 row_bcast:31 row_mask:0xf bank_mask:0xf
	v_cndmask_b32_e64 v39, 0, v39, s[6:7]
	v_add_u32_e32 v2, v2, v39
	s_and_saveexec_b64 s[34:35], s[30:31]
; %bb.13:                               ;   in Loop: Header=BB21_4 Depth=2
	ds_write_b32 v12, v2
; %bb.14:                               ;   in Loop: Header=BB21_4 Depth=2
	s_or_b64 exec, exec, s[34:35]
	s_waitcnt lgkmcnt(0)
	s_barrier
	s_and_saveexec_b64 s[34:35], s[0:1]
	s_cbranch_execz .LBB21_16
; %bb.15:                               ;   in Loop: Header=BB21_4 Depth=2
	ds_read_b32 v39, v13
	s_waitcnt lgkmcnt(0)
	s_nop 0
	v_mov_b32_dpp v40, v39 row_shr:1 row_mask:0xf bank_mask:0xf
	v_cndmask_b32_e64 v40, v40, 0, s[26:27]
	v_add_u32_e32 v39, v40, v39
	s_nop 1
	v_mov_b32_dpp v40, v39 row_shr:2 row_mask:0xf bank_mask:0xf
	v_cndmask_b32_e64 v40, 0, v40, s[28:29]
	v_add_u32_e32 v39, v39, v40
	ds_write_b32 v13, v39
.LBB21_16:                              ;   in Loop: Header=BB21_4 Depth=2
	s_or_b64 exec, exec, s[34:35]
	v_mov_b32_e32 v39, 0
	s_waitcnt lgkmcnt(0)
	s_barrier
	s_and_saveexec_b64 s[34:35], s[2:3]
; %bb.17:                               ;   in Loop: Header=BB21_4 Depth=2
	ds_read_b32 v39, v16
; %bb.18:                               ;   in Loop: Header=BB21_4 Depth=2
	s_or_b64 exec, exec, s[34:35]
	s_waitcnt lgkmcnt(0)
	v_add_u32_e32 v2, v39, v2
	ds_bpermute_b32 v2, v18, v2
	v_cmp_lt_u32_e32 vcc, 23, v28
	s_and_b64 vcc, exec, vcc
	s_mov_b64 s[34:35], -1
	s_waitcnt lgkmcnt(0)
	v_cndmask_b32_e64 v2, v2, v39, s[8:9]
	v_cndmask_b32_e64 v2, v2, 0, s[4:5]
	v_add_u32_e32 v3, v2, v3
	v_add_u32_e32 v4, v3, v4
	;; [unrolled: 1-line block ×3, first 2 shown]
	ds_write2_b32 v11, v2, v3 offset0:3 offset1:4
	ds_write2_b32 v11, v4, v1 offset0:5 offset1:6
	s_waitcnt lgkmcnt(0)
	s_barrier
	ds_read_b32 v1, v8 offset:12
	ds_read_b32 v2, v33 offset:12
	;; [unrolled: 1-line block ×4, first 2 shown]
	s_waitcnt lgkmcnt(3)
	v_add_u32_e32 v38, v1, v7
	s_waitcnt lgkmcnt(2)
	v_add3_u32 v36, v32, v9, v2
	s_waitcnt lgkmcnt(1)
	v_add3_u32 v33, v35, v34, v3
	;; [unrolled: 2-line block ×3, first 2 shown]
                                        ; implicit-def: $vgpr4
                                        ; implicit-def: $vgpr2
                                        ; implicit-def: $vgpr9
                                        ; implicit-def: $vgpr7
	s_cbranch_vccnz .LBB21_3
; %bb.19:                               ;   in Loop: Header=BB21_4 Depth=2
	v_lshlrev_b32_e32 v6, 2, v38
	v_lshlrev_b32_e32 v7, 2, v36
	;; [unrolled: 1-line block ×4, first 2 shown]
	s_barrier
	ds_write_b32 v6, v31
	ds_write_b32 v7, v30
	;; [unrolled: 1-line block ×4, first 2 shown]
	s_waitcnt lgkmcnt(0)
	s_barrier
	ds_read2st64_b32 v[1:2], v14 offset1:1
	ds_read2st64_b32 v[3:4], v14 offset0:2 offset1:3
	s_waitcnt lgkmcnt(0)
	s_barrier
	ds_write_b32 v6, v26
	ds_write_b32 v7, v25
	;; [unrolled: 1-line block ×4, first 2 shown]
	s_waitcnt lgkmcnt(0)
	s_barrier
	ds_read2st64_b32 v[6:7], v14 offset1:1
	ds_read2st64_b32 v[8:9], v14 offset0:2 offset1:3
	v_add_u32_e32 v28, 8, v28
	s_mov_b64 s[34:35], 0
	s_waitcnt lgkmcnt(0)
	s_barrier
	s_branch .LBB21_3
.LBB21_20:
	s_add_u32 s0, s38, s40
	s_waitcnt lgkmcnt(0)
	v_add_u32_e32 v1, v9, v1
	s_addc_u32 s1, s39, s41
	v_lshlrev_b32_e32 v0, 2, v0
	v_add_u32_e32 v2, v8, v2
	v_add_u32_e32 v3, v7, v3
	;; [unrolled: 1-line block ×3, first 2 shown]
	global_store_dword v0, v1, s[0:1]
	global_store_dword v0, v2, s[0:1] offset:768
	global_store_dword v0, v3, s[0:1] offset:1536
	;; [unrolled: 1-line block ×3, first 2 shown]
	s_endpgm
	.section	.rodata,"a",@progbits
	.p2align	6, 0x0
	.amdhsa_kernel _Z17sort_pairs_kernelI22helper_blocked_blockediLj192ELj4ELj10EEvPKT0_PS1_
		.amdhsa_group_segment_fixed_size 3088
		.amdhsa_private_segment_fixed_size 0
		.amdhsa_kernarg_size 272
		.amdhsa_user_sgpr_count 6
		.amdhsa_user_sgpr_private_segment_buffer 1
		.amdhsa_user_sgpr_dispatch_ptr 0
		.amdhsa_user_sgpr_queue_ptr 0
		.amdhsa_user_sgpr_kernarg_segment_ptr 1
		.amdhsa_user_sgpr_dispatch_id 0
		.amdhsa_user_sgpr_flat_scratch_init 0
		.amdhsa_user_sgpr_private_segment_size 0
		.amdhsa_uses_dynamic_stack 0
		.amdhsa_system_sgpr_private_segment_wavefront_offset 0
		.amdhsa_system_sgpr_workgroup_id_x 1
		.amdhsa_system_sgpr_workgroup_id_y 0
		.amdhsa_system_sgpr_workgroup_id_z 0
		.amdhsa_system_sgpr_workgroup_info 0
		.amdhsa_system_vgpr_workitem_id 2
		.amdhsa_next_free_vgpr 42
		.amdhsa_next_free_sgpr 44
		.amdhsa_reserve_vcc 1
		.amdhsa_reserve_flat_scratch 0
		.amdhsa_float_round_mode_32 0
		.amdhsa_float_round_mode_16_64 0
		.amdhsa_float_denorm_mode_32 3
		.amdhsa_float_denorm_mode_16_64 3
		.amdhsa_dx10_clamp 1
		.amdhsa_ieee_mode 1
		.amdhsa_fp16_overflow 0
		.amdhsa_exception_fp_ieee_invalid_op 0
		.amdhsa_exception_fp_denorm_src 0
		.amdhsa_exception_fp_ieee_div_zero 0
		.amdhsa_exception_fp_ieee_overflow 0
		.amdhsa_exception_fp_ieee_underflow 0
		.amdhsa_exception_fp_ieee_inexact 0
		.amdhsa_exception_int_div_zero 0
	.end_amdhsa_kernel
	.section	.text._Z17sort_pairs_kernelI22helper_blocked_blockediLj192ELj4ELj10EEvPKT0_PS1_,"axG",@progbits,_Z17sort_pairs_kernelI22helper_blocked_blockediLj192ELj4ELj10EEvPKT0_PS1_,comdat
.Lfunc_end21:
	.size	_Z17sort_pairs_kernelI22helper_blocked_blockediLj192ELj4ELj10EEvPKT0_PS1_, .Lfunc_end21-_Z17sort_pairs_kernelI22helper_blocked_blockediLj192ELj4ELj10EEvPKT0_PS1_
                                        ; -- End function
	.set _Z17sort_pairs_kernelI22helper_blocked_blockediLj192ELj4ELj10EEvPKT0_PS1_.num_vgpr, 42
	.set _Z17sort_pairs_kernelI22helper_blocked_blockediLj192ELj4ELj10EEvPKT0_PS1_.num_agpr, 0
	.set _Z17sort_pairs_kernelI22helper_blocked_blockediLj192ELj4ELj10EEvPKT0_PS1_.numbered_sgpr, 44
	.set _Z17sort_pairs_kernelI22helper_blocked_blockediLj192ELj4ELj10EEvPKT0_PS1_.num_named_barrier, 0
	.set _Z17sort_pairs_kernelI22helper_blocked_blockediLj192ELj4ELj10EEvPKT0_PS1_.private_seg_size, 0
	.set _Z17sort_pairs_kernelI22helper_blocked_blockediLj192ELj4ELj10EEvPKT0_PS1_.uses_vcc, 1
	.set _Z17sort_pairs_kernelI22helper_blocked_blockediLj192ELj4ELj10EEvPKT0_PS1_.uses_flat_scratch, 0
	.set _Z17sort_pairs_kernelI22helper_blocked_blockediLj192ELj4ELj10EEvPKT0_PS1_.has_dyn_sized_stack, 0
	.set _Z17sort_pairs_kernelI22helper_blocked_blockediLj192ELj4ELj10EEvPKT0_PS1_.has_recursion, 0
	.set _Z17sort_pairs_kernelI22helper_blocked_blockediLj192ELj4ELj10EEvPKT0_PS1_.has_indirect_call, 0
	.section	.AMDGPU.csdata,"",@progbits
; Kernel info:
; codeLenInByte = 3468
; TotalNumSgprs: 48
; NumVgprs: 42
; ScratchSize: 0
; MemoryBound: 0
; FloatMode: 240
; IeeeMode: 1
; LDSByteSize: 3088 bytes/workgroup (compile time only)
; SGPRBlocks: 5
; VGPRBlocks: 10
; NumSGPRsForWavesPerEU: 48
; NumVGPRsForWavesPerEU: 42
; Occupancy: 5
; WaveLimiterHint : 1
; COMPUTE_PGM_RSRC2:SCRATCH_EN: 0
; COMPUTE_PGM_RSRC2:USER_SGPR: 6
; COMPUTE_PGM_RSRC2:TRAP_HANDLER: 0
; COMPUTE_PGM_RSRC2:TGID_X_EN: 1
; COMPUTE_PGM_RSRC2:TGID_Y_EN: 0
; COMPUTE_PGM_RSRC2:TGID_Z_EN: 0
; COMPUTE_PGM_RSRC2:TIDIG_COMP_CNT: 2
	.section	.text._Z16sort_keys_kernelI22helper_blocked_blockediLj192ELj8ELj10EEvPKT0_PS1_,"axG",@progbits,_Z16sort_keys_kernelI22helper_blocked_blockediLj192ELj8ELj10EEvPKT0_PS1_,comdat
	.protected	_Z16sort_keys_kernelI22helper_blocked_blockediLj192ELj8ELj10EEvPKT0_PS1_ ; -- Begin function _Z16sort_keys_kernelI22helper_blocked_blockediLj192ELj8ELj10EEvPKT0_PS1_
	.globl	_Z16sort_keys_kernelI22helper_blocked_blockediLj192ELj8ELj10EEvPKT0_PS1_
	.p2align	8
	.type	_Z16sort_keys_kernelI22helper_blocked_blockediLj192ELj8ELj10EEvPKT0_PS1_,@function
_Z16sort_keys_kernelI22helper_blocked_blockediLj192ELj8ELj10EEvPKT0_PS1_: ; @_Z16sort_keys_kernelI22helper_blocked_blockediLj192ELj8ELj10EEvPKT0_PS1_
; %bb.0:
	s_load_dwordx4 s[28:31], s[4:5], 0x0
	s_load_dword s2, s[4:5], 0x1c
	s_mul_i32 s34, s6, 0x600
	s_mov_b32 s35, 0
	s_lshl_b64 s[36:37], s[34:35], 2
	s_waitcnt lgkmcnt(0)
	s_add_u32 s0, s28, s36
	s_addc_u32 s1, s29, s37
	v_lshlrev_b32_e32 v8, 2, v0
	v_mov_b32_e32 v4, s1
	v_add_co_u32_e32 v5, vcc, s0, v8
	v_addc_co_u32_e32 v4, vcc, 0, v4, vcc
	s_movk_i32 s4, 0x1000
	v_add_co_u32_e32 v6, vcc, s4, v5
	v_addc_co_u32_e32 v7, vcc, 0, v4, vcc
	global_load_dword v23, v8, s[0:1]
	global_load_dword v24, v8, s[0:1] offset:768
	global_load_dword v25, v8, s[0:1] offset:1536
	global_load_dword v26, v8, s[0:1] offset:2304
	global_load_dword v27, v8, s[0:1] offset:3072
	global_load_dword v28, v8, s[0:1] offset:3840
	global_load_dword v4, v[6:7], off offset:512
	global_load_dword v5, v[6:7], off offset:1280
	s_lshr_b32 s0, s2, 16
	v_mbcnt_lo_u32_b32 v6, -1, 0
	s_and_b32 s1, s2, 0xffff
	v_mad_u32_u24 v1, v2, s0, v1
	v_mbcnt_hi_u32_b32 v18, -1, v6
	v_mad_u64_u32 v[1:2], s[0:1], v1, s1, v[0:1]
	s_movk_i32 s3, 0x600
	v_lshlrev_b32_e32 v7, 3, v0
	v_and_b32_e32 v2, 15, v18
	v_and_b32_e32 v16, 0xc0, v0
	v_and_or_b32 v14, v7, s3, v18
	v_cmp_eq_u32_e64 s[0:1], 0, v2
	v_cmp_lt_u32_e64 s[2:3], 1, v2
	v_cmp_lt_u32_e64 s[4:5], 3, v2
	;; [unrolled: 1-line block ×3, first 2 shown]
	v_and_b32_e32 v2, 16, v18
	v_cmp_eq_u32_e64 s[8:9], 0, v2
	v_min_u32_e32 v2, 0x80, v16
	v_add_u32_e32 v6, v18, v16
	v_or_b32_e32 v2, 63, v2
	v_and_b32_e32 v8, 0x1fc, v6
	v_cmp_eq_u32_e64 s[12:13], v0, v2
	v_subrev_co_u32_e64 v2, s[18:19], 1, v18
	v_and_b32_e32 v16, 64, v18
	v_lshl_add_u32 v6, v6, 5, v8
	v_lshrrev_b32_e32 v7, 3, v14
	v_lshlrev_b32_e32 v15, 2, v14
	v_add_u32_e32 v8, 64, v14
	v_or_b32_e32 v9, 0x80, v14
	v_add_u32_e32 v10, 0xc0, v14
	v_or_b32_e32 v11, 0x100, v14
	;; [unrolled: 2-line block ×3, first 2 shown]
	v_add_u32_e32 v14, 0x1c0, v14
	v_cmp_lt_i32_e32 vcc, v2, v16
	v_lshrrev_b32_e32 v8, 3, v8
	v_lshrrev_b32_e32 v9, 3, v9
	;; [unrolled: 1-line block ×7, first 2 shown]
	v_cndmask_b32_e32 v2, v2, v18, vcc
	v_and_b32_e32 v7, 0xcc, v7
	v_and_b32_e32 v8, 0xdc, v8
	v_and_b32_e32 v9, 0xdc, v9
	v_and_b32_e32 v10, 0xfc, v10
	v_and_b32_e32 v11, 0xec, v11
	v_and_b32_e32 v12, 0xfc, v12
	v_and_b32_e32 v13, 0xfc, v13
	v_and_b32_e32 v14, 0x1fc, v14
	v_lshlrev_b32_e32 v16, 2, v2
	v_lshrrev_b32_e32 v2, 4, v0
	v_lshrrev_b32_e32 v1, 4, v1
	v_add_u32_e32 v7, v7, v15
	v_add_u32_e32 v8, v8, v15
	;; [unrolled: 1-line block ×8, first 2 shown]
	v_lshlrev_b32_e32 v15, 4, v0
	v_cmp_lt_u32_e64 s[10:11], 31, v18
	v_and_b32_e32 v17, 12, v2
	v_mul_i32_i24_e32 v2, -12, v0
	v_and_b32_e32 v18, 3, v18
	v_and_b32_e32 v19, 0xffffffc, v1
	v_and_b32_e32 v1, 0xfc, v0
	v_mov_b32_e32 v3, 0
	v_cmp_gt_u32_e64 s[14:15], 3, v0
	v_cmp_lt_u32_e64 s[16:17], 63, v0
	v_cmp_eq_u32_e64 s[20:21], 0, v0
	v_cmp_eq_u32_e64 s[22:23], 0, v18
	v_cmp_lt_u32_e64 s[24:25], 1, v18
	v_add_u32_e32 v18, -4, v17
	v_lshl_add_u32 v20, v0, 5, v1
	v_add_u32_e32 v21, v15, v2
	v_mov_b32_e32 v22, 12
	s_branch .LBB22_2
.LBB22_1:                               ;   in Loop: Header=BB22_2 Depth=1
	v_lshrrev_b32_e32 v29, 3, v36
	v_and_b32_e32 v29, 0x1ffffffc, v29
	v_lshl_add_u32 v29, v36, 2, v29
	s_barrier
	ds_write_b32 v29, v31
	v_lshrrev_b32_e32 v29, 3, v32
	v_and_b32_e32 v29, 0x1ffffffc, v29
	v_lshl_add_u32 v29, v32, 2, v29
	ds_write_b32 v29, v30
	v_lshrrev_b32_e32 v29, 3, v5
	v_and_b32_e32 v29, 0x1ffffffc, v29
	v_lshl_add_u32 v5, v5, 2, v29
	;; [unrolled: 4-line block ×7, first 2 shown]
	ds_write_b32 v1, v23
	s_waitcnt lgkmcnt(0)
	s_barrier
	ds_read2_b32 v[1:2], v20 offset1:1
	ds_read2_b32 v[4:5], v20 offset0:2 offset1:3
	ds_read2_b32 v[27:28], v20 offset0:4 offset1:5
	;; [unrolled: 1-line block ×3, first 2 shown]
	s_add_i32 s35, s35, 1
	s_waitcnt lgkmcnt(3)
	v_xor_b32_e32 v23, 0x80000000, v1
	v_xor_b32_e32 v24, 0x80000000, v2
	s_waitcnt lgkmcnt(2)
	v_xor_b32_e32 v25, 0x80000000, v4
	v_xor_b32_e32 v26, 0x80000000, v5
	;; [unrolled: 3-line block ×3, first 2 shown]
	s_waitcnt lgkmcnt(0)
	v_xor_b32_e32 v4, 0x80000000, v29
	s_cmp_eq_u32 s35, 10
	v_xor_b32_e32 v5, 0x80000000, v30
	s_cbranch_scc1 .LBB22_28
.LBB22_2:                               ; =>This Loop Header: Depth=1
                                        ;     Child Loop BB22_4 Depth 2
	s_waitcnt vmcnt(7)
	v_xor_b32_e32 v1, 0x80000000, v23
	s_waitcnt vmcnt(6)
	v_xor_b32_e32 v2, 0x80000000, v24
	;; [unrolled: 2-line block ×8, first 2 shown]
	ds_write2_b32 v6, v1, v2 offset1:1
	ds_write2_b32 v6, v23, v24 offset0:2 offset1:3
	ds_write2_b32 v6, v25, v26 offset0:4 offset1:5
	;; [unrolled: 1-line block ×3, first 2 shown]
	; wave barrier
	ds_read_b32 v35, v7
	ds_read_b32 v37, v8 offset:256
	ds_read_b32 v38, v9 offset:512
	;; [unrolled: 1-line block ×7, first 2 shown]
	v_mov_b32_e32 v29, v3
	s_waitcnt lgkmcnt(0)
	s_barrier
	; wave barrier
	s_barrier
	s_branch .LBB22_4
.LBB22_3:                               ;   in Loop: Header=BB22_4 Depth=2
	s_andn2_b64 vcc, exec, s[26:27]
	s_cbranch_vccz .LBB22_1
.LBB22_4:                               ;   Parent Loop BB22_2 Depth=1
                                        ; =>  This Inner Loop Header: Depth=2
	v_mov_b32_e32 v31, v35
	v_lshrrev_b32_e32 v1, v29, v31
	v_and_b32_e32 v2, 1, v1
	v_add_co_u32_e32 v4, vcc, -1, v2
	v_addc_co_u32_e64 v32, s[26:27], 0, -1, vcc
	v_cmp_ne_u32_e32 vcc, 0, v2
	v_xor_b32_e32 v4, vcc_lo, v4
	v_xor_b32_e32 v2, vcc_hi, v32
	v_and_b32_e32 v32, exec_lo, v4
	v_lshlrev_b32_e32 v4, 30, v1
	v_cmp_gt_i64_e32 vcc, 0, v[3:4]
	v_not_b32_e32 v4, v4
	v_ashrrev_i32_e32 v4, 31, v4
	v_xor_b32_e32 v33, vcc_hi, v4
	v_xor_b32_e32 v4, vcc_lo, v4
	v_and_b32_e32 v32, v32, v4
	v_lshlrev_b32_e32 v4, 29, v1
	v_cmp_gt_i64_e32 vcc, 0, v[3:4]
	v_not_b32_e32 v4, v4
	v_and_b32_e32 v2, exec_hi, v2
	v_ashrrev_i32_e32 v4, 31, v4
	v_and_b32_e32 v2, v2, v33
	v_xor_b32_e32 v33, vcc_hi, v4
	v_xor_b32_e32 v4, vcc_lo, v4
	v_and_b32_e32 v32, v32, v4
	v_lshlrev_b32_e32 v4, 28, v1
	v_cmp_gt_i64_e32 vcc, 0, v[3:4]
	v_not_b32_e32 v4, v4
	v_ashrrev_i32_e32 v4, 31, v4
	v_and_b32_e32 v2, v2, v33
	v_xor_b32_e32 v33, vcc_hi, v4
	v_xor_b32_e32 v4, vcc_lo, v4
	v_and_b32_e32 v32, v32, v4
	v_lshlrev_b32_e32 v4, 27, v1
	v_cmp_gt_i64_e32 vcc, 0, v[3:4]
	v_not_b32_e32 v4, v4
	v_ashrrev_i32_e32 v4, 31, v4
	v_and_b32_e32 v2, v2, v33
	v_xor_b32_e32 v33, vcc_hi, v4
	v_xor_b32_e32 v4, vcc_lo, v4
	v_and_b32_e32 v32, v32, v4
	v_lshlrev_b32_e32 v4, 26, v1
	v_cmp_gt_i64_e32 vcc, 0, v[3:4]
	v_not_b32_e32 v4, v4
	v_ashrrev_i32_e32 v4, 31, v4
	v_and_b32_e32 v2, v2, v33
	v_xor_b32_e32 v33, vcc_hi, v4
	v_xor_b32_e32 v4, vcc_lo, v4
	v_and_b32_e32 v32, v32, v4
	v_lshlrev_b32_e32 v4, 25, v1
	v_cmp_gt_i64_e32 vcc, 0, v[3:4]
	v_not_b32_e32 v4, v4
	v_ashrrev_i32_e32 v4, 31, v4
	v_and_b32_e32 v2, v2, v33
	v_xor_b32_e32 v33, vcc_hi, v4
	v_xor_b32_e32 v4, vcc_lo, v4
	v_and_b32_e32 v32, v32, v4
	v_lshlrev_b32_e32 v4, 24, v1
	v_mul_u32_u24_sdwa v5, v1, v22 dst_sel:DWORD dst_unused:UNUSED_PAD src0_sel:BYTE_0 src1_sel:DWORD
	v_cmp_gt_i64_e32 vcc, 0, v[3:4]
	v_not_b32_e32 v1, v4
	v_ashrrev_i32_e32 v1, 31, v1
	v_xor_b32_e32 v4, vcc_hi, v1
	v_xor_b32_e32 v1, vcc_lo, v1
	v_and_b32_e32 v2, v2, v33
	v_and_b32_e32 v1, v32, v1
	;; [unrolled: 1-line block ×3, first 2 shown]
	v_mbcnt_lo_u32_b32 v4, v1, 0
	v_mbcnt_hi_u32_b32 v32, v2, v4
	v_cmp_ne_u64_e32 vcc, 0, v[1:2]
	v_cmp_eq_u32_e64 s[26:27], 0, v32
	v_mov_b32_e32 v23, v43
	v_mov_b32_e32 v24, v42
	v_mov_b32_e32 v25, v41
	v_mov_b32_e32 v26, v40
	v_mov_b32_e32 v27, v39
	v_mov_b32_e32 v28, v38
	v_mov_b32_e32 v30, v37
	s_and_b64 s[28:29], vcc, s[26:27]
	v_add_u32_e32 v33, v19, v5
	ds_write2_b32 v15, v3, v3 offset0:3 offset1:4
	ds_write2_b32 v15, v3, v3 offset0:5 offset1:6
	s_waitcnt lgkmcnt(0)
	s_barrier
	; wave barrier
	s_and_saveexec_b64 s[26:27], s[28:29]
; %bb.5:                                ;   in Loop: Header=BB22_4 Depth=2
	v_bcnt_u32_b32 v1, v1, 0
	v_bcnt_u32_b32 v1, v2, v1
	ds_write_b32 v33, v1 offset:12
; %bb.6:                                ;   in Loop: Header=BB22_4 Depth=2
	s_or_b64 exec, exec, s[26:27]
	v_lshrrev_b32_e32 v1, v29, v30
	v_and_b32_e32 v2, 0xff, v1
	v_mul_u32_u24_e32 v5, 12, v2
	v_mad_u32_u24 v2, v2, 12, v19
	; wave barrier
	ds_read_b32 v34, v2 offset:12
	v_and_b32_e32 v2, 1, v1
	v_add_co_u32_e32 v4, vcc, -1, v2
	v_addc_co_u32_e64 v35, s[26:27], 0, -1, vcc
	v_cmp_ne_u32_e32 vcc, 0, v2
	v_xor_b32_e32 v4, vcc_lo, v4
	v_xor_b32_e32 v2, vcc_hi, v35
	v_and_b32_e32 v35, exec_lo, v4
	v_lshlrev_b32_e32 v4, 30, v1
	v_cmp_gt_i64_e32 vcc, 0, v[3:4]
	v_not_b32_e32 v4, v4
	v_ashrrev_i32_e32 v4, 31, v4
	v_xor_b32_e32 v36, vcc_hi, v4
	v_xor_b32_e32 v4, vcc_lo, v4
	v_and_b32_e32 v35, v35, v4
	v_lshlrev_b32_e32 v4, 29, v1
	v_cmp_gt_i64_e32 vcc, 0, v[3:4]
	v_not_b32_e32 v4, v4
	v_and_b32_e32 v2, exec_hi, v2
	v_ashrrev_i32_e32 v4, 31, v4
	v_and_b32_e32 v2, v2, v36
	v_xor_b32_e32 v36, vcc_hi, v4
	v_xor_b32_e32 v4, vcc_lo, v4
	v_and_b32_e32 v35, v35, v4
	v_lshlrev_b32_e32 v4, 28, v1
	v_cmp_gt_i64_e32 vcc, 0, v[3:4]
	v_not_b32_e32 v4, v4
	v_ashrrev_i32_e32 v4, 31, v4
	v_and_b32_e32 v2, v2, v36
	v_xor_b32_e32 v36, vcc_hi, v4
	v_xor_b32_e32 v4, vcc_lo, v4
	v_and_b32_e32 v35, v35, v4
	v_lshlrev_b32_e32 v4, 27, v1
	v_cmp_gt_i64_e32 vcc, 0, v[3:4]
	v_not_b32_e32 v4, v4
	v_ashrrev_i32_e32 v4, 31, v4
	v_and_b32_e32 v2, v2, v36
	v_xor_b32_e32 v36, vcc_hi, v4
	v_xor_b32_e32 v4, vcc_lo, v4
	v_and_b32_e32 v35, v35, v4
	v_lshlrev_b32_e32 v4, 26, v1
	v_cmp_gt_i64_e32 vcc, 0, v[3:4]
	v_not_b32_e32 v4, v4
	v_ashrrev_i32_e32 v4, 31, v4
	v_and_b32_e32 v2, v2, v36
	v_xor_b32_e32 v36, vcc_hi, v4
	v_xor_b32_e32 v4, vcc_lo, v4
	v_and_b32_e32 v35, v35, v4
	v_lshlrev_b32_e32 v4, 25, v1
	v_cmp_gt_i64_e32 vcc, 0, v[3:4]
	v_not_b32_e32 v4, v4
	v_ashrrev_i32_e32 v4, 31, v4
	v_and_b32_e32 v2, v2, v36
	v_xor_b32_e32 v36, vcc_hi, v4
	v_xor_b32_e32 v4, vcc_lo, v4
	v_and_b32_e32 v35, v35, v4
	v_lshlrev_b32_e32 v4, 24, v1
	v_cmp_gt_i64_e32 vcc, 0, v[3:4]
	v_not_b32_e32 v1, v4
	v_ashrrev_i32_e32 v1, 31, v1
	v_xor_b32_e32 v4, vcc_hi, v1
	v_xor_b32_e32 v1, vcc_lo, v1
	v_and_b32_e32 v2, v2, v36
	v_and_b32_e32 v1, v35, v1
	;; [unrolled: 1-line block ×3, first 2 shown]
	v_mbcnt_lo_u32_b32 v4, v1, 0
	v_mbcnt_hi_u32_b32 v35, v2, v4
	v_cmp_ne_u64_e32 vcc, 0, v[1:2]
	v_cmp_eq_u32_e64 s[26:27], 0, v35
	s_and_b64 s[28:29], vcc, s[26:27]
	v_add_u32_e32 v36, v19, v5
	; wave barrier
	s_and_saveexec_b64 s[26:27], s[28:29]
	s_cbranch_execz .LBB22_8
; %bb.7:                                ;   in Loop: Header=BB22_4 Depth=2
	v_bcnt_u32_b32 v1, v1, 0
	v_bcnt_u32_b32 v1, v2, v1
	s_waitcnt lgkmcnt(0)
	v_add_u32_e32 v1, v34, v1
	ds_write_b32 v36, v1 offset:12
.LBB22_8:                               ;   in Loop: Header=BB22_4 Depth=2
	s_or_b64 exec, exec, s[26:27]
	v_lshrrev_b32_e32 v1, v29, v28
	v_and_b32_e32 v2, 0xff, v1
	v_mul_u32_u24_e32 v5, 12, v2
	v_mad_u32_u24 v2, v2, 12, v19
	; wave barrier
	ds_read_b32 v37, v2 offset:12
	v_and_b32_e32 v2, 1, v1
	v_add_co_u32_e32 v4, vcc, -1, v2
	v_addc_co_u32_e64 v38, s[26:27], 0, -1, vcc
	v_cmp_ne_u32_e32 vcc, 0, v2
	v_xor_b32_e32 v4, vcc_lo, v4
	v_xor_b32_e32 v2, vcc_hi, v38
	v_and_b32_e32 v38, exec_lo, v4
	v_lshlrev_b32_e32 v4, 30, v1
	v_cmp_gt_i64_e32 vcc, 0, v[3:4]
	v_not_b32_e32 v4, v4
	v_ashrrev_i32_e32 v4, 31, v4
	v_xor_b32_e32 v39, vcc_hi, v4
	v_xor_b32_e32 v4, vcc_lo, v4
	v_and_b32_e32 v38, v38, v4
	v_lshlrev_b32_e32 v4, 29, v1
	v_cmp_gt_i64_e32 vcc, 0, v[3:4]
	v_not_b32_e32 v4, v4
	v_and_b32_e32 v2, exec_hi, v2
	v_ashrrev_i32_e32 v4, 31, v4
	v_and_b32_e32 v2, v2, v39
	v_xor_b32_e32 v39, vcc_hi, v4
	v_xor_b32_e32 v4, vcc_lo, v4
	v_and_b32_e32 v38, v38, v4
	v_lshlrev_b32_e32 v4, 28, v1
	v_cmp_gt_i64_e32 vcc, 0, v[3:4]
	v_not_b32_e32 v4, v4
	v_ashrrev_i32_e32 v4, 31, v4
	v_and_b32_e32 v2, v2, v39
	v_xor_b32_e32 v39, vcc_hi, v4
	v_xor_b32_e32 v4, vcc_lo, v4
	v_and_b32_e32 v38, v38, v4
	v_lshlrev_b32_e32 v4, 27, v1
	v_cmp_gt_i64_e32 vcc, 0, v[3:4]
	v_not_b32_e32 v4, v4
	;; [unrolled: 8-line block ×5, first 2 shown]
	v_ashrrev_i32_e32 v1, 31, v1
	v_xor_b32_e32 v4, vcc_hi, v1
	v_xor_b32_e32 v1, vcc_lo, v1
	v_and_b32_e32 v2, v2, v39
	v_and_b32_e32 v1, v38, v1
	;; [unrolled: 1-line block ×3, first 2 shown]
	v_mbcnt_lo_u32_b32 v4, v1, 0
	v_mbcnt_hi_u32_b32 v38, v2, v4
	v_cmp_ne_u64_e32 vcc, 0, v[1:2]
	v_cmp_eq_u32_e64 s[26:27], 0, v38
	s_and_b64 s[28:29], vcc, s[26:27]
	v_add_u32_e32 v39, v19, v5
	; wave barrier
	s_and_saveexec_b64 s[26:27], s[28:29]
	s_cbranch_execz .LBB22_10
; %bb.9:                                ;   in Loop: Header=BB22_4 Depth=2
	v_bcnt_u32_b32 v1, v1, 0
	v_bcnt_u32_b32 v1, v2, v1
	s_waitcnt lgkmcnt(0)
	v_add_u32_e32 v1, v37, v1
	ds_write_b32 v39, v1 offset:12
.LBB22_10:                              ;   in Loop: Header=BB22_4 Depth=2
	s_or_b64 exec, exec, s[26:27]
	v_lshrrev_b32_e32 v1, v29, v27
	v_and_b32_e32 v2, 0xff, v1
	v_mul_u32_u24_e32 v5, 12, v2
	v_mad_u32_u24 v2, v2, 12, v19
	; wave barrier
	ds_read_b32 v40, v2 offset:12
	v_and_b32_e32 v2, 1, v1
	v_add_co_u32_e32 v4, vcc, -1, v2
	v_addc_co_u32_e64 v41, s[26:27], 0, -1, vcc
	v_cmp_ne_u32_e32 vcc, 0, v2
	v_xor_b32_e32 v4, vcc_lo, v4
	v_xor_b32_e32 v2, vcc_hi, v41
	v_and_b32_e32 v41, exec_lo, v4
	v_lshlrev_b32_e32 v4, 30, v1
	v_cmp_gt_i64_e32 vcc, 0, v[3:4]
	v_not_b32_e32 v4, v4
	v_ashrrev_i32_e32 v4, 31, v4
	v_xor_b32_e32 v42, vcc_hi, v4
	v_xor_b32_e32 v4, vcc_lo, v4
	v_and_b32_e32 v41, v41, v4
	v_lshlrev_b32_e32 v4, 29, v1
	v_cmp_gt_i64_e32 vcc, 0, v[3:4]
	v_not_b32_e32 v4, v4
	v_and_b32_e32 v2, exec_hi, v2
	v_ashrrev_i32_e32 v4, 31, v4
	v_and_b32_e32 v2, v2, v42
	v_xor_b32_e32 v42, vcc_hi, v4
	v_xor_b32_e32 v4, vcc_lo, v4
	v_and_b32_e32 v41, v41, v4
	v_lshlrev_b32_e32 v4, 28, v1
	v_cmp_gt_i64_e32 vcc, 0, v[3:4]
	v_not_b32_e32 v4, v4
	v_ashrrev_i32_e32 v4, 31, v4
	v_and_b32_e32 v2, v2, v42
	v_xor_b32_e32 v42, vcc_hi, v4
	v_xor_b32_e32 v4, vcc_lo, v4
	v_and_b32_e32 v41, v41, v4
	v_lshlrev_b32_e32 v4, 27, v1
	v_cmp_gt_i64_e32 vcc, 0, v[3:4]
	v_not_b32_e32 v4, v4
	;; [unrolled: 8-line block ×5, first 2 shown]
	v_ashrrev_i32_e32 v1, 31, v1
	v_xor_b32_e32 v4, vcc_hi, v1
	v_xor_b32_e32 v1, vcc_lo, v1
	v_and_b32_e32 v2, v2, v42
	v_and_b32_e32 v1, v41, v1
	;; [unrolled: 1-line block ×3, first 2 shown]
	v_mbcnt_lo_u32_b32 v4, v1, 0
	v_mbcnt_hi_u32_b32 v41, v2, v4
	v_cmp_ne_u64_e32 vcc, 0, v[1:2]
	v_cmp_eq_u32_e64 s[26:27], 0, v41
	s_and_b64 s[28:29], vcc, s[26:27]
	v_add_u32_e32 v42, v19, v5
	; wave barrier
	s_and_saveexec_b64 s[26:27], s[28:29]
	s_cbranch_execz .LBB22_12
; %bb.11:                               ;   in Loop: Header=BB22_4 Depth=2
	v_bcnt_u32_b32 v1, v1, 0
	v_bcnt_u32_b32 v1, v2, v1
	s_waitcnt lgkmcnt(0)
	v_add_u32_e32 v1, v40, v1
	ds_write_b32 v42, v1 offset:12
.LBB22_12:                              ;   in Loop: Header=BB22_4 Depth=2
	s_or_b64 exec, exec, s[26:27]
	v_lshrrev_b32_e32 v1, v29, v26
	v_and_b32_e32 v2, 0xff, v1
	v_mul_u32_u24_e32 v5, 12, v2
	v_mad_u32_u24 v2, v2, 12, v19
	; wave barrier
	ds_read_b32 v43, v2 offset:12
	v_and_b32_e32 v2, 1, v1
	v_add_co_u32_e32 v4, vcc, -1, v2
	v_addc_co_u32_e64 v44, s[26:27], 0, -1, vcc
	v_cmp_ne_u32_e32 vcc, 0, v2
	v_xor_b32_e32 v4, vcc_lo, v4
	v_xor_b32_e32 v2, vcc_hi, v44
	v_and_b32_e32 v44, exec_lo, v4
	v_lshlrev_b32_e32 v4, 30, v1
	v_cmp_gt_i64_e32 vcc, 0, v[3:4]
	v_not_b32_e32 v4, v4
	v_ashrrev_i32_e32 v4, 31, v4
	v_xor_b32_e32 v45, vcc_hi, v4
	v_xor_b32_e32 v4, vcc_lo, v4
	v_and_b32_e32 v44, v44, v4
	v_lshlrev_b32_e32 v4, 29, v1
	v_cmp_gt_i64_e32 vcc, 0, v[3:4]
	v_not_b32_e32 v4, v4
	v_and_b32_e32 v2, exec_hi, v2
	v_ashrrev_i32_e32 v4, 31, v4
	v_and_b32_e32 v2, v2, v45
	v_xor_b32_e32 v45, vcc_hi, v4
	v_xor_b32_e32 v4, vcc_lo, v4
	v_and_b32_e32 v44, v44, v4
	v_lshlrev_b32_e32 v4, 28, v1
	v_cmp_gt_i64_e32 vcc, 0, v[3:4]
	v_not_b32_e32 v4, v4
	v_ashrrev_i32_e32 v4, 31, v4
	v_and_b32_e32 v2, v2, v45
	v_xor_b32_e32 v45, vcc_hi, v4
	v_xor_b32_e32 v4, vcc_lo, v4
	v_and_b32_e32 v44, v44, v4
	v_lshlrev_b32_e32 v4, 27, v1
	v_cmp_gt_i64_e32 vcc, 0, v[3:4]
	v_not_b32_e32 v4, v4
	;; [unrolled: 8-line block ×5, first 2 shown]
	v_ashrrev_i32_e32 v1, 31, v1
	v_xor_b32_e32 v4, vcc_hi, v1
	v_xor_b32_e32 v1, vcc_lo, v1
	v_and_b32_e32 v2, v2, v45
	v_and_b32_e32 v1, v44, v1
	;; [unrolled: 1-line block ×3, first 2 shown]
	v_mbcnt_lo_u32_b32 v4, v1, 0
	v_mbcnt_hi_u32_b32 v44, v2, v4
	v_cmp_ne_u64_e32 vcc, 0, v[1:2]
	v_cmp_eq_u32_e64 s[26:27], 0, v44
	s_and_b64 s[28:29], vcc, s[26:27]
	v_add_u32_e32 v45, v19, v5
	; wave barrier
	s_and_saveexec_b64 s[26:27], s[28:29]
	s_cbranch_execz .LBB22_14
; %bb.13:                               ;   in Loop: Header=BB22_4 Depth=2
	v_bcnt_u32_b32 v1, v1, 0
	v_bcnt_u32_b32 v1, v2, v1
	s_waitcnt lgkmcnt(0)
	v_add_u32_e32 v1, v43, v1
	ds_write_b32 v45, v1 offset:12
.LBB22_14:                              ;   in Loop: Header=BB22_4 Depth=2
	s_or_b64 exec, exec, s[26:27]
	v_lshrrev_b32_e32 v1, v29, v25
	v_and_b32_e32 v2, 0xff, v1
	v_mul_u32_u24_e32 v5, 12, v2
	v_mad_u32_u24 v2, v2, 12, v19
	; wave barrier
	ds_read_b32 v46, v2 offset:12
	v_and_b32_e32 v2, 1, v1
	v_add_co_u32_e32 v4, vcc, -1, v2
	v_addc_co_u32_e64 v47, s[26:27], 0, -1, vcc
	v_cmp_ne_u32_e32 vcc, 0, v2
	v_xor_b32_e32 v4, vcc_lo, v4
	v_xor_b32_e32 v2, vcc_hi, v47
	v_and_b32_e32 v47, exec_lo, v4
	v_lshlrev_b32_e32 v4, 30, v1
	v_cmp_gt_i64_e32 vcc, 0, v[3:4]
	v_not_b32_e32 v4, v4
	v_ashrrev_i32_e32 v4, 31, v4
	v_xor_b32_e32 v48, vcc_hi, v4
	v_xor_b32_e32 v4, vcc_lo, v4
	v_and_b32_e32 v47, v47, v4
	v_lshlrev_b32_e32 v4, 29, v1
	v_cmp_gt_i64_e32 vcc, 0, v[3:4]
	v_not_b32_e32 v4, v4
	v_and_b32_e32 v2, exec_hi, v2
	v_ashrrev_i32_e32 v4, 31, v4
	v_and_b32_e32 v2, v2, v48
	v_xor_b32_e32 v48, vcc_hi, v4
	v_xor_b32_e32 v4, vcc_lo, v4
	v_and_b32_e32 v47, v47, v4
	v_lshlrev_b32_e32 v4, 28, v1
	v_cmp_gt_i64_e32 vcc, 0, v[3:4]
	v_not_b32_e32 v4, v4
	v_ashrrev_i32_e32 v4, 31, v4
	v_and_b32_e32 v2, v2, v48
	v_xor_b32_e32 v48, vcc_hi, v4
	v_xor_b32_e32 v4, vcc_lo, v4
	v_and_b32_e32 v47, v47, v4
	v_lshlrev_b32_e32 v4, 27, v1
	v_cmp_gt_i64_e32 vcc, 0, v[3:4]
	v_not_b32_e32 v4, v4
	;; [unrolled: 8-line block ×5, first 2 shown]
	v_ashrrev_i32_e32 v1, 31, v1
	v_xor_b32_e32 v4, vcc_hi, v1
	v_xor_b32_e32 v1, vcc_lo, v1
	v_and_b32_e32 v2, v2, v48
	v_and_b32_e32 v1, v47, v1
	;; [unrolled: 1-line block ×3, first 2 shown]
	v_mbcnt_lo_u32_b32 v4, v1, 0
	v_mbcnt_hi_u32_b32 v47, v2, v4
	v_cmp_ne_u64_e32 vcc, 0, v[1:2]
	v_cmp_eq_u32_e64 s[26:27], 0, v47
	s_and_b64 s[28:29], vcc, s[26:27]
	v_add_u32_e32 v48, v19, v5
	; wave barrier
	s_and_saveexec_b64 s[26:27], s[28:29]
	s_cbranch_execz .LBB22_16
; %bb.15:                               ;   in Loop: Header=BB22_4 Depth=2
	v_bcnt_u32_b32 v1, v1, 0
	v_bcnt_u32_b32 v1, v2, v1
	s_waitcnt lgkmcnt(0)
	v_add_u32_e32 v1, v46, v1
	ds_write_b32 v48, v1 offset:12
.LBB22_16:                              ;   in Loop: Header=BB22_4 Depth=2
	s_or_b64 exec, exec, s[26:27]
	v_lshrrev_b32_e32 v1, v29, v24
	v_and_b32_e32 v2, 0xff, v1
	v_mul_u32_u24_e32 v5, 12, v2
	v_mad_u32_u24 v2, v2, 12, v19
	; wave barrier
	ds_read_b32 v49, v2 offset:12
	v_and_b32_e32 v2, 1, v1
	v_add_co_u32_e32 v4, vcc, -1, v2
	v_addc_co_u32_e64 v50, s[26:27], 0, -1, vcc
	v_cmp_ne_u32_e32 vcc, 0, v2
	v_xor_b32_e32 v4, vcc_lo, v4
	v_xor_b32_e32 v2, vcc_hi, v50
	v_and_b32_e32 v50, exec_lo, v4
	v_lshlrev_b32_e32 v4, 30, v1
	v_cmp_gt_i64_e32 vcc, 0, v[3:4]
	v_not_b32_e32 v4, v4
	v_ashrrev_i32_e32 v4, 31, v4
	v_xor_b32_e32 v51, vcc_hi, v4
	v_xor_b32_e32 v4, vcc_lo, v4
	v_and_b32_e32 v50, v50, v4
	v_lshlrev_b32_e32 v4, 29, v1
	v_cmp_gt_i64_e32 vcc, 0, v[3:4]
	v_not_b32_e32 v4, v4
	v_and_b32_e32 v2, exec_hi, v2
	v_ashrrev_i32_e32 v4, 31, v4
	v_and_b32_e32 v2, v2, v51
	v_xor_b32_e32 v51, vcc_hi, v4
	v_xor_b32_e32 v4, vcc_lo, v4
	v_and_b32_e32 v50, v50, v4
	v_lshlrev_b32_e32 v4, 28, v1
	v_cmp_gt_i64_e32 vcc, 0, v[3:4]
	v_not_b32_e32 v4, v4
	v_ashrrev_i32_e32 v4, 31, v4
	v_and_b32_e32 v2, v2, v51
	v_xor_b32_e32 v51, vcc_hi, v4
	v_xor_b32_e32 v4, vcc_lo, v4
	v_and_b32_e32 v50, v50, v4
	v_lshlrev_b32_e32 v4, 27, v1
	v_cmp_gt_i64_e32 vcc, 0, v[3:4]
	v_not_b32_e32 v4, v4
	;; [unrolled: 8-line block ×5, first 2 shown]
	v_ashrrev_i32_e32 v1, 31, v1
	v_xor_b32_e32 v4, vcc_hi, v1
	v_xor_b32_e32 v1, vcc_lo, v1
	v_and_b32_e32 v2, v2, v51
	v_and_b32_e32 v1, v50, v1
	v_and_b32_e32 v2, v2, v4
	v_mbcnt_lo_u32_b32 v4, v1, 0
	v_mbcnt_hi_u32_b32 v50, v2, v4
	v_cmp_ne_u64_e32 vcc, 0, v[1:2]
	v_cmp_eq_u32_e64 s[26:27], 0, v50
	s_and_b64 s[28:29], vcc, s[26:27]
	v_add_u32_e32 v51, v19, v5
	; wave barrier
	s_and_saveexec_b64 s[26:27], s[28:29]
	s_cbranch_execz .LBB22_18
; %bb.17:                               ;   in Loop: Header=BB22_4 Depth=2
	v_bcnt_u32_b32 v1, v1, 0
	v_bcnt_u32_b32 v1, v2, v1
	s_waitcnt lgkmcnt(0)
	v_add_u32_e32 v1, v49, v1
	ds_write_b32 v51, v1 offset:12
.LBB22_18:                              ;   in Loop: Header=BB22_4 Depth=2
	s_or_b64 exec, exec, s[26:27]
	v_lshrrev_b32_e32 v1, v29, v23
	v_and_b32_e32 v2, 0xff, v1
	v_mul_u32_u24_e32 v5, 12, v2
	v_mad_u32_u24 v2, v2, 12, v19
	; wave barrier
	ds_read_b32 v52, v2 offset:12
	v_and_b32_e32 v2, 1, v1
	v_add_co_u32_e32 v4, vcc, -1, v2
	v_addc_co_u32_e64 v53, s[26:27], 0, -1, vcc
	v_cmp_ne_u32_e32 vcc, 0, v2
	v_xor_b32_e32 v4, vcc_lo, v4
	v_xor_b32_e32 v2, vcc_hi, v53
	v_and_b32_e32 v53, exec_lo, v4
	v_lshlrev_b32_e32 v4, 30, v1
	v_cmp_gt_i64_e32 vcc, 0, v[3:4]
	v_not_b32_e32 v4, v4
	v_ashrrev_i32_e32 v4, 31, v4
	v_xor_b32_e32 v54, vcc_hi, v4
	v_xor_b32_e32 v4, vcc_lo, v4
	v_and_b32_e32 v53, v53, v4
	v_lshlrev_b32_e32 v4, 29, v1
	v_cmp_gt_i64_e32 vcc, 0, v[3:4]
	v_not_b32_e32 v4, v4
	v_and_b32_e32 v2, exec_hi, v2
	v_ashrrev_i32_e32 v4, 31, v4
	v_and_b32_e32 v2, v2, v54
	v_xor_b32_e32 v54, vcc_hi, v4
	v_xor_b32_e32 v4, vcc_lo, v4
	v_and_b32_e32 v53, v53, v4
	v_lshlrev_b32_e32 v4, 28, v1
	v_cmp_gt_i64_e32 vcc, 0, v[3:4]
	v_not_b32_e32 v4, v4
	v_ashrrev_i32_e32 v4, 31, v4
	v_and_b32_e32 v2, v2, v54
	v_xor_b32_e32 v54, vcc_hi, v4
	v_xor_b32_e32 v4, vcc_lo, v4
	v_and_b32_e32 v53, v53, v4
	v_lshlrev_b32_e32 v4, 27, v1
	v_cmp_gt_i64_e32 vcc, 0, v[3:4]
	v_not_b32_e32 v4, v4
	;; [unrolled: 8-line block ×5, first 2 shown]
	v_ashrrev_i32_e32 v1, 31, v1
	v_xor_b32_e32 v4, vcc_hi, v1
	v_xor_b32_e32 v1, vcc_lo, v1
	v_and_b32_e32 v2, v2, v54
	v_and_b32_e32 v1, v53, v1
	;; [unrolled: 1-line block ×3, first 2 shown]
	v_mbcnt_lo_u32_b32 v4, v1, 0
	v_mbcnt_hi_u32_b32 v53, v2, v4
	v_cmp_ne_u64_e32 vcc, 0, v[1:2]
	v_cmp_eq_u32_e64 s[26:27], 0, v53
	s_and_b64 s[28:29], vcc, s[26:27]
	v_add_u32_e32 v54, v19, v5
	; wave barrier
	s_and_saveexec_b64 s[26:27], s[28:29]
	s_cbranch_execz .LBB22_20
; %bb.19:                               ;   in Loop: Header=BB22_4 Depth=2
	v_bcnt_u32_b32 v1, v1, 0
	v_bcnt_u32_b32 v1, v2, v1
	s_waitcnt lgkmcnt(0)
	v_add_u32_e32 v1, v52, v1
	ds_write_b32 v54, v1 offset:12
.LBB22_20:                              ;   in Loop: Header=BB22_4 Depth=2
	s_or_b64 exec, exec, s[26:27]
	; wave barrier
	s_waitcnt lgkmcnt(0)
	s_barrier
	ds_read2_b32 v[4:5], v15 offset0:3 offset1:4
	ds_read2_b32 v[1:2], v15 offset0:5 offset1:6
	s_waitcnt lgkmcnt(1)
	v_add_u32_e32 v55, v5, v4
	s_waitcnt lgkmcnt(0)
	v_add3_u32 v2, v55, v1, v2
	s_nop 1
	v_mov_b32_dpp v55, v2 row_shr:1 row_mask:0xf bank_mask:0xf
	v_cndmask_b32_e64 v55, v55, 0, s[0:1]
	v_add_u32_e32 v2, v55, v2
	s_nop 1
	v_mov_b32_dpp v55, v2 row_shr:2 row_mask:0xf bank_mask:0xf
	v_cndmask_b32_e64 v55, 0, v55, s[2:3]
	v_add_u32_e32 v2, v2, v55
	;; [unrolled: 4-line block ×4, first 2 shown]
	s_nop 1
	v_mov_b32_dpp v55, v2 row_bcast:15 row_mask:0xf bank_mask:0xf
	v_cndmask_b32_e64 v55, v55, 0, s[8:9]
	v_add_u32_e32 v2, v2, v55
	s_nop 1
	v_mov_b32_dpp v55, v2 row_bcast:31 row_mask:0xf bank_mask:0xf
	v_cndmask_b32_e64 v55, 0, v55, s[10:11]
	v_add_u32_e32 v2, v2, v55
	s_and_saveexec_b64 s[26:27], s[12:13]
; %bb.21:                               ;   in Loop: Header=BB22_4 Depth=2
	ds_write_b32 v17, v2
; %bb.22:                               ;   in Loop: Header=BB22_4 Depth=2
	s_or_b64 exec, exec, s[26:27]
	s_waitcnt lgkmcnt(0)
	s_barrier
	s_and_saveexec_b64 s[26:27], s[14:15]
	s_cbranch_execz .LBB22_24
; %bb.23:                               ;   in Loop: Header=BB22_4 Depth=2
	ds_read_b32 v55, v21
	s_waitcnt lgkmcnt(0)
	s_nop 0
	v_mov_b32_dpp v56, v55 row_shr:1 row_mask:0xf bank_mask:0xf
	v_cndmask_b32_e64 v56, v56, 0, s[22:23]
	v_add_u32_e32 v55, v56, v55
	s_nop 1
	v_mov_b32_dpp v56, v55 row_shr:2 row_mask:0xf bank_mask:0xf
	v_cndmask_b32_e64 v56, 0, v56, s[24:25]
	v_add_u32_e32 v55, v55, v56
	ds_write_b32 v21, v55
.LBB22_24:                              ;   in Loop: Header=BB22_4 Depth=2
	s_or_b64 exec, exec, s[26:27]
	v_mov_b32_e32 v55, 0
	s_waitcnt lgkmcnt(0)
	s_barrier
	s_and_saveexec_b64 s[26:27], s[16:17]
; %bb.25:                               ;   in Loop: Header=BB22_4 Depth=2
	ds_read_b32 v55, v18
; %bb.26:                               ;   in Loop: Header=BB22_4 Depth=2
	s_or_b64 exec, exec, s[26:27]
	s_waitcnt lgkmcnt(0)
	v_add_u32_e32 v2, v55, v2
	ds_bpermute_b32 v2, v16, v2
	v_cmp_lt_u32_e32 vcc, 23, v29
	s_and_b64 vcc, exec, vcc
	s_mov_b64 s[26:27], -1
	s_waitcnt lgkmcnt(0)
	v_cndmask_b32_e64 v2, v2, v55, s[18:19]
	v_cndmask_b32_e64 v2, v2, 0, s[20:21]
	v_add_u32_e32 v4, v2, v4
	v_add_u32_e32 v5, v4, v5
	;; [unrolled: 1-line block ×3, first 2 shown]
	ds_write2_b32 v15, v2, v4 offset0:3 offset1:4
	ds_write2_b32 v15, v5, v1 offset0:5 offset1:6
	s_waitcnt lgkmcnt(0)
	s_barrier
	ds_read_b32 v1, v33 offset:12
	ds_read_b32 v2, v36 offset:12
	;; [unrolled: 1-line block ×3, first 2 shown]
                                        ; implicit-def: $vgpr39
	s_waitcnt lgkmcnt(2)
	v_add_u32_e32 v36, v1, v32
	s_waitcnt lgkmcnt(1)
	v_add3_u32 v32, v35, v34, v2
	ds_read_b32 v1, v42 offset:12
	s_waitcnt lgkmcnt(1)
	v_add3_u32 v5, v38, v37, v4
	ds_read_b32 v2, v45 offset:12
	ds_read_b32 v4, v48 offset:12
	ds_read_b32 v35, v51 offset:12
	ds_read_b32 v37, v54 offset:12
                                        ; implicit-def: $vgpr42
                                        ; implicit-def: $vgpr38
	s_waitcnt lgkmcnt(3)
	v_add3_u32 v33, v44, v43, v2
	v_add3_u32 v34, v41, v40, v1
	s_waitcnt lgkmcnt(2)
	v_add3_u32 v4, v47, v46, v4
	s_waitcnt lgkmcnt(1)
	;; [unrolled: 2-line block ×3, first 2 shown]
	v_add3_u32 v1, v53, v52, v37
                                        ; implicit-def: $vgpr43
                                        ; implicit-def: $vgpr41
                                        ; implicit-def: $vgpr40
                                        ; implicit-def: $vgpr37
                                        ; implicit-def: $vgpr35
	s_cbranch_vccnz .LBB22_3
; %bb.27:                               ;   in Loop: Header=BB22_4 Depth=2
	v_lshrrev_b32_e32 v35, 3, v36
	v_and_b32_e32 v35, 0x1ffffffc, v35
	v_lshl_add_u32 v35, v36, 2, v35
	s_barrier
	ds_write_b32 v35, v31
	v_lshrrev_b32_e32 v35, 3, v32
	v_and_b32_e32 v35, 0x1ffffffc, v35
	v_lshl_add_u32 v35, v32, 2, v35
	ds_write_b32 v35, v30
	v_lshrrev_b32_e32 v35, 3, v5
	v_and_b32_e32 v35, 0x1ffffffc, v35
	v_lshl_add_u32 v35, v5, 2, v35
	;; [unrolled: 4-line block ×7, first 2 shown]
	ds_write_b32 v35, v23
	s_waitcnt lgkmcnt(0)
	s_barrier
	ds_read_b32 v35, v7
	ds_read_b32 v37, v8 offset:256
	ds_read_b32 v38, v9 offset:512
	;; [unrolled: 1-line block ×7, first 2 shown]
	v_add_u32_e32 v29, 8, v29
	s_mov_b64 s[26:27], 0
	s_waitcnt lgkmcnt(0)
	s_barrier
	s_branch .LBB22_3
.LBB22_28:
	s_add_u32 s0, s30, s36
	s_addc_u32 s1, s31, s37
	v_lshlrev_b32_e32 v0, 2, v0
	v_mov_b32_e32 v1, s1
	v_add_co_u32_e32 v2, vcc, s0, v0
	v_addc_co_u32_e32 v1, vcc, 0, v1, vcc
	global_store_dword v0, v23, s[0:1]
	global_store_dword v0, v24, s[0:1] offset:768
	global_store_dword v0, v25, s[0:1] offset:1536
	;; [unrolled: 1-line block ×5, first 2 shown]
	v_add_co_u32_e32 v0, vcc, 0x1000, v2
	v_addc_co_u32_e32 v1, vcc, 0, v1, vcc
	global_store_dword v[0:1], v4, off offset:512
	global_store_dword v[0:1], v5, off offset:1280
	s_endpgm
	.section	.rodata,"a",@progbits
	.p2align	6, 0x0
	.amdhsa_kernel _Z16sort_keys_kernelI22helper_blocked_blockediLj192ELj8ELj10EEvPKT0_PS1_
		.amdhsa_group_segment_fixed_size 6336
		.amdhsa_private_segment_fixed_size 0
		.amdhsa_kernarg_size 272
		.amdhsa_user_sgpr_count 6
		.amdhsa_user_sgpr_private_segment_buffer 1
		.amdhsa_user_sgpr_dispatch_ptr 0
		.amdhsa_user_sgpr_queue_ptr 0
		.amdhsa_user_sgpr_kernarg_segment_ptr 1
		.amdhsa_user_sgpr_dispatch_id 0
		.amdhsa_user_sgpr_flat_scratch_init 0
		.amdhsa_user_sgpr_private_segment_size 0
		.amdhsa_uses_dynamic_stack 0
		.amdhsa_system_sgpr_private_segment_wavefront_offset 0
		.amdhsa_system_sgpr_workgroup_id_x 1
		.amdhsa_system_sgpr_workgroup_id_y 0
		.amdhsa_system_sgpr_workgroup_id_z 0
		.amdhsa_system_sgpr_workgroup_info 0
		.amdhsa_system_vgpr_workitem_id 2
		.amdhsa_next_free_vgpr 57
		.amdhsa_next_free_sgpr 61
		.amdhsa_reserve_vcc 1
		.amdhsa_reserve_flat_scratch 0
		.amdhsa_float_round_mode_32 0
		.amdhsa_float_round_mode_16_64 0
		.amdhsa_float_denorm_mode_32 3
		.amdhsa_float_denorm_mode_16_64 3
		.amdhsa_dx10_clamp 1
		.amdhsa_ieee_mode 1
		.amdhsa_fp16_overflow 0
		.amdhsa_exception_fp_ieee_invalid_op 0
		.amdhsa_exception_fp_denorm_src 0
		.amdhsa_exception_fp_ieee_div_zero 0
		.amdhsa_exception_fp_ieee_overflow 0
		.amdhsa_exception_fp_ieee_underflow 0
		.amdhsa_exception_fp_ieee_inexact 0
		.amdhsa_exception_int_div_zero 0
	.end_amdhsa_kernel
	.section	.text._Z16sort_keys_kernelI22helper_blocked_blockediLj192ELj8ELj10EEvPKT0_PS1_,"axG",@progbits,_Z16sort_keys_kernelI22helper_blocked_blockediLj192ELj8ELj10EEvPKT0_PS1_,comdat
.Lfunc_end22:
	.size	_Z16sort_keys_kernelI22helper_blocked_blockediLj192ELj8ELj10EEvPKT0_PS1_, .Lfunc_end22-_Z16sort_keys_kernelI22helper_blocked_blockediLj192ELj8ELj10EEvPKT0_PS1_
                                        ; -- End function
	.set _Z16sort_keys_kernelI22helper_blocked_blockediLj192ELj8ELj10EEvPKT0_PS1_.num_vgpr, 57
	.set _Z16sort_keys_kernelI22helper_blocked_blockediLj192ELj8ELj10EEvPKT0_PS1_.num_agpr, 0
	.set _Z16sort_keys_kernelI22helper_blocked_blockediLj192ELj8ELj10EEvPKT0_PS1_.numbered_sgpr, 38
	.set _Z16sort_keys_kernelI22helper_blocked_blockediLj192ELj8ELj10EEvPKT0_PS1_.num_named_barrier, 0
	.set _Z16sort_keys_kernelI22helper_blocked_blockediLj192ELj8ELj10EEvPKT0_PS1_.private_seg_size, 0
	.set _Z16sort_keys_kernelI22helper_blocked_blockediLj192ELj8ELj10EEvPKT0_PS1_.uses_vcc, 1
	.set _Z16sort_keys_kernelI22helper_blocked_blockediLj192ELj8ELj10EEvPKT0_PS1_.uses_flat_scratch, 0
	.set _Z16sort_keys_kernelI22helper_blocked_blockediLj192ELj8ELj10EEvPKT0_PS1_.has_dyn_sized_stack, 0
	.set _Z16sort_keys_kernelI22helper_blocked_blockediLj192ELj8ELj10EEvPKT0_PS1_.has_recursion, 0
	.set _Z16sort_keys_kernelI22helper_blocked_blockediLj192ELj8ELj10EEvPKT0_PS1_.has_indirect_call, 0
	.section	.AMDGPU.csdata,"",@progbits
; Kernel info:
; codeLenInByte = 5180
; TotalNumSgprs: 42
; NumVgprs: 57
; ScratchSize: 0
; MemoryBound: 0
; FloatMode: 240
; IeeeMode: 1
; LDSByteSize: 6336 bytes/workgroup (compile time only)
; SGPRBlocks: 8
; VGPRBlocks: 14
; NumSGPRsForWavesPerEU: 65
; NumVGPRsForWavesPerEU: 57
; Occupancy: 4
; WaveLimiterHint : 1
; COMPUTE_PGM_RSRC2:SCRATCH_EN: 0
; COMPUTE_PGM_RSRC2:USER_SGPR: 6
; COMPUTE_PGM_RSRC2:TRAP_HANDLER: 0
; COMPUTE_PGM_RSRC2:TGID_X_EN: 1
; COMPUTE_PGM_RSRC2:TGID_Y_EN: 0
; COMPUTE_PGM_RSRC2:TGID_Z_EN: 0
; COMPUTE_PGM_RSRC2:TIDIG_COMP_CNT: 2
	.section	.text._Z17sort_pairs_kernelI22helper_blocked_blockediLj192ELj8ELj10EEvPKT0_PS1_,"axG",@progbits,_Z17sort_pairs_kernelI22helper_blocked_blockediLj192ELj8ELj10EEvPKT0_PS1_,comdat
	.protected	_Z17sort_pairs_kernelI22helper_blocked_blockediLj192ELj8ELj10EEvPKT0_PS1_ ; -- Begin function _Z17sort_pairs_kernelI22helper_blocked_blockediLj192ELj8ELj10EEvPKT0_PS1_
	.globl	_Z17sort_pairs_kernelI22helper_blocked_blockediLj192ELj8ELj10EEvPKT0_PS1_
	.p2align	8
	.type	_Z17sort_pairs_kernelI22helper_blocked_blockediLj192ELj8ELj10EEvPKT0_PS1_,@function
_Z17sort_pairs_kernelI22helper_blocked_blockediLj192ELj8ELj10EEvPKT0_PS1_: ; @_Z17sort_pairs_kernelI22helper_blocked_blockediLj192ELj8ELj10EEvPKT0_PS1_
; %bb.0:
	s_load_dwordx4 s[28:31], s[4:5], 0x0
	s_load_dword s12, s[4:5], 0x1c
	s_mul_i32 s36, s6, 0x600
	s_mov_b32 s37, 0
	s_lshl_b64 s[34:35], s[36:37], 2
	s_waitcnt lgkmcnt(0)
	s_add_u32 s0, s28, s34
	s_addc_u32 s1, s29, s35
	v_lshlrev_b32_e32 v3, 2, v0
	v_mov_b32_e32 v4, s1
	v_add_co_u32_e32 v5, vcc, s0, v3
	global_load_dword v25, v3, s[0:1]
	global_load_dword v26, v3, s[0:1] offset:768
	global_load_dword v27, v3, s[0:1] offset:1536
	;; [unrolled: 1-line block ×3, first 2 shown]
	v_addc_co_u32_e32 v4, vcc, 0, v4, vcc
	global_load_dword v29, v3, s[0:1] offset:3072
	global_load_dword v30, v3, s[0:1] offset:3840
	s_movk_i32 s0, 0x1000
	v_add_co_u32_e32 v3, vcc, s0, v5
	v_addc_co_u32_e32 v4, vcc, 0, v4, vcc
	global_load_dword v31, v[3:4], off offset:512
	global_load_dword v32, v[3:4], off offset:1280
	v_mbcnt_lo_u32_b32 v3, -1, 0
	s_lshr_b32 s13, s12, 16
	s_movk_i32 s0, 0x600
	v_mbcnt_hi_u32_b32 v6, -1, v3
	v_lshlrev_b32_e32 v3, 3, v0
	v_and_b32_e32 v7, 0xc0, v0
	s_and_b32 s12, s12, 0xffff
	v_mad_u32_u24 v1, v2, s13, v1
	v_add_u32_e32 v4, v6, v7
	v_and_or_b32 v3, v3, s0, v6
	v_mad_u64_u32 v[1:2], s[12:13], v1, s12, v[0:1]
	v_and_b32_e32 v5, 15, v6
	v_and_b32_e32 v8, 16, v6
	;; [unrolled: 1-line block ×3, first 2 shown]
	v_lshrrev_b32_e32 v11, 3, v3
	v_add_u32_e32 v12, 64, v3
	v_or_b32_e32 v13, 0x80, v3
	v_add_u32_e32 v14, 0xc0, v3
	v_lshlrev_b32_e32 v18, 2, v3
	v_or_b32_e32 v17, 0x180, v3
	v_cmp_eq_u32_e64 s[2:3], 0, v5
	v_cmp_lt_u32_e64 s[4:5], 1, v5
	v_cmp_lt_u32_e64 s[6:7], 3, v5
	;; [unrolled: 1-line block ×3, first 2 shown]
	v_cmp_eq_u32_e64 s[10:11], 0, v8
	v_lshl_add_u32 v10, v4, 5, v9
	v_and_b32_e32 v4, 0xcc, v11
	v_lshrrev_b32_e32 v5, 3, v12
	v_lshrrev_b32_e32 v8, 3, v13
	;; [unrolled: 1-line block ×3, first 2 shown]
	v_min_u32_e32 v7, 0x80, v7
	v_lshrrev_b32_e32 v14, 3, v17
	v_add_u32_e32 v11, v4, v18
	v_and_b32_e32 v4, 0xdc, v5
	v_and_b32_e32 v5, 0xdc, v8
	;; [unrolled: 1-line block ×3, first 2 shown]
	v_or_b32_e32 v7, 63, v7
	v_or_b32_e32 v15, 0x100, v3
	v_add_u32_e32 v16, 0x140, v3
	v_add_u32_e32 v3, 0x1c0, v3
	v_and_b32_e32 v17, 0xfc, v14
	v_add_u32_e32 v14, v8, v18
	v_cmp_eq_u32_e64 s[12:13], v0, v7
	v_subrev_co_u32_e64 v7, s[14:15], 1, v6
	v_and_b32_e32 v8, 64, v6
	v_lshrrev_b32_e32 v1, 4, v1
	v_lshrrev_b32_e32 v12, 3, v15
	;; [unrolled: 1-line block ×4, first 2 shown]
	v_cmp_lt_i32_e32 vcc, v7, v8
	v_and_b32_e32 v21, 0xffffffc, v1
	v_and_b32_e32 v1, 0xfc, v0
	v_cmp_lt_u32_e64 s[0:1], 31, v6
	v_and_b32_e32 v9, 0xec, v12
	v_and_b32_e32 v16, 0xfc, v13
	;; [unrolled: 1-line block ×3, first 2 shown]
	v_cndmask_b32_e32 v19, v7, v6, vcc
	v_and_b32_e32 v6, 3, v6
	v_lshrrev_b32_e32 v20, 4, v0
	v_lshl_add_u32 v22, v0, 5, v1
	v_lshlrev_b32_e32 v23, 4, v0
	v_mul_i32_i24_e32 v1, -12, v0
	v_add_u32_e32 v12, v4, v18
	v_add_u32_e32 v13, v5, v18
	;; [unrolled: 1-line block ×6, first 2 shown]
	s_waitcnt vmcnt(7)
	v_add_u32_e32 v2, 1, v25
	s_waitcnt vmcnt(6)
	v_add_u32_e32 v3, 1, v26
	;; [unrolled: 2-line block ×4, first 2 shown]
	v_cmp_eq_u32_e64 s[16:17], 0, v6
	v_cmp_lt_u32_e64 s[18:19], 1, v6
	s_waitcnt vmcnt(3)
	v_add_u32_e32 v6, 1, v29
	s_waitcnt vmcnt(2)
	v_add_u32_e32 v7, 1, v30
	;; [unrolled: 2-line block ×4, first 2 shown]
	v_cmp_gt_u32_e64 s[20:21], 3, v0
	v_cmp_lt_u32_e64 s[22:23], 63, v0
	v_lshlrev_b32_e32 v19, 2, v19
	v_cmp_eq_u32_e64 s[24:25], 0, v0
	v_and_b32_e32 v20, 12, v20
	v_add_u32_e32 v24, v23, v1
	v_mov_b32_e32 v1, 0
	s_branch .LBB23_2
.LBB23_1:                               ;   in Loop: Header=BB23_2 Depth=1
	v_lshrrev_b32_e32 v33, 3, v42
	v_and_b32_e32 v33, 0x1ffffffc, v33
	v_lshl_add_u32 v41, v42, 2, v33
	v_lshrrev_b32_e32 v33, 3, v38
	v_and_b32_e32 v33, 0x1ffffffc, v33
	v_lshl_add_u32 v38, v38, 2, v33
	;; [unrolled: 3-line block ×5, first 2 shown]
	s_barrier
	ds_write_b32 v41, v37
	ds_write_b32 v38, v36
	;; [unrolled: 1-line block ×5, first 2 shown]
	v_lshrrev_b32_e32 v32, 3, v4
	v_and_b32_e32 v32, 0x1ffffffc, v32
	v_lshl_add_u32 v4, v4, 2, v32
	ds_write_b32 v4, v31
	v_lshrrev_b32_e32 v31, 3, v3
	v_and_b32_e32 v31, 0x1ffffffc, v31
	v_lshl_add_u32 v3, v3, 2, v31
	ds_write_b32 v3, v30
	;; [unrolled: 4-line block ×3, first 2 shown]
	s_waitcnt lgkmcnt(0)
	s_barrier
	ds_read2_b32 v[30:31], v22 offset1:1
	ds_read2_b32 v[32:33], v22 offset0:2 offset1:3
	ds_read2_b32 v[34:35], v22 offset0:4 offset1:5
	;; [unrolled: 1-line block ×3, first 2 shown]
	s_waitcnt lgkmcnt(0)
	s_barrier
	ds_write_b32 v41, v29
	ds_write_b32 v38, v28
	;; [unrolled: 1-line block ×8, first 2 shown]
	s_waitcnt lgkmcnt(0)
	s_barrier
	ds_read2_b32 v[2:3], v22 offset1:1
	ds_read2_b32 v[4:5], v22 offset0:2 offset1:3
	ds_read2_b32 v[6:7], v22 offset0:4 offset1:5
	;; [unrolled: 1-line block ×3, first 2 shown]
	s_add_i32 s37, s37, 1
	v_xor_b32_e32 v25, 0x80000000, v30
	v_xor_b32_e32 v26, 0x80000000, v31
	;; [unrolled: 1-line block ×7, first 2 shown]
	s_cmp_eq_u32 s37, 10
	v_xor_b32_e32 v32, 0x80000000, v37
	s_cbranch_scc1 .LBB23_28
.LBB23_2:                               ; =>This Loop Header: Depth=1
                                        ;     Child Loop BB23_4 Depth 2
	v_xor_b32_e32 v25, 0x80000000, v25
	v_xor_b32_e32 v26, 0x80000000, v26
	v_xor_b32_e32 v27, 0x80000000, v27
	v_xor_b32_e32 v28, 0x80000000, v28
	v_xor_b32_e32 v29, 0x80000000, v29
	v_xor_b32_e32 v30, 0x80000000, v30
	v_xor_b32_e32 v31, 0x80000000, v31
	v_xor_b32_e32 v32, 0x80000000, v32
	ds_write2_b32 v10, v25, v26 offset1:1
	ds_write2_b32 v10, v27, v28 offset0:2 offset1:3
	ds_write2_b32 v10, v29, v30 offset0:4 offset1:5
	;; [unrolled: 1-line block ×3, first 2 shown]
	; wave barrier
	ds_read_b32 v41, v11
	ds_read_b32 v43, v12 offset:256
	ds_read_b32 v44, v13 offset:512
	;; [unrolled: 1-line block ×7, first 2 shown]
	; wave barrier
	s_waitcnt lgkmcnt(14)
	ds_write2_b32 v10, v2, v3 offset1:1
	ds_write2_b32 v10, v4, v5 offset0:2 offset1:3
	s_waitcnt lgkmcnt(14)
	ds_write2_b32 v10, v6, v7 offset0:4 offset1:5
	ds_write2_b32 v10, v8, v9 offset0:6 offset1:7
	; wave barrier
	ds_read_b32 v50, v11
	ds_read_b32 v51, v12 offset:256
	ds_read_b32 v52, v13 offset:512
	ds_read_b32 v53, v14 offset:768
	ds_read_b32 v54, v15 offset:1024
	ds_read_b32 v55, v16 offset:1280
	ds_read_b32 v56, v17 offset:1536
	ds_read_b32 v57, v18 offset:1792
	v_mov_b32_e32 v33, v1
	s_waitcnt lgkmcnt(0)
	s_barrier
	s_branch .LBB23_4
.LBB23_3:                               ;   in Loop: Header=BB23_4 Depth=2
	s_andn2_b64 vcc, exec, s[26:27]
	s_cbranch_vccz .LBB23_1
.LBB23_4:                               ;   Parent Loop BB23_2 Depth=1
                                        ; =>  This Inner Loop Header: Depth=2
	v_mov_b32_e32 v37, v41
	v_lshrrev_b32_e32 v3, v33, v37
	v_mov_b32_e32 v2, 12
	v_mul_u32_u24_sdwa v4, v3, v2 dst_sel:DWORD dst_unused:UNUSED_PAD src0_sel:BYTE_0 src1_sel:DWORD
	v_and_b32_e32 v2, 1, v3
	v_add_co_u32_e32 v5, vcc, -1, v2
	v_addc_co_u32_e64 v38, s[26:27], 0, -1, vcc
	v_cmp_ne_u32_e32 vcc, 0, v2
	v_xor_b32_e32 v2, vcc_hi, v38
	v_and_b32_e32 v38, exec_hi, v2
	v_lshlrev_b32_e32 v2, 30, v3
	v_xor_b32_e32 v5, vcc_lo, v5
	v_cmp_gt_i64_e32 vcc, 0, v[1:2]
	v_not_b32_e32 v2, v2
	v_ashrrev_i32_e32 v2, 31, v2
	v_and_b32_e32 v5, exec_lo, v5
	v_xor_b32_e32 v39, vcc_hi, v2
	v_xor_b32_e32 v2, vcc_lo, v2
	v_and_b32_e32 v5, v5, v2
	v_lshlrev_b32_e32 v2, 29, v3
	v_cmp_gt_i64_e32 vcc, 0, v[1:2]
	v_not_b32_e32 v2, v2
	v_ashrrev_i32_e32 v2, 31, v2
	v_and_b32_e32 v38, v38, v39
	v_xor_b32_e32 v39, vcc_hi, v2
	v_xor_b32_e32 v2, vcc_lo, v2
	v_and_b32_e32 v5, v5, v2
	v_lshlrev_b32_e32 v2, 28, v3
	v_cmp_gt_i64_e32 vcc, 0, v[1:2]
	v_not_b32_e32 v2, v2
	v_ashrrev_i32_e32 v2, 31, v2
	v_and_b32_e32 v38, v38, v39
	;; [unrolled: 8-line block ×5, first 2 shown]
	v_xor_b32_e32 v39, vcc_hi, v2
	v_xor_b32_e32 v2, vcc_lo, v2
	v_and_b32_e32 v5, v5, v2
	v_lshlrev_b32_e32 v2, 24, v3
	v_cmp_gt_i64_e32 vcc, 0, v[1:2]
	v_not_b32_e32 v2, v2
	v_ashrrev_i32_e32 v2, 31, v2
	v_xor_b32_e32 v3, vcc_hi, v2
	v_xor_b32_e32 v2, vcc_lo, v2
	v_and_b32_e32 v38, v38, v39
	v_and_b32_e32 v2, v5, v2
	;; [unrolled: 1-line block ×3, first 2 shown]
	v_mbcnt_lo_u32_b32 v5, v2, 0
	v_mbcnt_hi_u32_b32 v38, v3, v5
	v_cmp_ne_u64_e32 vcc, 0, v[2:3]
	v_cmp_eq_u32_e64 s[26:27], 0, v38
	v_mov_b32_e32 v27, v49
	v_mov_b32_e32 v30, v48
	;; [unrolled: 1-line block ×15, first 2 shown]
	s_and_b64 s[28:29], vcc, s[26:27]
	v_add_u32_e32 v39, v21, v4
	ds_write2_b32 v23, v1, v1 offset0:3 offset1:4
	ds_write2_b32 v23, v1, v1 offset0:5 offset1:6
	s_waitcnt lgkmcnt(0)
	s_barrier
	; wave barrier
	s_and_saveexec_b64 s[26:27], s[28:29]
; %bb.5:                                ;   in Loop: Header=BB23_4 Depth=2
	v_bcnt_u32_b32 v2, v2, 0
	v_bcnt_u32_b32 v2, v3, v2
	ds_write_b32 v39, v2 offset:12
; %bb.6:                                ;   in Loop: Header=BB23_4 Depth=2
	s_or_b64 exec, exec, s[26:27]
	v_lshrrev_b32_e32 v3, v33, v36
	v_and_b32_e32 v2, 0xff, v3
	v_mul_u32_u24_e32 v4, 12, v2
	v_mad_u32_u24 v2, v2, 12, v21
	; wave barrier
	ds_read_b32 v40, v2 offset:12
	v_and_b32_e32 v2, 1, v3
	v_add_co_u32_e32 v5, vcc, -1, v2
	v_addc_co_u32_e64 v41, s[26:27], 0, -1, vcc
	v_cmp_ne_u32_e32 vcc, 0, v2
	v_xor_b32_e32 v2, vcc_hi, v41
	v_and_b32_e32 v41, exec_hi, v2
	v_lshlrev_b32_e32 v2, 30, v3
	v_xor_b32_e32 v5, vcc_lo, v5
	v_cmp_gt_i64_e32 vcc, 0, v[1:2]
	v_not_b32_e32 v2, v2
	v_ashrrev_i32_e32 v2, 31, v2
	v_and_b32_e32 v5, exec_lo, v5
	v_xor_b32_e32 v42, vcc_hi, v2
	v_xor_b32_e32 v2, vcc_lo, v2
	v_and_b32_e32 v5, v5, v2
	v_lshlrev_b32_e32 v2, 29, v3
	v_cmp_gt_i64_e32 vcc, 0, v[1:2]
	v_not_b32_e32 v2, v2
	v_ashrrev_i32_e32 v2, 31, v2
	v_and_b32_e32 v41, v41, v42
	v_xor_b32_e32 v42, vcc_hi, v2
	v_xor_b32_e32 v2, vcc_lo, v2
	v_and_b32_e32 v5, v5, v2
	v_lshlrev_b32_e32 v2, 28, v3
	v_cmp_gt_i64_e32 vcc, 0, v[1:2]
	v_not_b32_e32 v2, v2
	v_ashrrev_i32_e32 v2, 31, v2
	v_and_b32_e32 v41, v41, v42
	;; [unrolled: 8-line block ×5, first 2 shown]
	v_xor_b32_e32 v42, vcc_hi, v2
	v_xor_b32_e32 v2, vcc_lo, v2
	v_and_b32_e32 v5, v5, v2
	v_lshlrev_b32_e32 v2, 24, v3
	v_cmp_gt_i64_e32 vcc, 0, v[1:2]
	v_not_b32_e32 v2, v2
	v_ashrrev_i32_e32 v2, 31, v2
	v_xor_b32_e32 v3, vcc_hi, v2
	v_xor_b32_e32 v2, vcc_lo, v2
	v_and_b32_e32 v41, v41, v42
	v_and_b32_e32 v2, v5, v2
	;; [unrolled: 1-line block ×3, first 2 shown]
	v_mbcnt_lo_u32_b32 v5, v2, 0
	v_mbcnt_hi_u32_b32 v41, v3, v5
	v_cmp_ne_u64_e32 vcc, 0, v[2:3]
	v_cmp_eq_u32_e64 s[26:27], 0, v41
	s_and_b64 s[28:29], vcc, s[26:27]
	v_add_u32_e32 v42, v21, v4
	; wave barrier
	s_and_saveexec_b64 s[26:27], s[28:29]
	s_cbranch_execz .LBB23_8
; %bb.7:                                ;   in Loop: Header=BB23_4 Depth=2
	v_bcnt_u32_b32 v2, v2, 0
	v_bcnt_u32_b32 v2, v3, v2
	s_waitcnt lgkmcnt(0)
	v_add_u32_e32 v2, v40, v2
	ds_write_b32 v42, v2 offset:12
.LBB23_8:                               ;   in Loop: Header=BB23_4 Depth=2
	s_or_b64 exec, exec, s[26:27]
	v_lshrrev_b32_e32 v3, v33, v35
	v_and_b32_e32 v2, 0xff, v3
	v_mul_u32_u24_e32 v4, 12, v2
	v_mad_u32_u24 v2, v2, 12, v21
	; wave barrier
	ds_read_b32 v43, v2 offset:12
	v_and_b32_e32 v2, 1, v3
	v_add_co_u32_e32 v5, vcc, -1, v2
	v_addc_co_u32_e64 v44, s[26:27], 0, -1, vcc
	v_cmp_ne_u32_e32 vcc, 0, v2
	v_xor_b32_e32 v2, vcc_hi, v44
	v_and_b32_e32 v44, exec_hi, v2
	v_lshlrev_b32_e32 v2, 30, v3
	v_xor_b32_e32 v5, vcc_lo, v5
	v_cmp_gt_i64_e32 vcc, 0, v[1:2]
	v_not_b32_e32 v2, v2
	v_ashrrev_i32_e32 v2, 31, v2
	v_and_b32_e32 v5, exec_lo, v5
	v_xor_b32_e32 v45, vcc_hi, v2
	v_xor_b32_e32 v2, vcc_lo, v2
	v_and_b32_e32 v5, v5, v2
	v_lshlrev_b32_e32 v2, 29, v3
	v_cmp_gt_i64_e32 vcc, 0, v[1:2]
	v_not_b32_e32 v2, v2
	v_ashrrev_i32_e32 v2, 31, v2
	v_and_b32_e32 v44, v44, v45
	v_xor_b32_e32 v45, vcc_hi, v2
	v_xor_b32_e32 v2, vcc_lo, v2
	v_and_b32_e32 v5, v5, v2
	v_lshlrev_b32_e32 v2, 28, v3
	v_cmp_gt_i64_e32 vcc, 0, v[1:2]
	v_not_b32_e32 v2, v2
	v_ashrrev_i32_e32 v2, 31, v2
	v_and_b32_e32 v44, v44, v45
	;; [unrolled: 8-line block ×5, first 2 shown]
	v_xor_b32_e32 v45, vcc_hi, v2
	v_xor_b32_e32 v2, vcc_lo, v2
	v_and_b32_e32 v5, v5, v2
	v_lshlrev_b32_e32 v2, 24, v3
	v_cmp_gt_i64_e32 vcc, 0, v[1:2]
	v_not_b32_e32 v2, v2
	v_ashrrev_i32_e32 v2, 31, v2
	v_xor_b32_e32 v3, vcc_hi, v2
	v_xor_b32_e32 v2, vcc_lo, v2
	v_and_b32_e32 v44, v44, v45
	v_and_b32_e32 v2, v5, v2
	;; [unrolled: 1-line block ×3, first 2 shown]
	v_mbcnt_lo_u32_b32 v5, v2, 0
	v_mbcnt_hi_u32_b32 v44, v3, v5
	v_cmp_ne_u64_e32 vcc, 0, v[2:3]
	v_cmp_eq_u32_e64 s[26:27], 0, v44
	s_and_b64 s[28:29], vcc, s[26:27]
	v_add_u32_e32 v45, v21, v4
	; wave barrier
	s_and_saveexec_b64 s[26:27], s[28:29]
	s_cbranch_execz .LBB23_10
; %bb.9:                                ;   in Loop: Header=BB23_4 Depth=2
	v_bcnt_u32_b32 v2, v2, 0
	v_bcnt_u32_b32 v2, v3, v2
	s_waitcnt lgkmcnt(0)
	v_add_u32_e32 v2, v43, v2
	ds_write_b32 v45, v2 offset:12
.LBB23_10:                              ;   in Loop: Header=BB23_4 Depth=2
	s_or_b64 exec, exec, s[26:27]
	v_lshrrev_b32_e32 v3, v33, v34
	v_and_b32_e32 v2, 0xff, v3
	v_mul_u32_u24_e32 v4, 12, v2
	v_mad_u32_u24 v2, v2, 12, v21
	; wave barrier
	ds_read_b32 v46, v2 offset:12
	v_and_b32_e32 v2, 1, v3
	v_add_co_u32_e32 v5, vcc, -1, v2
	v_addc_co_u32_e64 v47, s[26:27], 0, -1, vcc
	v_cmp_ne_u32_e32 vcc, 0, v2
	v_xor_b32_e32 v2, vcc_hi, v47
	v_and_b32_e32 v47, exec_hi, v2
	v_lshlrev_b32_e32 v2, 30, v3
	v_xor_b32_e32 v5, vcc_lo, v5
	v_cmp_gt_i64_e32 vcc, 0, v[1:2]
	v_not_b32_e32 v2, v2
	v_ashrrev_i32_e32 v2, 31, v2
	v_and_b32_e32 v5, exec_lo, v5
	v_xor_b32_e32 v48, vcc_hi, v2
	v_xor_b32_e32 v2, vcc_lo, v2
	v_and_b32_e32 v5, v5, v2
	v_lshlrev_b32_e32 v2, 29, v3
	v_cmp_gt_i64_e32 vcc, 0, v[1:2]
	v_not_b32_e32 v2, v2
	v_ashrrev_i32_e32 v2, 31, v2
	v_and_b32_e32 v47, v47, v48
	v_xor_b32_e32 v48, vcc_hi, v2
	v_xor_b32_e32 v2, vcc_lo, v2
	v_and_b32_e32 v5, v5, v2
	v_lshlrev_b32_e32 v2, 28, v3
	v_cmp_gt_i64_e32 vcc, 0, v[1:2]
	v_not_b32_e32 v2, v2
	v_ashrrev_i32_e32 v2, 31, v2
	v_and_b32_e32 v47, v47, v48
	v_xor_b32_e32 v48, vcc_hi, v2
	v_xor_b32_e32 v2, vcc_lo, v2
	v_and_b32_e32 v5, v5, v2
	v_lshlrev_b32_e32 v2, 27, v3
	v_cmp_gt_i64_e32 vcc, 0, v[1:2]
	v_not_b32_e32 v2, v2
	v_ashrrev_i32_e32 v2, 31, v2
	v_and_b32_e32 v47, v47, v48
	v_xor_b32_e32 v48, vcc_hi, v2
	v_xor_b32_e32 v2, vcc_lo, v2
	v_and_b32_e32 v5, v5, v2
	v_lshlrev_b32_e32 v2, 26, v3
	v_cmp_gt_i64_e32 vcc, 0, v[1:2]
	v_not_b32_e32 v2, v2
	v_ashrrev_i32_e32 v2, 31, v2
	v_and_b32_e32 v47, v47, v48
	v_xor_b32_e32 v48, vcc_hi, v2
	v_xor_b32_e32 v2, vcc_lo, v2
	v_and_b32_e32 v5, v5, v2
	v_lshlrev_b32_e32 v2, 25, v3
	v_cmp_gt_i64_e32 vcc, 0, v[1:2]
	v_not_b32_e32 v2, v2
	v_ashrrev_i32_e32 v2, 31, v2
	v_and_b32_e32 v47, v47, v48
	v_xor_b32_e32 v48, vcc_hi, v2
	v_xor_b32_e32 v2, vcc_lo, v2
	v_and_b32_e32 v5, v5, v2
	v_lshlrev_b32_e32 v2, 24, v3
	v_cmp_gt_i64_e32 vcc, 0, v[1:2]
	v_not_b32_e32 v2, v2
	v_ashrrev_i32_e32 v2, 31, v2
	v_xor_b32_e32 v3, vcc_hi, v2
	v_xor_b32_e32 v2, vcc_lo, v2
	v_and_b32_e32 v47, v47, v48
	v_and_b32_e32 v2, v5, v2
	;; [unrolled: 1-line block ×3, first 2 shown]
	v_mbcnt_lo_u32_b32 v5, v2, 0
	v_mbcnt_hi_u32_b32 v47, v3, v5
	v_cmp_ne_u64_e32 vcc, 0, v[2:3]
	v_cmp_eq_u32_e64 s[26:27], 0, v47
	s_and_b64 s[28:29], vcc, s[26:27]
	v_add_u32_e32 v48, v21, v4
	; wave barrier
	s_and_saveexec_b64 s[26:27], s[28:29]
	s_cbranch_execz .LBB23_12
; %bb.11:                               ;   in Loop: Header=BB23_4 Depth=2
	v_bcnt_u32_b32 v2, v2, 0
	v_bcnt_u32_b32 v2, v3, v2
	s_waitcnt lgkmcnt(0)
	v_add_u32_e32 v2, v46, v2
	ds_write_b32 v48, v2 offset:12
.LBB23_12:                              ;   in Loop: Header=BB23_4 Depth=2
	s_or_b64 exec, exec, s[26:27]
	v_lshrrev_b32_e32 v3, v33, v32
	v_and_b32_e32 v2, 0xff, v3
	v_mul_u32_u24_e32 v4, 12, v2
	v_mad_u32_u24 v2, v2, 12, v21
	; wave barrier
	ds_read_b32 v49, v2 offset:12
	v_and_b32_e32 v2, 1, v3
	v_add_co_u32_e32 v5, vcc, -1, v2
	v_addc_co_u32_e64 v50, s[26:27], 0, -1, vcc
	v_cmp_ne_u32_e32 vcc, 0, v2
	v_xor_b32_e32 v2, vcc_hi, v50
	v_and_b32_e32 v50, exec_hi, v2
	v_lshlrev_b32_e32 v2, 30, v3
	v_xor_b32_e32 v5, vcc_lo, v5
	v_cmp_gt_i64_e32 vcc, 0, v[1:2]
	v_not_b32_e32 v2, v2
	v_ashrrev_i32_e32 v2, 31, v2
	v_and_b32_e32 v5, exec_lo, v5
	v_xor_b32_e32 v51, vcc_hi, v2
	v_xor_b32_e32 v2, vcc_lo, v2
	v_and_b32_e32 v5, v5, v2
	v_lshlrev_b32_e32 v2, 29, v3
	v_cmp_gt_i64_e32 vcc, 0, v[1:2]
	v_not_b32_e32 v2, v2
	v_ashrrev_i32_e32 v2, 31, v2
	v_and_b32_e32 v50, v50, v51
	v_xor_b32_e32 v51, vcc_hi, v2
	v_xor_b32_e32 v2, vcc_lo, v2
	v_and_b32_e32 v5, v5, v2
	v_lshlrev_b32_e32 v2, 28, v3
	v_cmp_gt_i64_e32 vcc, 0, v[1:2]
	v_not_b32_e32 v2, v2
	v_ashrrev_i32_e32 v2, 31, v2
	v_and_b32_e32 v50, v50, v51
	;; [unrolled: 8-line block ×5, first 2 shown]
	v_xor_b32_e32 v51, vcc_hi, v2
	v_xor_b32_e32 v2, vcc_lo, v2
	v_and_b32_e32 v5, v5, v2
	v_lshlrev_b32_e32 v2, 24, v3
	v_cmp_gt_i64_e32 vcc, 0, v[1:2]
	v_not_b32_e32 v2, v2
	v_ashrrev_i32_e32 v2, 31, v2
	v_xor_b32_e32 v3, vcc_hi, v2
	v_xor_b32_e32 v2, vcc_lo, v2
	v_and_b32_e32 v50, v50, v51
	v_and_b32_e32 v2, v5, v2
	;; [unrolled: 1-line block ×3, first 2 shown]
	v_mbcnt_lo_u32_b32 v5, v2, 0
	v_mbcnt_hi_u32_b32 v50, v3, v5
	v_cmp_ne_u64_e32 vcc, 0, v[2:3]
	v_cmp_eq_u32_e64 s[26:27], 0, v50
	s_and_b64 s[28:29], vcc, s[26:27]
	v_add_u32_e32 v51, v21, v4
	; wave barrier
	s_and_saveexec_b64 s[26:27], s[28:29]
	s_cbranch_execz .LBB23_14
; %bb.13:                               ;   in Loop: Header=BB23_4 Depth=2
	v_bcnt_u32_b32 v2, v2, 0
	v_bcnt_u32_b32 v2, v3, v2
	s_waitcnt lgkmcnt(0)
	v_add_u32_e32 v2, v49, v2
	ds_write_b32 v51, v2 offset:12
.LBB23_14:                              ;   in Loop: Header=BB23_4 Depth=2
	s_or_b64 exec, exec, s[26:27]
	v_lshrrev_b32_e32 v3, v33, v31
	v_and_b32_e32 v2, 0xff, v3
	v_mul_u32_u24_e32 v4, 12, v2
	v_mad_u32_u24 v2, v2, 12, v21
	; wave barrier
	ds_read_b32 v52, v2 offset:12
	v_and_b32_e32 v2, 1, v3
	v_add_co_u32_e32 v5, vcc, -1, v2
	v_addc_co_u32_e64 v53, s[26:27], 0, -1, vcc
	v_cmp_ne_u32_e32 vcc, 0, v2
	v_xor_b32_e32 v2, vcc_hi, v53
	v_and_b32_e32 v53, exec_hi, v2
	v_lshlrev_b32_e32 v2, 30, v3
	v_xor_b32_e32 v5, vcc_lo, v5
	v_cmp_gt_i64_e32 vcc, 0, v[1:2]
	v_not_b32_e32 v2, v2
	v_ashrrev_i32_e32 v2, 31, v2
	v_and_b32_e32 v5, exec_lo, v5
	v_xor_b32_e32 v54, vcc_hi, v2
	v_xor_b32_e32 v2, vcc_lo, v2
	v_and_b32_e32 v5, v5, v2
	v_lshlrev_b32_e32 v2, 29, v3
	v_cmp_gt_i64_e32 vcc, 0, v[1:2]
	v_not_b32_e32 v2, v2
	v_ashrrev_i32_e32 v2, 31, v2
	v_and_b32_e32 v53, v53, v54
	v_xor_b32_e32 v54, vcc_hi, v2
	v_xor_b32_e32 v2, vcc_lo, v2
	v_and_b32_e32 v5, v5, v2
	v_lshlrev_b32_e32 v2, 28, v3
	v_cmp_gt_i64_e32 vcc, 0, v[1:2]
	v_not_b32_e32 v2, v2
	v_ashrrev_i32_e32 v2, 31, v2
	v_and_b32_e32 v53, v53, v54
	;; [unrolled: 8-line block ×5, first 2 shown]
	v_xor_b32_e32 v54, vcc_hi, v2
	v_xor_b32_e32 v2, vcc_lo, v2
	v_and_b32_e32 v5, v5, v2
	v_lshlrev_b32_e32 v2, 24, v3
	v_cmp_gt_i64_e32 vcc, 0, v[1:2]
	v_not_b32_e32 v2, v2
	v_ashrrev_i32_e32 v2, 31, v2
	v_xor_b32_e32 v3, vcc_hi, v2
	v_xor_b32_e32 v2, vcc_lo, v2
	v_and_b32_e32 v53, v53, v54
	v_and_b32_e32 v2, v5, v2
	;; [unrolled: 1-line block ×3, first 2 shown]
	v_mbcnt_lo_u32_b32 v5, v2, 0
	v_mbcnt_hi_u32_b32 v53, v3, v5
	v_cmp_ne_u64_e32 vcc, 0, v[2:3]
	v_cmp_eq_u32_e64 s[26:27], 0, v53
	s_and_b64 s[28:29], vcc, s[26:27]
	v_add_u32_e32 v54, v21, v4
	; wave barrier
	s_and_saveexec_b64 s[26:27], s[28:29]
	s_cbranch_execz .LBB23_16
; %bb.15:                               ;   in Loop: Header=BB23_4 Depth=2
	v_bcnt_u32_b32 v2, v2, 0
	v_bcnt_u32_b32 v2, v3, v2
	s_waitcnt lgkmcnt(0)
	v_add_u32_e32 v2, v52, v2
	ds_write_b32 v54, v2 offset:12
.LBB23_16:                              ;   in Loop: Header=BB23_4 Depth=2
	s_or_b64 exec, exec, s[26:27]
	v_lshrrev_b32_e32 v3, v33, v30
	v_and_b32_e32 v2, 0xff, v3
	v_mul_u32_u24_e32 v4, 12, v2
	v_mad_u32_u24 v2, v2, 12, v21
	; wave barrier
	ds_read_b32 v55, v2 offset:12
	v_and_b32_e32 v2, 1, v3
	v_add_co_u32_e32 v5, vcc, -1, v2
	v_addc_co_u32_e64 v56, s[26:27], 0, -1, vcc
	v_cmp_ne_u32_e32 vcc, 0, v2
	v_xor_b32_e32 v2, vcc_hi, v56
	v_and_b32_e32 v56, exec_hi, v2
	v_lshlrev_b32_e32 v2, 30, v3
	v_xor_b32_e32 v5, vcc_lo, v5
	v_cmp_gt_i64_e32 vcc, 0, v[1:2]
	v_not_b32_e32 v2, v2
	v_ashrrev_i32_e32 v2, 31, v2
	v_and_b32_e32 v5, exec_lo, v5
	v_xor_b32_e32 v57, vcc_hi, v2
	v_xor_b32_e32 v2, vcc_lo, v2
	v_and_b32_e32 v5, v5, v2
	v_lshlrev_b32_e32 v2, 29, v3
	v_cmp_gt_i64_e32 vcc, 0, v[1:2]
	v_not_b32_e32 v2, v2
	v_ashrrev_i32_e32 v2, 31, v2
	v_and_b32_e32 v56, v56, v57
	v_xor_b32_e32 v57, vcc_hi, v2
	v_xor_b32_e32 v2, vcc_lo, v2
	v_and_b32_e32 v5, v5, v2
	v_lshlrev_b32_e32 v2, 28, v3
	v_cmp_gt_i64_e32 vcc, 0, v[1:2]
	v_not_b32_e32 v2, v2
	v_ashrrev_i32_e32 v2, 31, v2
	v_and_b32_e32 v56, v56, v57
	;; [unrolled: 8-line block ×5, first 2 shown]
	v_xor_b32_e32 v57, vcc_hi, v2
	v_xor_b32_e32 v2, vcc_lo, v2
	v_and_b32_e32 v5, v5, v2
	v_lshlrev_b32_e32 v2, 24, v3
	v_cmp_gt_i64_e32 vcc, 0, v[1:2]
	v_not_b32_e32 v2, v2
	v_ashrrev_i32_e32 v2, 31, v2
	v_xor_b32_e32 v3, vcc_hi, v2
	v_xor_b32_e32 v2, vcc_lo, v2
	v_and_b32_e32 v56, v56, v57
	v_and_b32_e32 v2, v5, v2
	;; [unrolled: 1-line block ×3, first 2 shown]
	v_mbcnt_lo_u32_b32 v5, v2, 0
	v_mbcnt_hi_u32_b32 v56, v3, v5
	v_cmp_ne_u64_e32 vcc, 0, v[2:3]
	v_cmp_eq_u32_e64 s[26:27], 0, v56
	s_and_b64 s[28:29], vcc, s[26:27]
	v_add_u32_e32 v57, v21, v4
	; wave barrier
	s_and_saveexec_b64 s[26:27], s[28:29]
	s_cbranch_execz .LBB23_18
; %bb.17:                               ;   in Loop: Header=BB23_4 Depth=2
	v_bcnt_u32_b32 v2, v2, 0
	v_bcnt_u32_b32 v2, v3, v2
	s_waitcnt lgkmcnt(0)
	v_add_u32_e32 v2, v55, v2
	ds_write_b32 v57, v2 offset:12
.LBB23_18:                              ;   in Loop: Header=BB23_4 Depth=2
	s_or_b64 exec, exec, s[26:27]
	v_lshrrev_b32_e32 v3, v33, v27
	v_and_b32_e32 v2, 0xff, v3
	v_mul_u32_u24_e32 v4, 12, v2
	v_mad_u32_u24 v2, v2, 12, v21
	; wave barrier
	ds_read_b32 v58, v2 offset:12
	v_and_b32_e32 v2, 1, v3
	v_add_co_u32_e32 v5, vcc, -1, v2
	v_addc_co_u32_e64 v59, s[26:27], 0, -1, vcc
	v_cmp_ne_u32_e32 vcc, 0, v2
	v_xor_b32_e32 v2, vcc_hi, v59
	v_and_b32_e32 v59, exec_hi, v2
	v_lshlrev_b32_e32 v2, 30, v3
	v_xor_b32_e32 v5, vcc_lo, v5
	v_cmp_gt_i64_e32 vcc, 0, v[1:2]
	v_not_b32_e32 v2, v2
	v_ashrrev_i32_e32 v2, 31, v2
	v_and_b32_e32 v5, exec_lo, v5
	v_xor_b32_e32 v60, vcc_hi, v2
	v_xor_b32_e32 v2, vcc_lo, v2
	v_and_b32_e32 v5, v5, v2
	v_lshlrev_b32_e32 v2, 29, v3
	v_cmp_gt_i64_e32 vcc, 0, v[1:2]
	v_not_b32_e32 v2, v2
	v_ashrrev_i32_e32 v2, 31, v2
	v_and_b32_e32 v59, v59, v60
	v_xor_b32_e32 v60, vcc_hi, v2
	v_xor_b32_e32 v2, vcc_lo, v2
	v_and_b32_e32 v5, v5, v2
	v_lshlrev_b32_e32 v2, 28, v3
	v_cmp_gt_i64_e32 vcc, 0, v[1:2]
	v_not_b32_e32 v2, v2
	v_ashrrev_i32_e32 v2, 31, v2
	v_and_b32_e32 v59, v59, v60
	;; [unrolled: 8-line block ×5, first 2 shown]
	v_xor_b32_e32 v60, vcc_hi, v2
	v_xor_b32_e32 v2, vcc_lo, v2
	v_and_b32_e32 v5, v5, v2
	v_lshlrev_b32_e32 v2, 24, v3
	v_cmp_gt_i64_e32 vcc, 0, v[1:2]
	v_not_b32_e32 v2, v2
	v_ashrrev_i32_e32 v2, 31, v2
	v_xor_b32_e32 v3, vcc_hi, v2
	v_xor_b32_e32 v2, vcc_lo, v2
	v_and_b32_e32 v59, v59, v60
	v_and_b32_e32 v2, v5, v2
	;; [unrolled: 1-line block ×3, first 2 shown]
	v_mbcnt_lo_u32_b32 v5, v2, 0
	v_mbcnt_hi_u32_b32 v59, v3, v5
	v_cmp_ne_u64_e32 vcc, 0, v[2:3]
	v_cmp_eq_u32_e64 s[26:27], 0, v59
	s_and_b64 s[28:29], vcc, s[26:27]
	v_add_u32_e32 v60, v21, v4
	; wave barrier
	s_and_saveexec_b64 s[26:27], s[28:29]
	s_cbranch_execz .LBB23_20
; %bb.19:                               ;   in Loop: Header=BB23_4 Depth=2
	v_bcnt_u32_b32 v2, v2, 0
	v_bcnt_u32_b32 v2, v3, v2
	s_waitcnt lgkmcnt(0)
	v_add_u32_e32 v2, v58, v2
	ds_write_b32 v60, v2 offset:12
.LBB23_20:                              ;   in Loop: Header=BB23_4 Depth=2
	s_or_b64 exec, exec, s[26:27]
	; wave barrier
	s_waitcnt lgkmcnt(0)
	s_barrier
	ds_read2_b32 v[4:5], v23 offset0:3 offset1:4
	ds_read2_b32 v[2:3], v23 offset0:5 offset1:6
	s_waitcnt lgkmcnt(1)
	v_add_u32_e32 v61, v5, v4
	s_waitcnt lgkmcnt(0)
	v_add3_u32 v3, v61, v2, v3
	s_nop 1
	v_mov_b32_dpp v61, v3 row_shr:1 row_mask:0xf bank_mask:0xf
	v_cndmask_b32_e64 v61, v61, 0, s[2:3]
	v_add_u32_e32 v3, v61, v3
	s_nop 1
	v_mov_b32_dpp v61, v3 row_shr:2 row_mask:0xf bank_mask:0xf
	v_cndmask_b32_e64 v61, 0, v61, s[4:5]
	v_add_u32_e32 v3, v3, v61
	;; [unrolled: 4-line block ×4, first 2 shown]
	s_nop 1
	v_mov_b32_dpp v61, v3 row_bcast:15 row_mask:0xf bank_mask:0xf
	v_cndmask_b32_e64 v61, v61, 0, s[10:11]
	v_add_u32_e32 v3, v3, v61
	s_nop 1
	v_mov_b32_dpp v61, v3 row_bcast:31 row_mask:0xf bank_mask:0xf
	v_cndmask_b32_e64 v61, 0, v61, s[0:1]
	v_add_u32_e32 v3, v3, v61
	s_and_saveexec_b64 s[26:27], s[12:13]
; %bb.21:                               ;   in Loop: Header=BB23_4 Depth=2
	ds_write_b32 v20, v3
; %bb.22:                               ;   in Loop: Header=BB23_4 Depth=2
	s_or_b64 exec, exec, s[26:27]
	s_waitcnt lgkmcnt(0)
	s_barrier
	s_and_saveexec_b64 s[26:27], s[20:21]
	s_cbranch_execz .LBB23_24
; %bb.23:                               ;   in Loop: Header=BB23_4 Depth=2
	ds_read_b32 v61, v24
	s_waitcnt lgkmcnt(0)
	s_nop 0
	v_mov_b32_dpp v62, v61 row_shr:1 row_mask:0xf bank_mask:0xf
	v_cndmask_b32_e64 v62, v62, 0, s[16:17]
	v_add_u32_e32 v61, v62, v61
	s_nop 1
	v_mov_b32_dpp v62, v61 row_shr:2 row_mask:0xf bank_mask:0xf
	v_cndmask_b32_e64 v62, 0, v62, s[18:19]
	v_add_u32_e32 v61, v61, v62
	ds_write_b32 v24, v61
.LBB23_24:                              ;   in Loop: Header=BB23_4 Depth=2
	s_or_b64 exec, exec, s[26:27]
	v_mov_b32_e32 v61, 0
	s_waitcnt lgkmcnt(0)
	s_barrier
	s_and_saveexec_b64 s[26:27], s[22:23]
; %bb.25:                               ;   in Loop: Header=BB23_4 Depth=2
	v_add_u32_e32 v61, -4, v20
	ds_read_b32 v61, v61
; %bb.26:                               ;   in Loop: Header=BB23_4 Depth=2
	s_or_b64 exec, exec, s[26:27]
	s_waitcnt lgkmcnt(0)
	v_add_u32_e32 v3, v61, v3
	ds_bpermute_b32 v3, v19, v3
	v_cmp_lt_u32_e32 vcc, 23, v33
	s_and_b64 vcc, exec, vcc
	s_mov_b64 s[26:27], -1
	s_waitcnt lgkmcnt(0)
	v_cndmask_b32_e64 v3, v3, v61, s[14:15]
	v_cndmask_b32_e64 v3, v3, 0, s[24:25]
	v_add_u32_e32 v4, v3, v4
	v_add_u32_e32 v5, v4, v5
	v_add_u32_e32 v2, v5, v2
	ds_write2_b32 v23, v3, v4 offset0:3 offset1:4
	ds_write2_b32 v23, v5, v2 offset0:5 offset1:6
	s_waitcnt lgkmcnt(0)
	s_barrier
	ds_read_b32 v2, v39 offset:12
	ds_read_b32 v3, v42 offset:12
	;; [unrolled: 1-line block ×3, first 2 shown]
                                        ; implicit-def: $vgpr45
	s_waitcnt lgkmcnt(2)
	v_add_u32_e32 v42, v2, v38
	s_waitcnt lgkmcnt(1)
	v_add3_u32 v38, v41, v40, v3
	ds_read_b32 v2, v48 offset:12
	s_waitcnt lgkmcnt(1)
	v_add3_u32 v5, v44, v43, v4
	ds_read_b32 v3, v51 offset:12
	ds_read_b32 v4, v54 offset:12
	;; [unrolled: 1-line block ×4, first 2 shown]
                                        ; implicit-def: $vgpr48
                                        ; implicit-def: $vgpr44
                                        ; implicit-def: $vgpr57
                                        ; implicit-def: $vgpr54
                                        ; implicit-def: $vgpr51
	s_waitcnt lgkmcnt(3)
	v_add3_u32 v39, v50, v49, v3
	v_add3_u32 v40, v47, v46, v2
	s_waitcnt lgkmcnt(2)
	v_add3_u32 v4, v53, v52, v4
	s_waitcnt lgkmcnt(1)
	;; [unrolled: 2-line block ×3, first 2 shown]
	v_add3_u32 v2, v59, v58, v43
                                        ; implicit-def: $vgpr49
                                        ; implicit-def: $vgpr47
                                        ; implicit-def: $vgpr46
                                        ; implicit-def: $vgpr43
                                        ; implicit-def: $vgpr41
                                        ; implicit-def: $vgpr56
                                        ; implicit-def: $vgpr55
                                        ; implicit-def: $vgpr53
                                        ; implicit-def: $vgpr52
                                        ; implicit-def: $vgpr50
	s_cbranch_vccnz .LBB23_3
; %bb.27:                               ;   in Loop: Header=BB23_4 Depth=2
	v_lshrrev_b32_e32 v41, 3, v42
	v_and_b32_e32 v41, 0x1ffffffc, v41
	v_lshl_add_u32 v50, v42, 2, v41
	v_lshrrev_b32_e32 v41, 3, v38
	v_and_b32_e32 v41, 0x1ffffffc, v41
	v_lshl_add_u32 v51, v38, 2, v41
	;; [unrolled: 3-line block ×8, first 2 shown]
	s_barrier
	ds_write_b32 v50, v37
	ds_write_b32 v51, v36
	;; [unrolled: 1-line block ×8, first 2 shown]
	s_waitcnt lgkmcnt(0)
	s_barrier
	ds_read_b32 v41, v11
	ds_read_b32 v43, v12 offset:256
	ds_read_b32 v44, v13 offset:512
	;; [unrolled: 1-line block ×7, first 2 shown]
	s_waitcnt lgkmcnt(0)
	s_barrier
	ds_write_b32 v50, v29
	ds_write_b32 v51, v28
	;; [unrolled: 1-line block ×8, first 2 shown]
	s_waitcnt lgkmcnt(0)
	s_barrier
	ds_read_b32 v50, v11
	ds_read_b32 v51, v12 offset:256
	ds_read_b32 v52, v13 offset:512
	;; [unrolled: 1-line block ×7, first 2 shown]
	v_add_u32_e32 v33, 8, v33
	s_mov_b64 s[26:27], 0
	s_waitcnt lgkmcnt(0)
	s_barrier
	s_branch .LBB23_3
.LBB23_28:
	s_add_u32 s0, s30, s34
	s_addc_u32 s1, s31, s35
	v_lshlrev_b32_e32 v0, 2, v0
	s_waitcnt lgkmcnt(3)
	v_add_u32_e32 v1, v25, v2
	v_add_u32_e32 v2, v26, v3
	s_waitcnt lgkmcnt(2)
	v_add_u32_e32 v3, v27, v4
	v_add_u32_e32 v4, v28, v5
	;; [unrolled: 3-line block ×4, first 2 shown]
	v_mov_b32_e32 v9, s1
	v_add_co_u32_e32 v10, vcc, s0, v0
	v_addc_co_u32_e32 v9, vcc, 0, v9, vcc
	global_store_dword v0, v1, s[0:1]
	global_store_dword v0, v2, s[0:1] offset:768
	global_store_dword v0, v3, s[0:1] offset:1536
	;; [unrolled: 1-line block ×5, first 2 shown]
	v_add_co_u32_e32 v0, vcc, 0x1000, v10
	v_addc_co_u32_e32 v1, vcc, 0, v9, vcc
	global_store_dword v[0:1], v7, off offset:512
	global_store_dword v[0:1], v8, off offset:1280
	s_endpgm
	.section	.rodata,"a",@progbits
	.p2align	6, 0x0
	.amdhsa_kernel _Z17sort_pairs_kernelI22helper_blocked_blockediLj192ELj8ELj10EEvPKT0_PS1_
		.amdhsa_group_segment_fixed_size 6336
		.amdhsa_private_segment_fixed_size 0
		.amdhsa_kernarg_size 272
		.amdhsa_user_sgpr_count 6
		.amdhsa_user_sgpr_private_segment_buffer 1
		.amdhsa_user_sgpr_dispatch_ptr 0
		.amdhsa_user_sgpr_queue_ptr 0
		.amdhsa_user_sgpr_kernarg_segment_ptr 1
		.amdhsa_user_sgpr_dispatch_id 0
		.amdhsa_user_sgpr_flat_scratch_init 0
		.amdhsa_user_sgpr_private_segment_size 0
		.amdhsa_uses_dynamic_stack 0
		.amdhsa_system_sgpr_private_segment_wavefront_offset 0
		.amdhsa_system_sgpr_workgroup_id_x 1
		.amdhsa_system_sgpr_workgroup_id_y 0
		.amdhsa_system_sgpr_workgroup_id_z 0
		.amdhsa_system_sgpr_workgroup_info 0
		.amdhsa_system_vgpr_workitem_id 2
		.amdhsa_next_free_vgpr 63
		.amdhsa_next_free_sgpr 61
		.amdhsa_reserve_vcc 1
		.amdhsa_reserve_flat_scratch 0
		.amdhsa_float_round_mode_32 0
		.amdhsa_float_round_mode_16_64 0
		.amdhsa_float_denorm_mode_32 3
		.amdhsa_float_denorm_mode_16_64 3
		.amdhsa_dx10_clamp 1
		.amdhsa_ieee_mode 1
		.amdhsa_fp16_overflow 0
		.amdhsa_exception_fp_ieee_invalid_op 0
		.amdhsa_exception_fp_denorm_src 0
		.amdhsa_exception_fp_ieee_div_zero 0
		.amdhsa_exception_fp_ieee_overflow 0
		.amdhsa_exception_fp_ieee_underflow 0
		.amdhsa_exception_fp_ieee_inexact 0
		.amdhsa_exception_int_div_zero 0
	.end_amdhsa_kernel
	.section	.text._Z17sort_pairs_kernelI22helper_blocked_blockediLj192ELj8ELj10EEvPKT0_PS1_,"axG",@progbits,_Z17sort_pairs_kernelI22helper_blocked_blockediLj192ELj8ELj10EEvPKT0_PS1_,comdat
.Lfunc_end23:
	.size	_Z17sort_pairs_kernelI22helper_blocked_blockediLj192ELj8ELj10EEvPKT0_PS1_, .Lfunc_end23-_Z17sort_pairs_kernelI22helper_blocked_blockediLj192ELj8ELj10EEvPKT0_PS1_
                                        ; -- End function
	.set _Z17sort_pairs_kernelI22helper_blocked_blockediLj192ELj8ELj10EEvPKT0_PS1_.num_vgpr, 63
	.set _Z17sort_pairs_kernelI22helper_blocked_blockediLj192ELj8ELj10EEvPKT0_PS1_.num_agpr, 0
	.set _Z17sort_pairs_kernelI22helper_blocked_blockediLj192ELj8ELj10EEvPKT0_PS1_.numbered_sgpr, 38
	.set _Z17sort_pairs_kernelI22helper_blocked_blockediLj192ELj8ELj10EEvPKT0_PS1_.num_named_barrier, 0
	.set _Z17sort_pairs_kernelI22helper_blocked_blockediLj192ELj8ELj10EEvPKT0_PS1_.private_seg_size, 0
	.set _Z17sort_pairs_kernelI22helper_blocked_blockediLj192ELj8ELj10EEvPKT0_PS1_.uses_vcc, 1
	.set _Z17sort_pairs_kernelI22helper_blocked_blockediLj192ELj8ELj10EEvPKT0_PS1_.uses_flat_scratch, 0
	.set _Z17sort_pairs_kernelI22helper_blocked_blockediLj192ELj8ELj10EEvPKT0_PS1_.has_dyn_sized_stack, 0
	.set _Z17sort_pairs_kernelI22helper_blocked_blockediLj192ELj8ELj10EEvPKT0_PS1_.has_recursion, 0
	.set _Z17sort_pairs_kernelI22helper_blocked_blockediLj192ELj8ELj10EEvPKT0_PS1_.has_indirect_call, 0
	.section	.AMDGPU.csdata,"",@progbits
; Kernel info:
; codeLenInByte = 5632
; TotalNumSgprs: 42
; NumVgprs: 63
; ScratchSize: 0
; MemoryBound: 0
; FloatMode: 240
; IeeeMode: 1
; LDSByteSize: 6336 bytes/workgroup (compile time only)
; SGPRBlocks: 8
; VGPRBlocks: 15
; NumSGPRsForWavesPerEU: 65
; NumVGPRsForWavesPerEU: 63
; Occupancy: 4
; WaveLimiterHint : 1
; COMPUTE_PGM_RSRC2:SCRATCH_EN: 0
; COMPUTE_PGM_RSRC2:USER_SGPR: 6
; COMPUTE_PGM_RSRC2:TRAP_HANDLER: 0
; COMPUTE_PGM_RSRC2:TGID_X_EN: 1
; COMPUTE_PGM_RSRC2:TGID_Y_EN: 0
; COMPUTE_PGM_RSRC2:TGID_Z_EN: 0
; COMPUTE_PGM_RSRC2:TIDIG_COMP_CNT: 2
	.section	.text._Z16sort_keys_kernelI22helper_blocked_blockediLj256ELj1ELj10EEvPKT0_PS1_,"axG",@progbits,_Z16sort_keys_kernelI22helper_blocked_blockediLj256ELj1ELj10EEvPKT0_PS1_,comdat
	.protected	_Z16sort_keys_kernelI22helper_blocked_blockediLj256ELj1ELj10EEvPKT0_PS1_ ; -- Begin function _Z16sort_keys_kernelI22helper_blocked_blockediLj256ELj1ELj10EEvPKT0_PS1_
	.globl	_Z16sort_keys_kernelI22helper_blocked_blockediLj256ELj1ELj10EEvPKT0_PS1_
	.p2align	8
	.type	_Z16sort_keys_kernelI22helper_blocked_blockediLj256ELj1ELj10EEvPKT0_PS1_,@function
_Z16sort_keys_kernelI22helper_blocked_blockediLj256ELj1ELj10EEvPKT0_PS1_: ; @_Z16sort_keys_kernelI22helper_blocked_blockediLj256ELj1ELj10EEvPKT0_PS1_
; %bb.0:
	s_load_dwordx4 s[28:31], s[4:5], 0x0
	s_load_dword s26, s[4:5], 0x1c
	s_lshl_b32 s34, s6, 8
	s_mov_b32 s35, 0
	s_lshl_b64 s[36:37], s[34:35], 2
	s_waitcnt lgkmcnt(0)
	s_add_u32 s0, s28, s36
	s_addc_u32 s1, s29, s37
	v_lshlrev_b32_e32 v3, 2, v0
	global_load_dword v3, v3, s[0:1]
	v_mbcnt_lo_u32_b32 v4, -1, 0
	v_mbcnt_hi_u32_b32 v4, -1, v4
	v_subrev_co_u32_e64 v24, s[4:5], 1, v4
	v_and_b32_e32 v25, 64, v4
	v_and_b32_e32 v9, 15, v4
	v_cmp_lt_i32_e64 s[24:25], v24, v25
	v_cmp_eq_u32_e64 s[8:9], 0, v9
	v_cmp_lt_u32_e64 s[10:11], 1, v9
	v_cmp_lt_u32_e64 s[12:13], 3, v9
	;; [unrolled: 1-line block ×3, first 2 shown]
	v_cndmask_b32_e64 v9, v24, v4, s[24:25]
	s_lshr_b32 s24, s26, 16
	s_and_b32 s25, s26, 0xffff
	v_mad_u32_u24 v1, v2, s24, v1
	v_mad_u64_u32 v[1:2], s[24:25], v1, s25, v[0:1]
	v_and_b32_e32 v6, 0xc0, v0
	v_lshlrev_b32_e32 v20, 4, v0
	v_lshrrev_b32_e32 v7, 4, v0
	v_mul_i32_i24_e32 v8, -12, v0
	s_mov_b32 s28, s35
	v_and_b32_e32 v10, 16, v4
	s_mov_b32 s34, s35
	s_mov_b32 s29, s35
	v_or_b32_e32 v23, 63, v6
	v_and_b32_e32 v26, 3, v4
	v_lshlrev_b32_e32 v6, 2, v6
	v_and_b32_e32 v21, 12, v7
	v_add_u32_e32 v22, v20, v8
	v_cmp_eq_u32_e64 s[16:17], 0, v10
	v_mov_b32_e32 v7, s34
	v_lshlrev_b32_e32 v25, 2, v9
	v_lshrrev_b32_e32 v1, 4, v1
	v_mov_b32_e32 v9, s28
	v_mov_b32_e32 v5, 0
	s_mov_b32 s33, 10
	s_movk_i32 s38, 0xff
	v_mov_b32_e32 v11, 4
	v_mov_b32_e32 v12, 1
	;; [unrolled: 1-line block ×9, first 2 shown]
	v_cmp_gt_u32_e32 vcc, 4, v0
	v_cmp_lt_u32_e64 s[0:1], 63, v0
	v_cmp_eq_u32_e64 s[2:3], 0, v0
	v_cmp_lt_u32_e64 s[6:7], 31, v4
	v_cmp_eq_u32_e64 s[18:19], v0, v23
	v_cmp_eq_u32_e64 s[20:21], 0, v26
	v_cmp_lt_u32_e64 s[22:23], 1, v26
	v_lshl_add_u32 v23, v4, 2, v6
	v_add_u32_e32 v24, -4, v21
	v_mov_b32_e32 v8, s35
	v_and_b32_e32 v26, 0xffffffc, v1
	v_mov_b32_e32 v10, s29
	s_waitcnt vmcnt(0)
	v_xor_b32_e32 v27, 0x80000000, v3
	s_branch .LBB24_2
.LBB24_1:                               ;   in Loop: Header=BB24_2 Depth=1
	s_or_b64 exec, exec, s[24:25]
	s_waitcnt lgkmcnt(0)
	v_add_u32_e32 v4, v29, v4
	ds_bpermute_b32 v4, v25, v4
	s_add_i32 s33, s33, -1
	s_cmp_eq_u32 s33, 0
	s_waitcnt lgkmcnt(0)
	v_cndmask_b32_e64 v4, v4, v29, s[4:5]
	v_cndmask_b32_e64 v29, v4, 0, s[2:3]
	v_add_u32_e32 v30, v29, v1
	v_add_u32_e32 v1, v30, v2
	;; [unrolled: 1-line block ×3, first 2 shown]
	ds_write2_b64 v20, v[29:30], v[1:2] offset0:2 offset1:3
	s_waitcnt lgkmcnt(0)
	s_barrier
	ds_read_b32 v1, v28 offset:16
	v_lshlrev_b32_e32 v2, 2, v6
	s_waitcnt lgkmcnt(0)
	s_barrier
	v_lshl_add_u32 v1, v1, 2, v2
	ds_write_b32 v1, v27
	s_waitcnt lgkmcnt(0)
	s_barrier
	ds_read_b32 v27, v22
	s_cbranch_scc1 .LBB24_34
.LBB24_2:                               ; =>This Inner Loop Header: Depth=1
	s_waitcnt lgkmcnt(0)
	v_and_b32_e32 v1, 1, v27
	v_add_co_u32_e64 v2, s[24:25], -1, v1
	v_addc_co_u32_e64 v4, s[24:25], 0, -1, s[24:25]
	v_cmp_ne_u32_e64 s[24:25], 0, v1
	v_lshlrev_b32_e32 v6, 30, v27
	v_xor_b32_e32 v1, s25, v4
	v_xor_b32_e32 v2, s24, v2
	v_cmp_gt_i64_e64 s[24:25], 0, v[5:6]
	v_not_b32_e32 v4, v6
	v_ashrrev_i32_e32 v4, 31, v4
	v_and_b32_e32 v1, exec_hi, v1
	v_xor_b32_e32 v6, s25, v4
	v_and_b32_e32 v2, exec_lo, v2
	v_xor_b32_e32 v4, s24, v4
	v_and_b32_e32 v1, v1, v6
	v_lshlrev_b32_e32 v6, 29, v27
	v_and_b32_e32 v2, v2, v4
	v_cmp_gt_i64_e64 s[24:25], 0, v[5:6]
	v_not_b32_e32 v4, v6
	v_ashrrev_i32_e32 v4, 31, v4
	v_xor_b32_e32 v6, s25, v4
	v_xor_b32_e32 v4, s24, v4
	v_and_b32_e32 v1, v1, v6
	v_lshlrev_b32_e32 v6, 28, v27
	v_and_b32_e32 v2, v2, v4
	v_cmp_gt_i64_e64 s[24:25], 0, v[5:6]
	v_not_b32_e32 v4, v6
	v_ashrrev_i32_e32 v4, 31, v4
	v_xor_b32_e32 v6, s25, v4
	;; [unrolled: 8-line block ×6, first 2 shown]
	v_xor_b32_e32 v28, s24, v2
	v_and_b32_e32 v2, v1, v6
	v_and_b32_e32 v1, v4, v28
	v_mbcnt_lo_u32_b32 v4, v1, 0
	v_mbcnt_hi_u32_b32 v6, v2, v4
	v_cmp_ne_u64_e64 s[24:25], 0, v[1:2]
	v_lshlrev_b32_sdwa v3, v11, v27 dst_sel:DWORD dst_unused:UNUSED_PAD src0_sel:DWORD src1_sel:BYTE_0
	v_cmp_eq_u32_e64 s[26:27], 0, v6
	s_and_b64 s[26:27], s[24:25], s[26:27]
	v_add_u32_e32 v28, v26, v3
	ds_write2_b64 v20, v[7:8], v[9:10] offset0:2 offset1:3
	s_waitcnt lgkmcnt(0)
	s_barrier
	; wave barrier
	s_and_saveexec_b64 s[24:25], s[26:27]
; %bb.3:                                ;   in Loop: Header=BB24_2 Depth=1
	v_bcnt_u32_b32 v1, v1, 0
	v_bcnt_u32_b32 v1, v2, v1
	ds_write_b32 v28, v1 offset:16
; %bb.4:                                ;   in Loop: Header=BB24_2 Depth=1
	s_or_b64 exec, exec, s[24:25]
	; wave barrier
	s_waitcnt lgkmcnt(0)
	s_barrier
	ds_read2_b64 v[1:4], v20 offset0:2 offset1:3
	s_waitcnt lgkmcnt(0)
	v_add_u32_e32 v29, v2, v1
	v_add3_u32 v4, v29, v3, v4
	s_nop 1
	v_mov_b32_dpp v29, v4 row_shr:1 row_mask:0xf bank_mask:0xf
	v_cndmask_b32_e64 v29, v29, 0, s[8:9]
	v_add_u32_e32 v4, v29, v4
	s_nop 1
	v_mov_b32_dpp v29, v4 row_shr:2 row_mask:0xf bank_mask:0xf
	v_cndmask_b32_e64 v29, 0, v29, s[10:11]
	v_add_u32_e32 v4, v4, v29
	;; [unrolled: 4-line block ×4, first 2 shown]
	s_nop 1
	v_mov_b32_dpp v29, v4 row_bcast:15 row_mask:0xf bank_mask:0xf
	v_cndmask_b32_e64 v29, v29, 0, s[16:17]
	v_add_u32_e32 v4, v4, v29
	s_nop 1
	v_mov_b32_dpp v29, v4 row_bcast:31 row_mask:0xf bank_mask:0xf
	v_cndmask_b32_e64 v29, 0, v29, s[6:7]
	v_add_u32_e32 v4, v4, v29
	s_and_saveexec_b64 s[24:25], s[18:19]
; %bb.5:                                ;   in Loop: Header=BB24_2 Depth=1
	ds_write_b32 v21, v4
; %bb.6:                                ;   in Loop: Header=BB24_2 Depth=1
	s_or_b64 exec, exec, s[24:25]
	s_waitcnt lgkmcnt(0)
	s_barrier
	s_and_saveexec_b64 s[24:25], vcc
	s_cbranch_execz .LBB24_8
; %bb.7:                                ;   in Loop: Header=BB24_2 Depth=1
	ds_read_b32 v29, v22
	s_waitcnt lgkmcnt(0)
	s_nop 0
	v_mov_b32_dpp v30, v29 row_shr:1 row_mask:0xf bank_mask:0xf
	v_cndmask_b32_e64 v30, v30, 0, s[20:21]
	v_add_u32_e32 v29, v30, v29
	s_nop 1
	v_mov_b32_dpp v30, v29 row_shr:2 row_mask:0xf bank_mask:0xf
	v_cndmask_b32_e64 v30, 0, v30, s[22:23]
	v_add_u32_e32 v29, v29, v30
	ds_write_b32 v22, v29
.LBB24_8:                               ;   in Loop: Header=BB24_2 Depth=1
	s_or_b64 exec, exec, s[24:25]
	v_mov_b32_e32 v29, 0
	s_waitcnt lgkmcnt(0)
	s_barrier
	s_and_saveexec_b64 s[24:25], s[0:1]
; %bb.9:                                ;   in Loop: Header=BB24_2 Depth=1
	ds_read_b32 v29, v24
; %bb.10:                               ;   in Loop: Header=BB24_2 Depth=1
	s_or_b64 exec, exec, s[24:25]
	s_waitcnt lgkmcnt(0)
	v_add_u32_e32 v4, v29, v4
	ds_bpermute_b32 v4, v25, v4
	s_waitcnt lgkmcnt(0)
	v_cndmask_b32_e64 v4, v4, v29, s[4:5]
	v_cndmask_b32_e64 v29, v4, 0, s[2:3]
	v_add_u32_e32 v30, v29, v1
	v_add_u32_e32 v1, v30, v2
	;; [unrolled: 1-line block ×3, first 2 shown]
	ds_write2_b64 v20, v[29:30], v[1:2] offset0:2 offset1:3
	s_waitcnt lgkmcnt(0)
	s_barrier
	ds_read_b32 v1, v28 offset:16
	v_lshlrev_b32_e32 v2, 2, v6
	s_waitcnt lgkmcnt(0)
	s_barrier
	v_lshl_add_u32 v1, v1, 2, v2
	ds_write_b32 v1, v27
	s_waitcnt lgkmcnt(0)
	s_barrier
	ds_read_b32 v27, v23
	s_waitcnt lgkmcnt(0)
	s_barrier
	ds_write2_b64 v20, v[7:8], v[9:10] offset0:2 offset1:3
	v_lshrrev_b32_e32 v1, 8, v27
	v_and_b32_e32 v2, 1, v1
	v_add_co_u32_e64 v4, s[24:25], -1, v2
	v_addc_co_u32_e64 v6, s[24:25], 0, -1, s[24:25]
	v_cmp_ne_u32_e64 s[24:25], 0, v2
	v_xor_b32_e32 v2, s25, v6
	v_lshlrev_b32_e32 v6, 30, v1
	v_xor_b32_e32 v4, s24, v4
	v_cmp_gt_i64_e64 s[24:25], 0, v[5:6]
	v_not_b32_e32 v6, v6
	v_ashrrev_i32_e32 v6, 31, v6
	v_and_b32_e32 v4, exec_lo, v4
	v_xor_b32_e32 v28, s25, v6
	v_xor_b32_e32 v6, s24, v6
	v_and_b32_e32 v4, v4, v6
	v_lshlrev_b32_e32 v6, 29, v1
	v_cmp_gt_i64_e64 s[24:25], 0, v[5:6]
	v_not_b32_e32 v6, v6
	v_and_b32_e32 v2, exec_hi, v2
	v_ashrrev_i32_e32 v6, 31, v6
	v_and_b32_e32 v2, v2, v28
	v_xor_b32_e32 v28, s25, v6
	v_xor_b32_e32 v6, s24, v6
	v_and_b32_e32 v4, v4, v6
	v_lshlrev_b32_e32 v6, 28, v1
	v_cmp_gt_i64_e64 s[24:25], 0, v[5:6]
	v_not_b32_e32 v6, v6
	v_ashrrev_i32_e32 v6, 31, v6
	v_and_b32_e32 v2, v2, v28
	v_xor_b32_e32 v28, s25, v6
	v_xor_b32_e32 v6, s24, v6
	v_and_b32_e32 v4, v4, v6
	v_lshlrev_b32_e32 v6, 27, v1
	v_cmp_gt_i64_e64 s[24:25], 0, v[5:6]
	v_not_b32_e32 v6, v6
	;; [unrolled: 8-line block ×4, first 2 shown]
	v_ashrrev_i32_e32 v6, 31, v6
	v_and_b32_e32 v2, v2, v28
	v_xor_b32_e32 v28, s25, v6
	v_xor_b32_e32 v6, s24, v6
	v_and_b32_e32 v4, v4, v6
	v_lshlrev_b32_e32 v6, 24, v1
	v_lshlrev_b32_sdwa v3, v11, v1 dst_sel:DWORD dst_unused:UNUSED_PAD src0_sel:DWORD src1_sel:BYTE_0
	v_cmp_gt_i64_e64 s[24:25], 0, v[5:6]
	v_not_b32_e32 v1, v6
	v_ashrrev_i32_e32 v1, 31, v1
	v_xor_b32_e32 v6, s25, v1
	v_xor_b32_e32 v1, s24, v1
	v_and_b32_e32 v2, v2, v28
	v_and_b32_e32 v1, v4, v1
	;; [unrolled: 1-line block ×3, first 2 shown]
	v_mbcnt_lo_u32_b32 v4, v1, 0
	v_mbcnt_hi_u32_b32 v6, v2, v4
	v_cmp_ne_u64_e64 s[24:25], 0, v[1:2]
	v_cmp_eq_u32_e64 s[26:27], 0, v6
	s_and_b64 s[26:27], s[24:25], s[26:27]
	v_add_u32_e32 v28, v26, v3
	s_waitcnt lgkmcnt(0)
	s_barrier
	; wave barrier
	s_and_saveexec_b64 s[24:25], s[26:27]
; %bb.11:                               ;   in Loop: Header=BB24_2 Depth=1
	v_bcnt_u32_b32 v1, v1, 0
	v_bcnt_u32_b32 v1, v2, v1
	ds_write_b32 v28, v1 offset:16
; %bb.12:                               ;   in Loop: Header=BB24_2 Depth=1
	s_or_b64 exec, exec, s[24:25]
	; wave barrier
	s_waitcnt lgkmcnt(0)
	s_barrier
	ds_read2_b64 v[1:4], v20 offset0:2 offset1:3
	s_waitcnt lgkmcnt(0)
	v_add_u32_e32 v29, v2, v1
	v_add3_u32 v4, v29, v3, v4
	s_nop 1
	v_mov_b32_dpp v29, v4 row_shr:1 row_mask:0xf bank_mask:0xf
	v_cndmask_b32_e64 v29, v29, 0, s[8:9]
	v_add_u32_e32 v4, v29, v4
	s_nop 1
	v_mov_b32_dpp v29, v4 row_shr:2 row_mask:0xf bank_mask:0xf
	v_cndmask_b32_e64 v29, 0, v29, s[10:11]
	v_add_u32_e32 v4, v4, v29
	;; [unrolled: 4-line block ×4, first 2 shown]
	s_nop 1
	v_mov_b32_dpp v29, v4 row_bcast:15 row_mask:0xf bank_mask:0xf
	v_cndmask_b32_e64 v29, v29, 0, s[16:17]
	v_add_u32_e32 v4, v4, v29
	s_nop 1
	v_mov_b32_dpp v29, v4 row_bcast:31 row_mask:0xf bank_mask:0xf
	v_cndmask_b32_e64 v29, 0, v29, s[6:7]
	v_add_u32_e32 v4, v4, v29
	s_and_saveexec_b64 s[24:25], s[18:19]
; %bb.13:                               ;   in Loop: Header=BB24_2 Depth=1
	ds_write_b32 v21, v4
; %bb.14:                               ;   in Loop: Header=BB24_2 Depth=1
	s_or_b64 exec, exec, s[24:25]
	s_waitcnt lgkmcnt(0)
	s_barrier
	s_and_saveexec_b64 s[24:25], vcc
	s_cbranch_execz .LBB24_16
; %bb.15:                               ;   in Loop: Header=BB24_2 Depth=1
	ds_read_b32 v29, v22
	s_waitcnt lgkmcnt(0)
	s_nop 0
	v_mov_b32_dpp v30, v29 row_shr:1 row_mask:0xf bank_mask:0xf
	v_cndmask_b32_e64 v30, v30, 0, s[20:21]
	v_add_u32_e32 v29, v30, v29
	s_nop 1
	v_mov_b32_dpp v30, v29 row_shr:2 row_mask:0xf bank_mask:0xf
	v_cndmask_b32_e64 v30, 0, v30, s[22:23]
	v_add_u32_e32 v29, v29, v30
	ds_write_b32 v22, v29
.LBB24_16:                              ;   in Loop: Header=BB24_2 Depth=1
	s_or_b64 exec, exec, s[24:25]
	v_mov_b32_e32 v29, 0
	s_waitcnt lgkmcnt(0)
	s_barrier
	s_and_saveexec_b64 s[24:25], s[0:1]
; %bb.17:                               ;   in Loop: Header=BB24_2 Depth=1
	ds_read_b32 v29, v24
; %bb.18:                               ;   in Loop: Header=BB24_2 Depth=1
	s_or_b64 exec, exec, s[24:25]
	s_waitcnt lgkmcnt(0)
	v_add_u32_e32 v4, v29, v4
	ds_bpermute_b32 v4, v25, v4
	s_waitcnt lgkmcnt(0)
	v_cndmask_b32_e64 v4, v4, v29, s[4:5]
	v_cndmask_b32_e64 v29, v4, 0, s[2:3]
	v_add_u32_e32 v30, v29, v1
	v_add_u32_e32 v1, v30, v2
	v_add_u32_e32 v2, v1, v3
	ds_write2_b64 v20, v[29:30], v[1:2] offset0:2 offset1:3
	s_waitcnt lgkmcnt(0)
	s_barrier
	ds_read_b32 v1, v28 offset:16
	v_lshlrev_b32_e32 v2, 2, v6
	s_waitcnt lgkmcnt(0)
	s_barrier
	v_lshl_add_u32 v1, v1, 2, v2
	ds_write_b32 v1, v27
	s_waitcnt lgkmcnt(0)
	s_barrier
	ds_read_b32 v27, v23
	v_mov_b32_e32 v1, s34
	v_mov_b32_e32 v3, s28
	;; [unrolled: 1-line block ×4, first 2 shown]
	s_waitcnt lgkmcnt(0)
	s_barrier
	ds_write2_b64 v20, v[1:2], v[3:4] offset0:2 offset1:3
	v_and_b32_sdwa v1, v27, s38 dst_sel:DWORD dst_unused:UNUSED_PAD src0_sel:WORD_1 src1_sel:DWORD
	v_lshlrev_b32_e32 v3, 4, v1
	v_and_b32_sdwa v1, v27, v12 dst_sel:DWORD dst_unused:UNUSED_PAD src0_sel:WORD_1 src1_sel:DWORD
	v_add_co_u32_e64 v2, s[24:25], -1, v1
	v_addc_co_u32_e64 v4, s[24:25], 0, -1, s[24:25]
	v_cmp_ne_u32_e64 s[24:25], 0, v1
	v_lshlrev_b32_sdwa v6, v13, v27 dst_sel:DWORD dst_unused:UNUSED_PAD src0_sel:DWORD src1_sel:WORD_1
	v_xor_b32_e32 v1, s25, v4
	v_xor_b32_e32 v2, s24, v2
	v_cmp_gt_i64_e64 s[24:25], 0, v[5:6]
	v_not_b32_e32 v4, v6
	v_ashrrev_i32_e32 v4, 31, v4
	v_and_b32_e32 v1, exec_hi, v1
	v_xor_b32_e32 v6, s25, v4
	v_and_b32_e32 v2, exec_lo, v2
	v_xor_b32_e32 v4, s24, v4
	v_and_b32_e32 v1, v1, v6
	v_lshlrev_b32_sdwa v6, v14, v27 dst_sel:DWORD dst_unused:UNUSED_PAD src0_sel:DWORD src1_sel:WORD_1
	v_and_b32_e32 v2, v2, v4
	v_cmp_gt_i64_e64 s[24:25], 0, v[5:6]
	v_not_b32_e32 v4, v6
	v_ashrrev_i32_e32 v4, 31, v4
	v_xor_b32_e32 v6, s25, v4
	v_xor_b32_e32 v4, s24, v4
	v_and_b32_e32 v1, v1, v6
	v_lshlrev_b32_sdwa v6, v15, v27 dst_sel:DWORD dst_unused:UNUSED_PAD src0_sel:DWORD src1_sel:WORD_1
	v_and_b32_e32 v2, v2, v4
	v_cmp_gt_i64_e64 s[24:25], 0, v[5:6]
	v_not_b32_e32 v4, v6
	v_ashrrev_i32_e32 v4, 31, v4
	v_xor_b32_e32 v6, s25, v4
	;; [unrolled: 8-line block ×6, first 2 shown]
	v_xor_b32_e32 v28, s24, v2
	v_and_b32_e32 v2, v1, v6
	v_and_b32_e32 v1, v4, v28
	v_mbcnt_lo_u32_b32 v4, v1, 0
	v_mbcnt_hi_u32_b32 v6, v2, v4
	v_cmp_ne_u64_e64 s[24:25], 0, v[1:2]
	v_cmp_eq_u32_e64 s[26:27], 0, v6
	s_and_b64 s[26:27], s[24:25], s[26:27]
	v_add_u32_e32 v28, v26, v3
	s_waitcnt lgkmcnt(0)
	s_barrier
	; wave barrier
	s_and_saveexec_b64 s[24:25], s[26:27]
; %bb.19:                               ;   in Loop: Header=BB24_2 Depth=1
	v_bcnt_u32_b32 v1, v1, 0
	v_bcnt_u32_b32 v1, v2, v1
	ds_write_b32 v28, v1 offset:16
; %bb.20:                               ;   in Loop: Header=BB24_2 Depth=1
	s_or_b64 exec, exec, s[24:25]
	; wave barrier
	s_waitcnt lgkmcnt(0)
	s_barrier
	ds_read2_b64 v[1:4], v20 offset0:2 offset1:3
	s_waitcnt lgkmcnt(0)
	v_add_u32_e32 v29, v2, v1
	v_add3_u32 v4, v29, v3, v4
	s_nop 1
	v_mov_b32_dpp v29, v4 row_shr:1 row_mask:0xf bank_mask:0xf
	v_cndmask_b32_e64 v29, v29, 0, s[8:9]
	v_add_u32_e32 v4, v29, v4
	s_nop 1
	v_mov_b32_dpp v29, v4 row_shr:2 row_mask:0xf bank_mask:0xf
	v_cndmask_b32_e64 v29, 0, v29, s[10:11]
	v_add_u32_e32 v4, v4, v29
	;; [unrolled: 4-line block ×4, first 2 shown]
	s_nop 1
	v_mov_b32_dpp v29, v4 row_bcast:15 row_mask:0xf bank_mask:0xf
	v_cndmask_b32_e64 v29, v29, 0, s[16:17]
	v_add_u32_e32 v4, v4, v29
	s_nop 1
	v_mov_b32_dpp v29, v4 row_bcast:31 row_mask:0xf bank_mask:0xf
	v_cndmask_b32_e64 v29, 0, v29, s[6:7]
	v_add_u32_e32 v4, v4, v29
	s_and_saveexec_b64 s[24:25], s[18:19]
; %bb.21:                               ;   in Loop: Header=BB24_2 Depth=1
	ds_write_b32 v21, v4
; %bb.22:                               ;   in Loop: Header=BB24_2 Depth=1
	s_or_b64 exec, exec, s[24:25]
	s_waitcnt lgkmcnt(0)
	s_barrier
	s_and_saveexec_b64 s[24:25], vcc
	s_cbranch_execz .LBB24_24
; %bb.23:                               ;   in Loop: Header=BB24_2 Depth=1
	ds_read_b32 v29, v22
	s_waitcnt lgkmcnt(0)
	s_nop 0
	v_mov_b32_dpp v30, v29 row_shr:1 row_mask:0xf bank_mask:0xf
	v_cndmask_b32_e64 v30, v30, 0, s[20:21]
	v_add_u32_e32 v29, v30, v29
	s_nop 1
	v_mov_b32_dpp v30, v29 row_shr:2 row_mask:0xf bank_mask:0xf
	v_cndmask_b32_e64 v30, 0, v30, s[22:23]
	v_add_u32_e32 v29, v29, v30
	ds_write_b32 v22, v29
.LBB24_24:                              ;   in Loop: Header=BB24_2 Depth=1
	s_or_b64 exec, exec, s[24:25]
	v_mov_b32_e32 v29, 0
	s_waitcnt lgkmcnt(0)
	s_barrier
	s_and_saveexec_b64 s[24:25], s[0:1]
; %bb.25:                               ;   in Loop: Header=BB24_2 Depth=1
	ds_read_b32 v29, v24
; %bb.26:                               ;   in Loop: Header=BB24_2 Depth=1
	s_or_b64 exec, exec, s[24:25]
	s_waitcnt lgkmcnt(0)
	v_add_u32_e32 v4, v29, v4
	ds_bpermute_b32 v4, v25, v4
	s_waitcnt lgkmcnt(0)
	v_cndmask_b32_e64 v4, v4, v29, s[4:5]
	v_cndmask_b32_e64 v29, v4, 0, s[2:3]
	v_add_u32_e32 v30, v29, v1
	v_add_u32_e32 v1, v30, v2
	;; [unrolled: 1-line block ×3, first 2 shown]
	ds_write2_b64 v20, v[29:30], v[1:2] offset0:2 offset1:3
	s_waitcnt lgkmcnt(0)
	s_barrier
	ds_read_b32 v1, v28 offset:16
	v_lshlrev_b32_e32 v2, 2, v6
	s_waitcnt lgkmcnt(0)
	s_barrier
	v_lshl_add_u32 v1, v1, 2, v2
	ds_write_b32 v1, v27
	s_waitcnt lgkmcnt(0)
	s_barrier
	ds_read_b32 v27, v23
	v_mov_b32_e32 v1, s34
	v_mov_b32_e32 v3, s28
	;; [unrolled: 1-line block ×4, first 2 shown]
	s_waitcnt lgkmcnt(0)
	s_barrier
	ds_write2_b64 v20, v[1:2], v[3:4] offset0:2 offset1:3
	v_and_b32_sdwa v1, v27, v12 dst_sel:DWORD dst_unused:UNUSED_PAD src0_sel:BYTE_3 src1_sel:DWORD
	v_add_co_u32_e64 v2, s[24:25], -1, v1
	v_addc_co_u32_e64 v4, s[24:25], 0, -1, s[24:25]
	v_cmp_ne_u32_e64 s[24:25], 0, v1
	v_lshlrev_b32_sdwa v6, v13, v27 dst_sel:DWORD dst_unused:UNUSED_PAD src0_sel:DWORD src1_sel:BYTE_3
	v_xor_b32_e32 v1, s25, v4
	v_xor_b32_e32 v2, s24, v2
	v_cmp_gt_i64_e64 s[24:25], 0, v[5:6]
	v_not_b32_e32 v4, v6
	v_ashrrev_i32_e32 v4, 31, v4
	v_and_b32_e32 v1, exec_hi, v1
	v_xor_b32_e32 v6, s25, v4
	v_and_b32_e32 v2, exec_lo, v2
	v_xor_b32_e32 v4, s24, v4
	v_and_b32_e32 v1, v1, v6
	v_lshlrev_b32_sdwa v6, v14, v27 dst_sel:DWORD dst_unused:UNUSED_PAD src0_sel:DWORD src1_sel:BYTE_3
	v_and_b32_e32 v2, v2, v4
	v_cmp_gt_i64_e64 s[24:25], 0, v[5:6]
	v_not_b32_e32 v4, v6
	v_ashrrev_i32_e32 v4, 31, v4
	v_xor_b32_e32 v6, s25, v4
	v_xor_b32_e32 v4, s24, v4
	v_and_b32_e32 v1, v1, v6
	v_lshlrev_b32_sdwa v6, v15, v27 dst_sel:DWORD dst_unused:UNUSED_PAD src0_sel:DWORD src1_sel:BYTE_3
	v_and_b32_e32 v2, v2, v4
	v_cmp_gt_i64_e64 s[24:25], 0, v[5:6]
	v_not_b32_e32 v4, v6
	v_ashrrev_i32_e32 v4, 31, v4
	v_xor_b32_e32 v6, s25, v4
	;; [unrolled: 8-line block ×6, first 2 shown]
	v_xor_b32_e32 v28, s24, v2
	v_and_b32_e32 v2, v1, v6
	v_and_b32_e32 v1, v4, v28
	v_mbcnt_lo_u32_b32 v4, v1, 0
	v_mbcnt_hi_u32_b32 v6, v2, v4
	v_cmp_ne_u64_e64 s[24:25], 0, v[1:2]
	v_lshlrev_b32_sdwa v3, v11, v27 dst_sel:DWORD dst_unused:UNUSED_PAD src0_sel:DWORD src1_sel:BYTE_3
	v_cmp_eq_u32_e64 s[26:27], 0, v6
	s_and_b64 s[26:27], s[24:25], s[26:27]
	v_add_u32_e32 v28, v26, v3
	s_waitcnt lgkmcnt(0)
	s_barrier
	; wave barrier
	s_and_saveexec_b64 s[24:25], s[26:27]
; %bb.27:                               ;   in Loop: Header=BB24_2 Depth=1
	v_bcnt_u32_b32 v1, v1, 0
	v_bcnt_u32_b32 v1, v2, v1
	ds_write_b32 v28, v1 offset:16
; %bb.28:                               ;   in Loop: Header=BB24_2 Depth=1
	s_or_b64 exec, exec, s[24:25]
	; wave barrier
	s_waitcnt lgkmcnt(0)
	s_barrier
	ds_read2_b64 v[1:4], v20 offset0:2 offset1:3
	s_waitcnt lgkmcnt(0)
	v_add_u32_e32 v29, v2, v1
	v_add3_u32 v4, v29, v3, v4
	s_nop 1
	v_mov_b32_dpp v29, v4 row_shr:1 row_mask:0xf bank_mask:0xf
	v_cndmask_b32_e64 v29, v29, 0, s[8:9]
	v_add_u32_e32 v4, v29, v4
	s_nop 1
	v_mov_b32_dpp v29, v4 row_shr:2 row_mask:0xf bank_mask:0xf
	v_cndmask_b32_e64 v29, 0, v29, s[10:11]
	v_add_u32_e32 v4, v4, v29
	;; [unrolled: 4-line block ×4, first 2 shown]
	s_nop 1
	v_mov_b32_dpp v29, v4 row_bcast:15 row_mask:0xf bank_mask:0xf
	v_cndmask_b32_e64 v29, v29, 0, s[16:17]
	v_add_u32_e32 v4, v4, v29
	s_nop 1
	v_mov_b32_dpp v29, v4 row_bcast:31 row_mask:0xf bank_mask:0xf
	v_cndmask_b32_e64 v29, 0, v29, s[6:7]
	v_add_u32_e32 v4, v4, v29
	s_and_saveexec_b64 s[24:25], s[18:19]
; %bb.29:                               ;   in Loop: Header=BB24_2 Depth=1
	ds_write_b32 v21, v4
; %bb.30:                               ;   in Loop: Header=BB24_2 Depth=1
	s_or_b64 exec, exec, s[24:25]
	s_waitcnt lgkmcnt(0)
	s_barrier
	s_and_saveexec_b64 s[24:25], vcc
	s_cbranch_execz .LBB24_32
; %bb.31:                               ;   in Loop: Header=BB24_2 Depth=1
	ds_read_b32 v29, v22
	s_waitcnt lgkmcnt(0)
	s_nop 0
	v_mov_b32_dpp v30, v29 row_shr:1 row_mask:0xf bank_mask:0xf
	v_cndmask_b32_e64 v30, v30, 0, s[20:21]
	v_add_u32_e32 v29, v30, v29
	s_nop 1
	v_mov_b32_dpp v30, v29 row_shr:2 row_mask:0xf bank_mask:0xf
	v_cndmask_b32_e64 v30, 0, v30, s[22:23]
	v_add_u32_e32 v29, v29, v30
	ds_write_b32 v22, v29
.LBB24_32:                              ;   in Loop: Header=BB24_2 Depth=1
	s_or_b64 exec, exec, s[24:25]
	v_mov_b32_e32 v29, 0
	s_waitcnt lgkmcnt(0)
	s_barrier
	s_and_saveexec_b64 s[24:25], s[0:1]
	s_cbranch_execz .LBB24_1
; %bb.33:                               ;   in Loop: Header=BB24_2 Depth=1
	ds_read_b32 v29, v24
	s_branch .LBB24_1
.LBB24_34:
	s_add_u32 s0, s30, s36
	s_waitcnt lgkmcnt(0)
	v_xor_b32_e32 v1, 0x80000000, v27
	s_addc_u32 s1, s31, s37
	v_lshlrev_b32_e32 v0, 2, v0
	global_store_dword v0, v1, s[0:1]
	s_endpgm
	.section	.rodata,"a",@progbits
	.p2align	6, 0x0
	.amdhsa_kernel _Z16sort_keys_kernelI22helper_blocked_blockediLj256ELj1ELj10EEvPKT0_PS1_
		.amdhsa_group_segment_fixed_size 4112
		.amdhsa_private_segment_fixed_size 0
		.amdhsa_kernarg_size 272
		.amdhsa_user_sgpr_count 6
		.amdhsa_user_sgpr_private_segment_buffer 1
		.amdhsa_user_sgpr_dispatch_ptr 0
		.amdhsa_user_sgpr_queue_ptr 0
		.amdhsa_user_sgpr_kernarg_segment_ptr 1
		.amdhsa_user_sgpr_dispatch_id 0
		.amdhsa_user_sgpr_flat_scratch_init 0
		.amdhsa_user_sgpr_private_segment_size 0
		.amdhsa_uses_dynamic_stack 0
		.amdhsa_system_sgpr_private_segment_wavefront_offset 0
		.amdhsa_system_sgpr_workgroup_id_x 1
		.amdhsa_system_sgpr_workgroup_id_y 0
		.amdhsa_system_sgpr_workgroup_id_z 0
		.amdhsa_system_sgpr_workgroup_info 0
		.amdhsa_system_vgpr_workitem_id 2
		.amdhsa_next_free_vgpr 31
		.amdhsa_next_free_sgpr 39
		.amdhsa_reserve_vcc 1
		.amdhsa_reserve_flat_scratch 0
		.amdhsa_float_round_mode_32 0
		.amdhsa_float_round_mode_16_64 0
		.amdhsa_float_denorm_mode_32 3
		.amdhsa_float_denorm_mode_16_64 3
		.amdhsa_dx10_clamp 1
		.amdhsa_ieee_mode 1
		.amdhsa_fp16_overflow 0
		.amdhsa_exception_fp_ieee_invalid_op 0
		.amdhsa_exception_fp_denorm_src 0
		.amdhsa_exception_fp_ieee_div_zero 0
		.amdhsa_exception_fp_ieee_overflow 0
		.amdhsa_exception_fp_ieee_underflow 0
		.amdhsa_exception_fp_ieee_inexact 0
		.amdhsa_exception_int_div_zero 0
	.end_amdhsa_kernel
	.section	.text._Z16sort_keys_kernelI22helper_blocked_blockediLj256ELj1ELj10EEvPKT0_PS1_,"axG",@progbits,_Z16sort_keys_kernelI22helper_blocked_blockediLj256ELj1ELj10EEvPKT0_PS1_,comdat
.Lfunc_end24:
	.size	_Z16sort_keys_kernelI22helper_blocked_blockediLj256ELj1ELj10EEvPKT0_PS1_, .Lfunc_end24-_Z16sort_keys_kernelI22helper_blocked_blockediLj256ELj1ELj10EEvPKT0_PS1_
                                        ; -- End function
	.set _Z16sort_keys_kernelI22helper_blocked_blockediLj256ELj1ELj10EEvPKT0_PS1_.num_vgpr, 31
	.set _Z16sort_keys_kernelI22helper_blocked_blockediLj256ELj1ELj10EEvPKT0_PS1_.num_agpr, 0
	.set _Z16sort_keys_kernelI22helper_blocked_blockediLj256ELj1ELj10EEvPKT0_PS1_.numbered_sgpr, 39
	.set _Z16sort_keys_kernelI22helper_blocked_blockediLj256ELj1ELj10EEvPKT0_PS1_.num_named_barrier, 0
	.set _Z16sort_keys_kernelI22helper_blocked_blockediLj256ELj1ELj10EEvPKT0_PS1_.private_seg_size, 0
	.set _Z16sort_keys_kernelI22helper_blocked_blockediLj256ELj1ELj10EEvPKT0_PS1_.uses_vcc, 1
	.set _Z16sort_keys_kernelI22helper_blocked_blockediLj256ELj1ELj10EEvPKT0_PS1_.uses_flat_scratch, 0
	.set _Z16sort_keys_kernelI22helper_blocked_blockediLj256ELj1ELj10EEvPKT0_PS1_.has_dyn_sized_stack, 0
	.set _Z16sort_keys_kernelI22helper_blocked_blockediLj256ELj1ELj10EEvPKT0_PS1_.has_recursion, 0
	.set _Z16sort_keys_kernelI22helper_blocked_blockediLj256ELj1ELj10EEvPKT0_PS1_.has_indirect_call, 0
	.section	.AMDGPU.csdata,"",@progbits
; Kernel info:
; codeLenInByte = 3836
; TotalNumSgprs: 43
; NumVgprs: 31
; ScratchSize: 0
; MemoryBound: 0
; FloatMode: 240
; IeeeMode: 1
; LDSByteSize: 4112 bytes/workgroup (compile time only)
; SGPRBlocks: 5
; VGPRBlocks: 7
; NumSGPRsForWavesPerEU: 43
; NumVGPRsForWavesPerEU: 31
; Occupancy: 8
; WaveLimiterHint : 0
; COMPUTE_PGM_RSRC2:SCRATCH_EN: 0
; COMPUTE_PGM_RSRC2:USER_SGPR: 6
; COMPUTE_PGM_RSRC2:TRAP_HANDLER: 0
; COMPUTE_PGM_RSRC2:TGID_X_EN: 1
; COMPUTE_PGM_RSRC2:TGID_Y_EN: 0
; COMPUTE_PGM_RSRC2:TGID_Z_EN: 0
; COMPUTE_PGM_RSRC2:TIDIG_COMP_CNT: 2
	.section	.text._Z17sort_pairs_kernelI22helper_blocked_blockediLj256ELj1ELj10EEvPKT0_PS1_,"axG",@progbits,_Z17sort_pairs_kernelI22helper_blocked_blockediLj256ELj1ELj10EEvPKT0_PS1_,comdat
	.protected	_Z17sort_pairs_kernelI22helper_blocked_blockediLj256ELj1ELj10EEvPKT0_PS1_ ; -- Begin function _Z17sort_pairs_kernelI22helper_blocked_blockediLj256ELj1ELj10EEvPKT0_PS1_
	.globl	_Z17sort_pairs_kernelI22helper_blocked_blockediLj256ELj1ELj10EEvPKT0_PS1_
	.p2align	8
	.type	_Z17sort_pairs_kernelI22helper_blocked_blockediLj256ELj1ELj10EEvPKT0_PS1_,@function
_Z17sort_pairs_kernelI22helper_blocked_blockediLj256ELj1ELj10EEvPKT0_PS1_: ; @_Z17sort_pairs_kernelI22helper_blocked_blockediLj256ELj1ELj10EEvPKT0_PS1_
; %bb.0:
	s_load_dwordx4 s[28:31], s[4:5], 0x0
	s_load_dword s26, s[4:5], 0x1c
	s_lshl_b32 s36, s6, 8
	s_mov_b32 s37, 0
	s_lshl_b64 s[34:35], s[36:37], 2
	s_waitcnt lgkmcnt(0)
	s_add_u32 s0, s28, s34
	s_addc_u32 s1, s29, s35
	v_lshlrev_b32_e32 v3, 2, v0
	global_load_dword v3, v3, s[0:1]
	v_mbcnt_lo_u32_b32 v4, -1, 0
	v_mbcnt_hi_u32_b32 v4, -1, v4
	v_subrev_co_u32_e64 v24, s[4:5], 1, v4
	v_and_b32_e32 v25, 64, v4
	v_and_b32_e32 v9, 15, v4
	v_cmp_lt_i32_e64 s[24:25], v24, v25
	v_cmp_eq_u32_e64 s[8:9], 0, v9
	v_cmp_lt_u32_e64 s[10:11], 1, v9
	v_cmp_lt_u32_e64 s[12:13], 3, v9
	;; [unrolled: 1-line block ×3, first 2 shown]
	v_cndmask_b32_e64 v9, v24, v4, s[24:25]
	s_lshr_b32 s24, s26, 16
	s_and_b32 s25, s26, 0xffff
	v_mad_u32_u24 v1, v2, s24, v1
	v_mad_u64_u32 v[1:2], s[24:25], v1, s25, v[0:1]
	v_lshlrev_b32_e32 v20, 4, v0
	v_and_b32_e32 v6, 0xc0, v0
	v_lshrrev_b32_e32 v7, 4, v0
	v_mul_i32_i24_e32 v8, -12, v0
	s_mov_b32 s28, s37
	v_and_b32_e32 v10, 16, v4
	s_mov_b32 s36, s37
	s_mov_b32 s29, s37
	v_or_b32_e32 v23, 63, v6
	v_and_b32_e32 v26, 3, v4
	v_and_b32_e32 v21, 12, v7
	v_lshlrev_b32_e32 v6, 2, v6
	v_add_u32_e32 v22, v20, v8
	v_cmp_eq_u32_e64 s[16:17], 0, v10
	v_mov_b32_e32 v7, s36
	v_lshlrev_b32_e32 v25, 2, v9
	v_lshrrev_b32_e32 v1, 4, v1
	v_mov_b32_e32 v9, s28
	s_mov_b32 s33, 10
	s_movk_i32 s38, 0xff
	v_mov_b32_e32 v11, 4
	v_mov_b32_e32 v12, 1
	;; [unrolled: 1-line block ×10, first 2 shown]
	v_cmp_gt_u32_e32 vcc, 4, v0
	v_cmp_lt_u32_e64 s[0:1], 63, v0
	v_cmp_eq_u32_e64 s[2:3], 0, v0
	v_cmp_lt_u32_e64 s[6:7], 31, v4
	v_cmp_eq_u32_e64 s[18:19], v0, v23
	v_cmp_eq_u32_e64 s[20:21], 0, v26
	v_cmp_lt_u32_e64 s[22:23], 1, v26
	v_lshl_add_u32 v23, v4, 2, v6
	v_add_u32_e32 v24, -4, v21
	v_mov_b32_e32 v8, s37
	v_and_b32_e32 v26, 0xffffffc, v1
	v_mov_b32_e32 v10, s29
	s_waitcnt vmcnt(0)
	v_add_u32_e32 v27, 1, v3
	v_xor_b32_e32 v28, 0x80000000, v3
	s_branch .LBB25_2
.LBB25_1:                               ;   in Loop: Header=BB25_2 Depth=1
	s_or_b64 exec, exec, s[24:25]
	s_waitcnt lgkmcnt(0)
	v_add_u32_e32 v4, v30, v4
	ds_bpermute_b32 v4, v25, v4
	s_add_i32 s33, s33, -1
	s_cmp_eq_u32 s33, 0
	s_waitcnt lgkmcnt(0)
	v_cndmask_b32_e64 v4, v4, v30, s[4:5]
	v_cndmask_b32_e64 v30, v4, 0, s[2:3]
	v_add_u32_e32 v31, v30, v1
	v_add_u32_e32 v1, v31, v2
	;; [unrolled: 1-line block ×3, first 2 shown]
	ds_write2_b64 v20, v[30:31], v[1:2] offset0:2 offset1:3
	s_waitcnt lgkmcnt(0)
	s_barrier
	ds_read_b32 v1, v28 offset:16
	v_lshlrev_b32_e32 v2, 2, v6
	s_waitcnt lgkmcnt(0)
	s_barrier
	v_lshl_add_u32 v1, v1, 2, v2
	ds_write_b32 v1, v27
	s_waitcnt lgkmcnt(0)
	s_barrier
	ds_read_b32 v28, v22
	s_waitcnt lgkmcnt(0)
	s_barrier
	ds_write_b32 v1, v29
	s_waitcnt lgkmcnt(0)
	s_barrier
	ds_read_b32 v27, v22
	s_cbranch_scc1 .LBB25_34
.LBB25_2:                               ; =>This Inner Loop Header: Depth=1
	v_and_b32_e32 v1, 1, v28
	v_add_co_u32_e64 v2, s[24:25], -1, v1
	v_addc_co_u32_e64 v4, s[24:25], 0, -1, s[24:25]
	v_cmp_ne_u32_e64 s[24:25], 0, v1
	v_lshlrev_b32_e32 v6, 30, v28
	v_xor_b32_e32 v1, s25, v4
	v_xor_b32_e32 v2, s24, v2
	v_cmp_gt_i64_e64 s[24:25], 0, v[5:6]
	v_not_b32_e32 v4, v6
	v_ashrrev_i32_e32 v4, 31, v4
	v_and_b32_e32 v1, exec_hi, v1
	v_xor_b32_e32 v6, s25, v4
	v_and_b32_e32 v2, exec_lo, v2
	v_xor_b32_e32 v4, s24, v4
	v_and_b32_e32 v1, v1, v6
	v_lshlrev_b32_e32 v6, 29, v28
	v_and_b32_e32 v2, v2, v4
	v_cmp_gt_i64_e64 s[24:25], 0, v[5:6]
	v_not_b32_e32 v4, v6
	v_ashrrev_i32_e32 v4, 31, v4
	v_xor_b32_e32 v6, s25, v4
	v_xor_b32_e32 v4, s24, v4
	v_and_b32_e32 v1, v1, v6
	v_lshlrev_b32_e32 v6, 28, v28
	v_and_b32_e32 v2, v2, v4
	v_cmp_gt_i64_e64 s[24:25], 0, v[5:6]
	v_not_b32_e32 v4, v6
	v_ashrrev_i32_e32 v4, 31, v4
	v_xor_b32_e32 v6, s25, v4
	;; [unrolled: 8-line block ×6, first 2 shown]
	v_xor_b32_e32 v29, s24, v2
	v_and_b32_e32 v2, v1, v6
	v_and_b32_e32 v1, v4, v29
	v_mbcnt_lo_u32_b32 v4, v1, 0
	v_mbcnt_hi_u32_b32 v6, v2, v4
	v_cmp_ne_u64_e64 s[24:25], 0, v[1:2]
	v_lshlrev_b32_sdwa v3, v11, v28 dst_sel:DWORD dst_unused:UNUSED_PAD src0_sel:DWORD src1_sel:BYTE_0
	v_cmp_eq_u32_e64 s[26:27], 0, v6
	s_and_b64 s[26:27], s[24:25], s[26:27]
	v_add_u32_e32 v29, v26, v3
	ds_write2_b64 v20, v[7:8], v[9:10] offset0:2 offset1:3
	s_waitcnt lgkmcnt(0)
	s_barrier
	; wave barrier
	s_and_saveexec_b64 s[24:25], s[26:27]
; %bb.3:                                ;   in Loop: Header=BB25_2 Depth=1
	v_bcnt_u32_b32 v1, v1, 0
	v_bcnt_u32_b32 v1, v2, v1
	ds_write_b32 v29, v1 offset:16
; %bb.4:                                ;   in Loop: Header=BB25_2 Depth=1
	s_or_b64 exec, exec, s[24:25]
	; wave barrier
	s_waitcnt lgkmcnt(0)
	s_barrier
	ds_read2_b64 v[1:4], v20 offset0:2 offset1:3
	s_waitcnt lgkmcnt(0)
	v_add_u32_e32 v30, v2, v1
	v_add3_u32 v4, v30, v3, v4
	s_nop 1
	v_mov_b32_dpp v30, v4 row_shr:1 row_mask:0xf bank_mask:0xf
	v_cndmask_b32_e64 v30, v30, 0, s[8:9]
	v_add_u32_e32 v4, v30, v4
	s_nop 1
	v_mov_b32_dpp v30, v4 row_shr:2 row_mask:0xf bank_mask:0xf
	v_cndmask_b32_e64 v30, 0, v30, s[10:11]
	v_add_u32_e32 v4, v4, v30
	;; [unrolled: 4-line block ×4, first 2 shown]
	s_nop 1
	v_mov_b32_dpp v30, v4 row_bcast:15 row_mask:0xf bank_mask:0xf
	v_cndmask_b32_e64 v30, v30, 0, s[16:17]
	v_add_u32_e32 v4, v4, v30
	s_nop 1
	v_mov_b32_dpp v30, v4 row_bcast:31 row_mask:0xf bank_mask:0xf
	v_cndmask_b32_e64 v30, 0, v30, s[6:7]
	v_add_u32_e32 v4, v4, v30
	s_and_saveexec_b64 s[24:25], s[18:19]
; %bb.5:                                ;   in Loop: Header=BB25_2 Depth=1
	ds_write_b32 v21, v4
; %bb.6:                                ;   in Loop: Header=BB25_2 Depth=1
	s_or_b64 exec, exec, s[24:25]
	s_waitcnt lgkmcnt(0)
	s_barrier
	s_and_saveexec_b64 s[24:25], vcc
	s_cbranch_execz .LBB25_8
; %bb.7:                                ;   in Loop: Header=BB25_2 Depth=1
	ds_read_b32 v30, v22
	s_waitcnt lgkmcnt(0)
	s_nop 0
	v_mov_b32_dpp v31, v30 row_shr:1 row_mask:0xf bank_mask:0xf
	v_cndmask_b32_e64 v31, v31, 0, s[20:21]
	v_add_u32_e32 v30, v31, v30
	s_nop 1
	v_mov_b32_dpp v31, v30 row_shr:2 row_mask:0xf bank_mask:0xf
	v_cndmask_b32_e64 v31, 0, v31, s[22:23]
	v_add_u32_e32 v30, v30, v31
	ds_write_b32 v22, v30
.LBB25_8:                               ;   in Loop: Header=BB25_2 Depth=1
	s_or_b64 exec, exec, s[24:25]
	v_mov_b32_e32 v30, 0
	s_waitcnt lgkmcnt(0)
	s_barrier
	s_and_saveexec_b64 s[24:25], s[0:1]
; %bb.9:                                ;   in Loop: Header=BB25_2 Depth=1
	ds_read_b32 v30, v24
; %bb.10:                               ;   in Loop: Header=BB25_2 Depth=1
	s_or_b64 exec, exec, s[24:25]
	s_waitcnt lgkmcnt(0)
	v_add_u32_e32 v4, v30, v4
	ds_bpermute_b32 v4, v25, v4
	s_waitcnt lgkmcnt(0)
	v_cndmask_b32_e64 v4, v4, v30, s[4:5]
	v_cndmask_b32_e64 v30, v4, 0, s[2:3]
	v_add_u32_e32 v31, v30, v1
	v_add_u32_e32 v1, v31, v2
	;; [unrolled: 1-line block ×3, first 2 shown]
	ds_write2_b64 v20, v[30:31], v[1:2] offset0:2 offset1:3
	s_waitcnt lgkmcnt(0)
	s_barrier
	ds_read_b32 v1, v29 offset:16
	v_lshlrev_b32_e32 v2, 2, v6
	s_waitcnt lgkmcnt(0)
	s_barrier
	v_lshl_add_u32 v1, v1, 2, v2
	ds_write_b32 v1, v28
	s_waitcnt lgkmcnt(0)
	s_barrier
	ds_read_b32 v28, v23
	s_waitcnt lgkmcnt(0)
	s_barrier
	ds_write_b32 v1, v27
	v_lshrrev_b32_e32 v1, 8, v28
	v_and_b32_e32 v2, 1, v1
	v_add_co_u32_e64 v4, s[24:25], -1, v2
	v_addc_co_u32_e64 v6, s[24:25], 0, -1, s[24:25]
	v_cmp_ne_u32_e64 s[24:25], 0, v2
	v_xor_b32_e32 v2, s25, v6
	v_lshlrev_b32_e32 v6, 30, v1
	v_xor_b32_e32 v4, s24, v4
	v_cmp_gt_i64_e64 s[24:25], 0, v[5:6]
	v_not_b32_e32 v6, v6
	v_ashrrev_i32_e32 v6, 31, v6
	v_and_b32_e32 v4, exec_lo, v4
	v_xor_b32_e32 v27, s25, v6
	v_xor_b32_e32 v6, s24, v6
	v_and_b32_e32 v4, v4, v6
	v_lshlrev_b32_e32 v6, 29, v1
	v_cmp_gt_i64_e64 s[24:25], 0, v[5:6]
	v_not_b32_e32 v6, v6
	v_and_b32_e32 v2, exec_hi, v2
	v_ashrrev_i32_e32 v6, 31, v6
	v_and_b32_e32 v2, v2, v27
	v_xor_b32_e32 v27, s25, v6
	v_xor_b32_e32 v6, s24, v6
	v_and_b32_e32 v4, v4, v6
	v_lshlrev_b32_e32 v6, 28, v1
	v_cmp_gt_i64_e64 s[24:25], 0, v[5:6]
	v_not_b32_e32 v6, v6
	v_ashrrev_i32_e32 v6, 31, v6
	v_and_b32_e32 v2, v2, v27
	v_xor_b32_e32 v27, s25, v6
	v_xor_b32_e32 v6, s24, v6
	v_and_b32_e32 v4, v4, v6
	v_lshlrev_b32_e32 v6, 27, v1
	v_cmp_gt_i64_e64 s[24:25], 0, v[5:6]
	v_not_b32_e32 v6, v6
	;; [unrolled: 8-line block ×4, first 2 shown]
	v_ashrrev_i32_e32 v6, 31, v6
	v_and_b32_e32 v2, v2, v27
	v_xor_b32_e32 v27, s25, v6
	v_xor_b32_e32 v6, s24, v6
	v_and_b32_e32 v4, v4, v6
	v_lshlrev_b32_e32 v6, 24, v1
	v_lshlrev_b32_sdwa v3, v11, v1 dst_sel:DWORD dst_unused:UNUSED_PAD src0_sel:DWORD src1_sel:BYTE_0
	v_cmp_gt_i64_e64 s[24:25], 0, v[5:6]
	v_not_b32_e32 v1, v6
	v_ashrrev_i32_e32 v1, 31, v1
	v_xor_b32_e32 v6, s25, v1
	v_xor_b32_e32 v1, s24, v1
	s_waitcnt lgkmcnt(0)
	s_barrier
	ds_read_b32 v29, v23
	v_and_b32_e32 v2, v2, v27
	v_and_b32_e32 v1, v4, v1
	;; [unrolled: 1-line block ×3, first 2 shown]
	v_mbcnt_lo_u32_b32 v4, v1, 0
	v_mbcnt_hi_u32_b32 v6, v2, v4
	v_cmp_ne_u64_e64 s[24:25], 0, v[1:2]
	v_cmp_eq_u32_e64 s[26:27], 0, v6
	s_and_b64 s[26:27], s[24:25], s[26:27]
	v_add_u32_e32 v27, v26, v3
	s_waitcnt lgkmcnt(0)
	s_barrier
	ds_write2_b64 v20, v[7:8], v[9:10] offset0:2 offset1:3
	s_waitcnt lgkmcnt(0)
	s_barrier
	; wave barrier
	s_and_saveexec_b64 s[24:25], s[26:27]
; %bb.11:                               ;   in Loop: Header=BB25_2 Depth=1
	v_bcnt_u32_b32 v1, v1, 0
	v_bcnt_u32_b32 v1, v2, v1
	ds_write_b32 v27, v1 offset:16
; %bb.12:                               ;   in Loop: Header=BB25_2 Depth=1
	s_or_b64 exec, exec, s[24:25]
	; wave barrier
	s_waitcnt lgkmcnt(0)
	s_barrier
	ds_read2_b64 v[1:4], v20 offset0:2 offset1:3
	s_waitcnt lgkmcnt(0)
	v_add_u32_e32 v30, v2, v1
	v_add3_u32 v4, v30, v3, v4
	s_nop 1
	v_mov_b32_dpp v30, v4 row_shr:1 row_mask:0xf bank_mask:0xf
	v_cndmask_b32_e64 v30, v30, 0, s[8:9]
	v_add_u32_e32 v4, v30, v4
	s_nop 1
	v_mov_b32_dpp v30, v4 row_shr:2 row_mask:0xf bank_mask:0xf
	v_cndmask_b32_e64 v30, 0, v30, s[10:11]
	v_add_u32_e32 v4, v4, v30
	;; [unrolled: 4-line block ×4, first 2 shown]
	s_nop 1
	v_mov_b32_dpp v30, v4 row_bcast:15 row_mask:0xf bank_mask:0xf
	v_cndmask_b32_e64 v30, v30, 0, s[16:17]
	v_add_u32_e32 v4, v4, v30
	s_nop 1
	v_mov_b32_dpp v30, v4 row_bcast:31 row_mask:0xf bank_mask:0xf
	v_cndmask_b32_e64 v30, 0, v30, s[6:7]
	v_add_u32_e32 v4, v4, v30
	s_and_saveexec_b64 s[24:25], s[18:19]
; %bb.13:                               ;   in Loop: Header=BB25_2 Depth=1
	ds_write_b32 v21, v4
; %bb.14:                               ;   in Loop: Header=BB25_2 Depth=1
	s_or_b64 exec, exec, s[24:25]
	s_waitcnt lgkmcnt(0)
	s_barrier
	s_and_saveexec_b64 s[24:25], vcc
	s_cbranch_execz .LBB25_16
; %bb.15:                               ;   in Loop: Header=BB25_2 Depth=1
	ds_read_b32 v30, v22
	s_waitcnt lgkmcnt(0)
	s_nop 0
	v_mov_b32_dpp v31, v30 row_shr:1 row_mask:0xf bank_mask:0xf
	v_cndmask_b32_e64 v31, v31, 0, s[20:21]
	v_add_u32_e32 v30, v31, v30
	s_nop 1
	v_mov_b32_dpp v31, v30 row_shr:2 row_mask:0xf bank_mask:0xf
	v_cndmask_b32_e64 v31, 0, v31, s[22:23]
	v_add_u32_e32 v30, v30, v31
	ds_write_b32 v22, v30
.LBB25_16:                              ;   in Loop: Header=BB25_2 Depth=1
	s_or_b64 exec, exec, s[24:25]
	v_mov_b32_e32 v30, 0
	s_waitcnt lgkmcnt(0)
	s_barrier
	s_and_saveexec_b64 s[24:25], s[0:1]
; %bb.17:                               ;   in Loop: Header=BB25_2 Depth=1
	ds_read_b32 v30, v24
; %bb.18:                               ;   in Loop: Header=BB25_2 Depth=1
	s_or_b64 exec, exec, s[24:25]
	s_waitcnt lgkmcnt(0)
	v_add_u32_e32 v4, v30, v4
	ds_bpermute_b32 v4, v25, v4
	s_waitcnt lgkmcnt(0)
	v_cndmask_b32_e64 v4, v4, v30, s[4:5]
	v_cndmask_b32_e64 v30, v4, 0, s[2:3]
	v_add_u32_e32 v31, v30, v1
	v_add_u32_e32 v1, v31, v2
	;; [unrolled: 1-line block ×3, first 2 shown]
	ds_write2_b64 v20, v[30:31], v[1:2] offset0:2 offset1:3
	s_waitcnt lgkmcnt(0)
	s_barrier
	ds_read_b32 v1, v27 offset:16
	v_lshlrev_b32_e32 v2, 2, v6
	s_waitcnt lgkmcnt(0)
	s_barrier
	v_lshl_add_u32 v1, v1, 2, v2
	ds_write_b32 v1, v28
	s_waitcnt lgkmcnt(0)
	s_barrier
	ds_read_b32 v27, v23
	s_waitcnt lgkmcnt(0)
	s_barrier
	ds_write_b32 v1, v29
	v_mov_b32_e32 v1, s36
	v_mov_b32_e32 v3, s28
	v_mov_b32_e32 v2, s37
	v_mov_b32_e32 v4, s29
	s_waitcnt lgkmcnt(0)
	s_barrier
	ds_read_b32 v28, v23
	s_waitcnt lgkmcnt(0)
	s_barrier
	ds_write2_b64 v20, v[1:2], v[3:4] offset0:2 offset1:3
	v_and_b32_sdwa v1, v27, s38 dst_sel:DWORD dst_unused:UNUSED_PAD src0_sel:WORD_1 src1_sel:DWORD
	v_lshlrev_b32_e32 v3, 4, v1
	v_and_b32_sdwa v1, v27, v12 dst_sel:DWORD dst_unused:UNUSED_PAD src0_sel:WORD_1 src1_sel:DWORD
	v_add_co_u32_e64 v2, s[24:25], -1, v1
	v_addc_co_u32_e64 v4, s[24:25], 0, -1, s[24:25]
	v_cmp_ne_u32_e64 s[24:25], 0, v1
	v_lshlrev_b32_sdwa v6, v13, v27 dst_sel:DWORD dst_unused:UNUSED_PAD src0_sel:DWORD src1_sel:WORD_1
	v_xor_b32_e32 v1, s25, v4
	v_xor_b32_e32 v2, s24, v2
	v_cmp_gt_i64_e64 s[24:25], 0, v[5:6]
	v_not_b32_e32 v4, v6
	v_ashrrev_i32_e32 v4, 31, v4
	v_and_b32_e32 v1, exec_hi, v1
	v_xor_b32_e32 v6, s25, v4
	v_and_b32_e32 v2, exec_lo, v2
	v_xor_b32_e32 v4, s24, v4
	v_and_b32_e32 v1, v1, v6
	v_lshlrev_b32_sdwa v6, v14, v27 dst_sel:DWORD dst_unused:UNUSED_PAD src0_sel:DWORD src1_sel:WORD_1
	v_and_b32_e32 v2, v2, v4
	v_cmp_gt_i64_e64 s[24:25], 0, v[5:6]
	v_not_b32_e32 v4, v6
	v_ashrrev_i32_e32 v4, 31, v4
	v_xor_b32_e32 v6, s25, v4
	v_xor_b32_e32 v4, s24, v4
	v_and_b32_e32 v1, v1, v6
	v_lshlrev_b32_sdwa v6, v15, v27 dst_sel:DWORD dst_unused:UNUSED_PAD src0_sel:DWORD src1_sel:WORD_1
	v_and_b32_e32 v2, v2, v4
	v_cmp_gt_i64_e64 s[24:25], 0, v[5:6]
	v_not_b32_e32 v4, v6
	v_ashrrev_i32_e32 v4, 31, v4
	v_xor_b32_e32 v6, s25, v4
	;; [unrolled: 8-line block ×6, first 2 shown]
	v_xor_b32_e32 v29, s24, v2
	v_and_b32_e32 v2, v1, v6
	v_and_b32_e32 v1, v4, v29
	v_mbcnt_lo_u32_b32 v4, v1, 0
	v_mbcnt_hi_u32_b32 v6, v2, v4
	v_cmp_ne_u64_e64 s[24:25], 0, v[1:2]
	v_cmp_eq_u32_e64 s[26:27], 0, v6
	s_and_b64 s[26:27], s[24:25], s[26:27]
	v_add_u32_e32 v29, v26, v3
	s_waitcnt lgkmcnt(0)
	s_barrier
	; wave barrier
	s_and_saveexec_b64 s[24:25], s[26:27]
; %bb.19:                               ;   in Loop: Header=BB25_2 Depth=1
	v_bcnt_u32_b32 v1, v1, 0
	v_bcnt_u32_b32 v1, v2, v1
	ds_write_b32 v29, v1 offset:16
; %bb.20:                               ;   in Loop: Header=BB25_2 Depth=1
	s_or_b64 exec, exec, s[24:25]
	; wave barrier
	s_waitcnt lgkmcnt(0)
	s_barrier
	ds_read2_b64 v[1:4], v20 offset0:2 offset1:3
	s_waitcnt lgkmcnt(0)
	v_add_u32_e32 v30, v2, v1
	v_add3_u32 v4, v30, v3, v4
	s_nop 1
	v_mov_b32_dpp v30, v4 row_shr:1 row_mask:0xf bank_mask:0xf
	v_cndmask_b32_e64 v30, v30, 0, s[8:9]
	v_add_u32_e32 v4, v30, v4
	s_nop 1
	v_mov_b32_dpp v30, v4 row_shr:2 row_mask:0xf bank_mask:0xf
	v_cndmask_b32_e64 v30, 0, v30, s[10:11]
	v_add_u32_e32 v4, v4, v30
	;; [unrolled: 4-line block ×4, first 2 shown]
	s_nop 1
	v_mov_b32_dpp v30, v4 row_bcast:15 row_mask:0xf bank_mask:0xf
	v_cndmask_b32_e64 v30, v30, 0, s[16:17]
	v_add_u32_e32 v4, v4, v30
	s_nop 1
	v_mov_b32_dpp v30, v4 row_bcast:31 row_mask:0xf bank_mask:0xf
	v_cndmask_b32_e64 v30, 0, v30, s[6:7]
	v_add_u32_e32 v4, v4, v30
	s_and_saveexec_b64 s[24:25], s[18:19]
; %bb.21:                               ;   in Loop: Header=BB25_2 Depth=1
	ds_write_b32 v21, v4
; %bb.22:                               ;   in Loop: Header=BB25_2 Depth=1
	s_or_b64 exec, exec, s[24:25]
	s_waitcnt lgkmcnt(0)
	s_barrier
	s_and_saveexec_b64 s[24:25], vcc
	s_cbranch_execz .LBB25_24
; %bb.23:                               ;   in Loop: Header=BB25_2 Depth=1
	ds_read_b32 v30, v22
	s_waitcnt lgkmcnt(0)
	s_nop 0
	v_mov_b32_dpp v31, v30 row_shr:1 row_mask:0xf bank_mask:0xf
	v_cndmask_b32_e64 v31, v31, 0, s[20:21]
	v_add_u32_e32 v30, v31, v30
	s_nop 1
	v_mov_b32_dpp v31, v30 row_shr:2 row_mask:0xf bank_mask:0xf
	v_cndmask_b32_e64 v31, 0, v31, s[22:23]
	v_add_u32_e32 v30, v30, v31
	ds_write_b32 v22, v30
.LBB25_24:                              ;   in Loop: Header=BB25_2 Depth=1
	s_or_b64 exec, exec, s[24:25]
	v_mov_b32_e32 v30, 0
	s_waitcnt lgkmcnt(0)
	s_barrier
	s_and_saveexec_b64 s[24:25], s[0:1]
; %bb.25:                               ;   in Loop: Header=BB25_2 Depth=1
	ds_read_b32 v30, v24
; %bb.26:                               ;   in Loop: Header=BB25_2 Depth=1
	s_or_b64 exec, exec, s[24:25]
	s_waitcnt lgkmcnt(0)
	v_add_u32_e32 v4, v30, v4
	ds_bpermute_b32 v4, v25, v4
	s_waitcnt lgkmcnt(0)
	v_cndmask_b32_e64 v4, v4, v30, s[4:5]
	v_cndmask_b32_e64 v30, v4, 0, s[2:3]
	v_add_u32_e32 v31, v30, v1
	v_add_u32_e32 v1, v31, v2
	;; [unrolled: 1-line block ×3, first 2 shown]
	ds_write2_b64 v20, v[30:31], v[1:2] offset0:2 offset1:3
	s_waitcnt lgkmcnt(0)
	s_barrier
	ds_read_b32 v1, v29 offset:16
	v_lshlrev_b32_e32 v2, 2, v6
	s_waitcnt lgkmcnt(0)
	s_barrier
	v_lshl_add_u32 v1, v1, 2, v2
	ds_write_b32 v1, v27
	s_waitcnt lgkmcnt(0)
	s_barrier
	ds_read_b32 v27, v23
	s_waitcnt lgkmcnt(0)
	s_barrier
	ds_write_b32 v1, v28
	v_mov_b32_e32 v1, s36
	v_mov_b32_e32 v3, s28
	;; [unrolled: 1-line block ×4, first 2 shown]
	s_waitcnt lgkmcnt(0)
	s_barrier
	ds_read_b32 v29, v23
	s_waitcnt lgkmcnt(0)
	s_barrier
	ds_write2_b64 v20, v[1:2], v[3:4] offset0:2 offset1:3
	v_and_b32_sdwa v1, v27, v12 dst_sel:DWORD dst_unused:UNUSED_PAD src0_sel:BYTE_3 src1_sel:DWORD
	v_add_co_u32_e64 v2, s[24:25], -1, v1
	v_addc_co_u32_e64 v4, s[24:25], 0, -1, s[24:25]
	v_cmp_ne_u32_e64 s[24:25], 0, v1
	v_lshlrev_b32_sdwa v6, v13, v27 dst_sel:DWORD dst_unused:UNUSED_PAD src0_sel:DWORD src1_sel:BYTE_3
	v_xor_b32_e32 v1, s25, v4
	v_xor_b32_e32 v2, s24, v2
	v_cmp_gt_i64_e64 s[24:25], 0, v[5:6]
	v_not_b32_e32 v4, v6
	v_ashrrev_i32_e32 v4, 31, v4
	v_and_b32_e32 v1, exec_hi, v1
	v_xor_b32_e32 v6, s25, v4
	v_and_b32_e32 v2, exec_lo, v2
	v_xor_b32_e32 v4, s24, v4
	v_and_b32_e32 v1, v1, v6
	v_lshlrev_b32_sdwa v6, v14, v27 dst_sel:DWORD dst_unused:UNUSED_PAD src0_sel:DWORD src1_sel:BYTE_3
	v_and_b32_e32 v2, v2, v4
	v_cmp_gt_i64_e64 s[24:25], 0, v[5:6]
	v_not_b32_e32 v4, v6
	v_ashrrev_i32_e32 v4, 31, v4
	v_xor_b32_e32 v6, s25, v4
	v_xor_b32_e32 v4, s24, v4
	v_and_b32_e32 v1, v1, v6
	v_lshlrev_b32_sdwa v6, v15, v27 dst_sel:DWORD dst_unused:UNUSED_PAD src0_sel:DWORD src1_sel:BYTE_3
	v_and_b32_e32 v2, v2, v4
	v_cmp_gt_i64_e64 s[24:25], 0, v[5:6]
	v_not_b32_e32 v4, v6
	v_ashrrev_i32_e32 v4, 31, v4
	v_xor_b32_e32 v6, s25, v4
	;; [unrolled: 8-line block ×6, first 2 shown]
	v_xor_b32_e32 v28, s24, v2
	v_and_b32_e32 v2, v1, v6
	v_and_b32_e32 v1, v4, v28
	v_mbcnt_lo_u32_b32 v4, v1, 0
	v_mbcnt_hi_u32_b32 v6, v2, v4
	v_cmp_ne_u64_e64 s[24:25], 0, v[1:2]
	v_lshlrev_b32_sdwa v3, v11, v27 dst_sel:DWORD dst_unused:UNUSED_PAD src0_sel:DWORD src1_sel:BYTE_3
	v_cmp_eq_u32_e64 s[26:27], 0, v6
	s_and_b64 s[26:27], s[24:25], s[26:27]
	v_add_u32_e32 v28, v26, v3
	s_waitcnt lgkmcnt(0)
	s_barrier
	; wave barrier
	s_and_saveexec_b64 s[24:25], s[26:27]
; %bb.27:                               ;   in Loop: Header=BB25_2 Depth=1
	v_bcnt_u32_b32 v1, v1, 0
	v_bcnt_u32_b32 v1, v2, v1
	ds_write_b32 v28, v1 offset:16
; %bb.28:                               ;   in Loop: Header=BB25_2 Depth=1
	s_or_b64 exec, exec, s[24:25]
	; wave barrier
	s_waitcnt lgkmcnt(0)
	s_barrier
	ds_read2_b64 v[1:4], v20 offset0:2 offset1:3
	s_waitcnt lgkmcnt(0)
	v_add_u32_e32 v30, v2, v1
	v_add3_u32 v4, v30, v3, v4
	s_nop 1
	v_mov_b32_dpp v30, v4 row_shr:1 row_mask:0xf bank_mask:0xf
	v_cndmask_b32_e64 v30, v30, 0, s[8:9]
	v_add_u32_e32 v4, v30, v4
	s_nop 1
	v_mov_b32_dpp v30, v4 row_shr:2 row_mask:0xf bank_mask:0xf
	v_cndmask_b32_e64 v30, 0, v30, s[10:11]
	v_add_u32_e32 v4, v4, v30
	;; [unrolled: 4-line block ×4, first 2 shown]
	s_nop 1
	v_mov_b32_dpp v30, v4 row_bcast:15 row_mask:0xf bank_mask:0xf
	v_cndmask_b32_e64 v30, v30, 0, s[16:17]
	v_add_u32_e32 v4, v4, v30
	s_nop 1
	v_mov_b32_dpp v30, v4 row_bcast:31 row_mask:0xf bank_mask:0xf
	v_cndmask_b32_e64 v30, 0, v30, s[6:7]
	v_add_u32_e32 v4, v4, v30
	s_and_saveexec_b64 s[24:25], s[18:19]
; %bb.29:                               ;   in Loop: Header=BB25_2 Depth=1
	ds_write_b32 v21, v4
; %bb.30:                               ;   in Loop: Header=BB25_2 Depth=1
	s_or_b64 exec, exec, s[24:25]
	s_waitcnt lgkmcnt(0)
	s_barrier
	s_and_saveexec_b64 s[24:25], vcc
	s_cbranch_execz .LBB25_32
; %bb.31:                               ;   in Loop: Header=BB25_2 Depth=1
	ds_read_b32 v30, v22
	s_waitcnt lgkmcnt(0)
	s_nop 0
	v_mov_b32_dpp v31, v30 row_shr:1 row_mask:0xf bank_mask:0xf
	v_cndmask_b32_e64 v31, v31, 0, s[20:21]
	v_add_u32_e32 v30, v31, v30
	s_nop 1
	v_mov_b32_dpp v31, v30 row_shr:2 row_mask:0xf bank_mask:0xf
	v_cndmask_b32_e64 v31, 0, v31, s[22:23]
	v_add_u32_e32 v30, v30, v31
	ds_write_b32 v22, v30
.LBB25_32:                              ;   in Loop: Header=BB25_2 Depth=1
	s_or_b64 exec, exec, s[24:25]
	v_mov_b32_e32 v30, 0
	s_waitcnt lgkmcnt(0)
	s_barrier
	s_and_saveexec_b64 s[24:25], s[0:1]
	s_cbranch_execz .LBB25_1
; %bb.33:                               ;   in Loop: Header=BB25_2 Depth=1
	ds_read_b32 v30, v24
	s_branch .LBB25_1
.LBB25_34:
	s_brev_b32 s0, 1
	s_waitcnt lgkmcnt(0)
	v_add3_u32 v1, v27, v28, s0
	s_add_u32 s0, s30, s34
	s_addc_u32 s1, s31, s35
	v_lshlrev_b32_e32 v0, 2, v0
	global_store_dword v0, v1, s[0:1]
	s_endpgm
	.section	.rodata,"a",@progbits
	.p2align	6, 0x0
	.amdhsa_kernel _Z17sort_pairs_kernelI22helper_blocked_blockediLj256ELj1ELj10EEvPKT0_PS1_
		.amdhsa_group_segment_fixed_size 4112
		.amdhsa_private_segment_fixed_size 0
		.amdhsa_kernarg_size 272
		.amdhsa_user_sgpr_count 6
		.amdhsa_user_sgpr_private_segment_buffer 1
		.amdhsa_user_sgpr_dispatch_ptr 0
		.amdhsa_user_sgpr_queue_ptr 0
		.amdhsa_user_sgpr_kernarg_segment_ptr 1
		.amdhsa_user_sgpr_dispatch_id 0
		.amdhsa_user_sgpr_flat_scratch_init 0
		.amdhsa_user_sgpr_private_segment_size 0
		.amdhsa_uses_dynamic_stack 0
		.amdhsa_system_sgpr_private_segment_wavefront_offset 0
		.amdhsa_system_sgpr_workgroup_id_x 1
		.amdhsa_system_sgpr_workgroup_id_y 0
		.amdhsa_system_sgpr_workgroup_id_z 0
		.amdhsa_system_sgpr_workgroup_info 0
		.amdhsa_system_vgpr_workitem_id 2
		.amdhsa_next_free_vgpr 32
		.amdhsa_next_free_sgpr 39
		.amdhsa_reserve_vcc 1
		.amdhsa_reserve_flat_scratch 0
		.amdhsa_float_round_mode_32 0
		.amdhsa_float_round_mode_16_64 0
		.amdhsa_float_denorm_mode_32 3
		.amdhsa_float_denorm_mode_16_64 3
		.amdhsa_dx10_clamp 1
		.amdhsa_ieee_mode 1
		.amdhsa_fp16_overflow 0
		.amdhsa_exception_fp_ieee_invalid_op 0
		.amdhsa_exception_fp_denorm_src 0
		.amdhsa_exception_fp_ieee_div_zero 0
		.amdhsa_exception_fp_ieee_overflow 0
		.amdhsa_exception_fp_ieee_underflow 0
		.amdhsa_exception_fp_ieee_inexact 0
		.amdhsa_exception_int_div_zero 0
	.end_amdhsa_kernel
	.section	.text._Z17sort_pairs_kernelI22helper_blocked_blockediLj256ELj1ELj10EEvPKT0_PS1_,"axG",@progbits,_Z17sort_pairs_kernelI22helper_blocked_blockediLj256ELj1ELj10EEvPKT0_PS1_,comdat
.Lfunc_end25:
	.size	_Z17sort_pairs_kernelI22helper_blocked_blockediLj256ELj1ELj10EEvPKT0_PS1_, .Lfunc_end25-_Z17sort_pairs_kernelI22helper_blocked_blockediLj256ELj1ELj10EEvPKT0_PS1_
                                        ; -- End function
	.set _Z17sort_pairs_kernelI22helper_blocked_blockediLj256ELj1ELj10EEvPKT0_PS1_.num_vgpr, 32
	.set _Z17sort_pairs_kernelI22helper_blocked_blockediLj256ELj1ELj10EEvPKT0_PS1_.num_agpr, 0
	.set _Z17sort_pairs_kernelI22helper_blocked_blockediLj256ELj1ELj10EEvPKT0_PS1_.numbered_sgpr, 39
	.set _Z17sort_pairs_kernelI22helper_blocked_blockediLj256ELj1ELj10EEvPKT0_PS1_.num_named_barrier, 0
	.set _Z17sort_pairs_kernelI22helper_blocked_blockediLj256ELj1ELj10EEvPKT0_PS1_.private_seg_size, 0
	.set _Z17sort_pairs_kernelI22helper_blocked_blockediLj256ELj1ELj10EEvPKT0_PS1_.uses_vcc, 1
	.set _Z17sort_pairs_kernelI22helper_blocked_blockediLj256ELj1ELj10EEvPKT0_PS1_.uses_flat_scratch, 0
	.set _Z17sort_pairs_kernelI22helper_blocked_blockediLj256ELj1ELj10EEvPKT0_PS1_.has_dyn_sized_stack, 0
	.set _Z17sort_pairs_kernelI22helper_blocked_blockediLj256ELj1ELj10EEvPKT0_PS1_.has_recursion, 0
	.set _Z17sort_pairs_kernelI22helper_blocked_blockediLj256ELj1ELj10EEvPKT0_PS1_.has_indirect_call, 0
	.section	.AMDGPU.csdata,"",@progbits
; Kernel info:
; codeLenInByte = 3968
; TotalNumSgprs: 43
; NumVgprs: 32
; ScratchSize: 0
; MemoryBound: 0
; FloatMode: 240
; IeeeMode: 1
; LDSByteSize: 4112 bytes/workgroup (compile time only)
; SGPRBlocks: 5
; VGPRBlocks: 7
; NumSGPRsForWavesPerEU: 43
; NumVGPRsForWavesPerEU: 32
; Occupancy: 8
; WaveLimiterHint : 0
; COMPUTE_PGM_RSRC2:SCRATCH_EN: 0
; COMPUTE_PGM_RSRC2:USER_SGPR: 6
; COMPUTE_PGM_RSRC2:TRAP_HANDLER: 0
; COMPUTE_PGM_RSRC2:TGID_X_EN: 1
; COMPUTE_PGM_RSRC2:TGID_Y_EN: 0
; COMPUTE_PGM_RSRC2:TGID_Z_EN: 0
; COMPUTE_PGM_RSRC2:TIDIG_COMP_CNT: 2
	.section	.text._Z16sort_keys_kernelI22helper_blocked_blockediLj256ELj3ELj10EEvPKT0_PS1_,"axG",@progbits,_Z16sort_keys_kernelI22helper_blocked_blockediLj256ELj3ELj10EEvPKT0_PS1_,comdat
	.protected	_Z16sort_keys_kernelI22helper_blocked_blockediLj256ELj3ELj10EEvPKT0_PS1_ ; -- Begin function _Z16sort_keys_kernelI22helper_blocked_blockediLj256ELj3ELj10EEvPKT0_PS1_
	.globl	_Z16sort_keys_kernelI22helper_blocked_blockediLj256ELj3ELj10EEvPKT0_PS1_
	.p2align	8
	.type	_Z16sort_keys_kernelI22helper_blocked_blockediLj256ELj3ELj10EEvPKT0_PS1_,@function
_Z16sort_keys_kernelI22helper_blocked_blockediLj256ELj3ELj10EEvPKT0_PS1_: ; @_Z16sort_keys_kernelI22helper_blocked_blockediLj256ELj3ELj10EEvPKT0_PS1_
; %bb.0:
	s_load_dwordx4 s[28:31], s[4:5], 0x0
	s_load_dword s2, s[4:5], 0x1c
	s_mul_i32 s34, s6, 0x300
	s_mov_b32 s35, 0
	s_lshl_b64 s[36:37], s[34:35], 2
	s_waitcnt lgkmcnt(0)
	s_add_u32 s0, s28, s36
	s_addc_u32 s1, s29, s37
	v_lshlrev_b32_e32 v5, 2, v0
	global_load_dword v3, v5, s[0:1]
	global_load_dword v4, v5, s[0:1] offset:1024
	global_load_dword v6, v5, s[0:1] offset:2048
	s_lshr_b32 s0, s2, 16
	v_mbcnt_lo_u32_b32 v7, -1, 0
	s_and_b32 s1, s2, 0xffff
	v_mad_u32_u24 v1, v2, s0, v1
	v_mbcnt_hi_u32_b32 v7, -1, v7
	v_mad_u64_u32 v[1:2], s[0:1], v1, s1, v[0:1]
	v_lshrrev_b32_e32 v8, 6, v0
	v_and_b32_e32 v2, 15, v7
	v_mul_u32_u24_e32 v9, 0xc0, v8
	v_cmp_eq_u32_e64 s[0:1], 0, v2
	v_cmp_lt_u32_e64 s[2:3], 1, v2
	v_cmp_lt_u32_e64 s[4:5], 3, v2
	;; [unrolled: 1-line block ×3, first 2 shown]
	v_and_b32_e32 v2, 16, v7
	v_lshlrev_b32_e32 v9, 2, v9
	v_lshlrev_b32_e32 v10, 2, v7
	v_cmp_eq_u32_e64 s[8:9], 0, v2
	v_and_b32_e32 v2, 0xc0, v0
	v_mad_u32_u24 v11, v7, 12, v9
	v_add_u32_e32 v12, v10, v9
	v_or_b32_e32 v9, 63, v2
	v_cmp_eq_u32_e64 s[12:13], v0, v9
	v_subrev_co_u32_e64 v9, s[18:19], 1, v7
	v_and_b32_e32 v14, 64, v7
	v_cmp_lt_i32_e32 vcc, v9, v14
	v_lshlrev_b32_e32 v13, 4, v0
	v_cmp_lt_u32_e64 s[10:11], 31, v7
	v_cndmask_b32_e32 v9, v9, v7, vcc
	v_and_b32_e32 v7, 3, v7
	v_mul_u32_u24_e32 v2, 12, v2
	v_lshrrev_b32_e32 v1, 4, v1
	s_mov_b32 s34, s35
	s_mov_b32 s26, s35
	v_lshlrev_b32_e32 v14, 2, v9
	v_lshlrev_b32_e32 v15, 2, v8
	v_mad_i32_i24 v16, v0, -12, v13
	v_cmp_eq_u32_e64 s[22:23], 0, v7
	v_cmp_lt_u32_e64 s[24:25], 1, v7
	v_and_b32_e32 v18, 0xffffffc, v1
	v_lshlrev_b32_e32 v1, 3, v0
	s_mov_b32 s27, s35
	v_mov_b32_e32 v7, s34
	v_add_u32_e32 v19, v10, v2
	v_mov_b32_e32 v9, s26
	v_mov_b32_e32 v5, 0
	v_cmp_gt_u32_e64 s[14:15], 4, v0
	v_cmp_lt_u32_e64 s[16:17], 63, v0
	v_cmp_eq_u32_e64 s[20:21], 0, v0
	v_add_u32_e32 v17, -4, v15
	v_mov_b32_e32 v8, s35
	v_add_u32_e32 v20, v16, v1
	v_mov_b32_e32 v21, 4
	v_mov_b32_e32 v10, s27
	s_branch .LBB26_2
.LBB26_1:                               ;   in Loop: Header=BB26_2 Depth=1
	v_lshlrev_b32_e32 v1, 2, v26
	s_barrier
	ds_write_b32 v1, v25
	v_lshlrev_b32_e32 v1, 2, v4
	ds_write_b32 v1, v23
	v_lshlrev_b32_e32 v1, 2, v3
	ds_write_b32 v1, v22
	s_waitcnt lgkmcnt(0)
	s_barrier
	ds_read2_b32 v[1:2], v20 offset1:1
	ds_read_b32 v6, v20 offset:8
	s_add_i32 s35, s35, 1
	s_cmp_eq_u32 s35, 10
	s_waitcnt lgkmcnt(1)
	v_xor_b32_e32 v3, 0x80000000, v1
	v_xor_b32_e32 v4, 0x80000000, v2
	s_waitcnt lgkmcnt(0)
	v_xor_b32_e32 v6, 0x80000000, v6
	s_cbranch_scc1 .LBB26_18
.LBB26_2:                               ; =>This Loop Header: Depth=1
                                        ;     Child Loop BB26_4 Depth 2
	s_waitcnt vmcnt(2)
	v_xor_b32_e32 v1, 0x80000000, v3
	s_waitcnt vmcnt(1)
	v_xor_b32_e32 v2, 0x80000000, v4
	;; [unrolled: 2-line block ×3, first 2 shown]
	ds_write2_b32 v11, v1, v2 offset1:1
	ds_write_b32 v11, v3 offset:8
	; wave barrier
	ds_read2st64_b32 v[1:2], v12 offset1:1
	ds_read_b32 v6, v12 offset:512
	v_mov_b32_e32 v24, v5
	s_waitcnt lgkmcnt(0)
	s_barrier
	; wave barrier
	s_barrier
	s_branch .LBB26_4
.LBB26_3:                               ;   in Loop: Header=BB26_4 Depth=2
	s_andn2_b64 vcc, exec, s[26:27]
	s_cbranch_vccz .LBB26_1
.LBB26_4:                               ;   Parent Loop BB26_2 Depth=1
                                        ; =>  This Inner Loop Header: Depth=2
	v_mov_b32_e32 v25, v1
	v_lshrrev_b32_e32 v1, v24, v25
	v_mov_b32_e32 v23, v2
	v_and_b32_e32 v2, 1, v1
	v_add_co_u32_e32 v4, vcc, -1, v2
	v_mov_b32_e32 v22, v6
	v_addc_co_u32_e64 v6, s[26:27], 0, -1, vcc
	v_cmp_ne_u32_e32 vcc, 0, v2
	v_xor_b32_e32 v2, vcc_hi, v6
	v_lshlrev_b32_e32 v6, 30, v1
	v_xor_b32_e32 v4, vcc_lo, v4
	v_cmp_gt_i64_e32 vcc, 0, v[5:6]
	v_not_b32_e32 v6, v6
	v_ashrrev_i32_e32 v6, 31, v6
	v_and_b32_e32 v4, exec_lo, v4
	v_xor_b32_e32 v26, vcc_hi, v6
	v_xor_b32_e32 v6, vcc_lo, v6
	v_and_b32_e32 v4, v4, v6
	v_lshlrev_b32_e32 v6, 29, v1
	v_cmp_gt_i64_e32 vcc, 0, v[5:6]
	v_not_b32_e32 v6, v6
	v_and_b32_e32 v2, exec_hi, v2
	v_ashrrev_i32_e32 v6, 31, v6
	v_and_b32_e32 v2, v2, v26
	v_xor_b32_e32 v26, vcc_hi, v6
	v_xor_b32_e32 v6, vcc_lo, v6
	v_and_b32_e32 v4, v4, v6
	v_lshlrev_b32_e32 v6, 28, v1
	v_cmp_gt_i64_e32 vcc, 0, v[5:6]
	v_not_b32_e32 v6, v6
	v_ashrrev_i32_e32 v6, 31, v6
	v_and_b32_e32 v2, v2, v26
	v_xor_b32_e32 v26, vcc_hi, v6
	v_xor_b32_e32 v6, vcc_lo, v6
	v_and_b32_e32 v4, v4, v6
	v_lshlrev_b32_e32 v6, 27, v1
	v_cmp_gt_i64_e32 vcc, 0, v[5:6]
	v_not_b32_e32 v6, v6
	;; [unrolled: 8-line block ×4, first 2 shown]
	v_ashrrev_i32_e32 v6, 31, v6
	v_and_b32_e32 v2, v2, v26
	v_xor_b32_e32 v26, vcc_hi, v6
	v_xor_b32_e32 v6, vcc_lo, v6
	v_and_b32_e32 v4, v4, v6
	v_lshlrev_b32_e32 v6, 24, v1
	v_lshlrev_b32_sdwa v3, v21, v1 dst_sel:DWORD dst_unused:UNUSED_PAD src0_sel:DWORD src1_sel:BYTE_0
	v_cmp_gt_i64_e32 vcc, 0, v[5:6]
	v_not_b32_e32 v1, v6
	v_ashrrev_i32_e32 v1, 31, v1
	v_xor_b32_e32 v6, vcc_hi, v1
	v_xor_b32_e32 v1, vcc_lo, v1
	v_and_b32_e32 v2, v2, v26
	v_and_b32_e32 v1, v4, v1
	;; [unrolled: 1-line block ×3, first 2 shown]
	v_mbcnt_lo_u32_b32 v4, v1, 0
	v_mbcnt_hi_u32_b32 v26, v2, v4
	v_cmp_ne_u64_e32 vcc, 0, v[1:2]
	v_cmp_eq_u32_e64 s[26:27], 0, v26
	s_and_b64 s[28:29], vcc, s[26:27]
	v_add_u32_e32 v27, v18, v3
	ds_write2_b64 v13, v[7:8], v[9:10] offset0:2 offset1:3
	s_waitcnt lgkmcnt(0)
	s_barrier
	; wave barrier
	s_and_saveexec_b64 s[26:27], s[28:29]
; %bb.5:                                ;   in Loop: Header=BB26_4 Depth=2
	v_bcnt_u32_b32 v1, v1, 0
	v_bcnt_u32_b32 v1, v2, v1
	ds_write_b32 v27, v1 offset:16
; %bb.6:                                ;   in Loop: Header=BB26_4 Depth=2
	s_or_b64 exec, exec, s[26:27]
	v_lshrrev_b32_e32 v1, v24, v23
	v_lshlrev_b32_sdwa v2, v21, v1 dst_sel:DWORD dst_unused:UNUSED_PAD src0_sel:DWORD src1_sel:BYTE_0
	v_add_u32_e32 v29, v18, v2
	v_and_b32_e32 v2, 1, v1
	v_add_co_u32_e32 v3, vcc, -1, v2
	v_addc_co_u32_e64 v4, s[26:27], 0, -1, vcc
	v_cmp_ne_u32_e32 vcc, 0, v2
	v_lshlrev_b32_e32 v6, 30, v1
	v_xor_b32_e32 v2, vcc_hi, v4
	v_xor_b32_e32 v3, vcc_lo, v3
	v_cmp_gt_i64_e32 vcc, 0, v[5:6]
	v_not_b32_e32 v4, v6
	v_ashrrev_i32_e32 v4, 31, v4
	v_and_b32_e32 v2, exec_hi, v2
	v_xor_b32_e32 v6, vcc_hi, v4
	v_and_b32_e32 v3, exec_lo, v3
	v_xor_b32_e32 v4, vcc_lo, v4
	v_and_b32_e32 v2, v2, v6
	v_lshlrev_b32_e32 v6, 29, v1
	v_and_b32_e32 v3, v3, v4
	v_cmp_gt_i64_e32 vcc, 0, v[5:6]
	v_not_b32_e32 v4, v6
	v_ashrrev_i32_e32 v4, 31, v4
	v_xor_b32_e32 v6, vcc_hi, v4
	v_xor_b32_e32 v4, vcc_lo, v4
	v_and_b32_e32 v2, v2, v6
	v_lshlrev_b32_e32 v6, 28, v1
	v_and_b32_e32 v3, v3, v4
	v_cmp_gt_i64_e32 vcc, 0, v[5:6]
	v_not_b32_e32 v4, v6
	v_ashrrev_i32_e32 v4, 31, v4
	v_xor_b32_e32 v6, vcc_hi, v4
	;; [unrolled: 8-line block ×5, first 2 shown]
	v_and_b32_e32 v2, v2, v6
	v_lshlrev_b32_e32 v6, 24, v1
	v_xor_b32_e32 v4, vcc_lo, v4
	v_cmp_gt_i64_e32 vcc, 0, v[5:6]
	v_not_b32_e32 v1, v6
	v_ashrrev_i32_e32 v1, 31, v1
	v_and_b32_e32 v3, v3, v4
	v_xor_b32_e32 v4, vcc_hi, v1
	v_xor_b32_e32 v1, vcc_lo, v1
	; wave barrier
	ds_read_b32 v28, v29 offset:16
	v_and_b32_e32 v1, v3, v1
	v_and_b32_e32 v2, v2, v4
	v_mbcnt_lo_u32_b32 v3, v1, 0
	v_mbcnt_hi_u32_b32 v30, v2, v3
	v_cmp_ne_u64_e32 vcc, 0, v[1:2]
	v_cmp_eq_u32_e64 s[26:27], 0, v30
	s_and_b64 s[28:29], vcc, s[26:27]
	; wave barrier
	s_and_saveexec_b64 s[26:27], s[28:29]
	s_cbranch_execz .LBB26_8
; %bb.7:                                ;   in Loop: Header=BB26_4 Depth=2
	v_bcnt_u32_b32 v1, v1, 0
	v_bcnt_u32_b32 v1, v2, v1
	s_waitcnt lgkmcnt(0)
	v_add_u32_e32 v1, v28, v1
	ds_write_b32 v29, v1 offset:16
.LBB26_8:                               ;   in Loop: Header=BB26_4 Depth=2
	s_or_b64 exec, exec, s[26:27]
	v_lshrrev_b32_e32 v1, v24, v22
	v_lshlrev_b32_sdwa v2, v21, v1 dst_sel:DWORD dst_unused:UNUSED_PAD src0_sel:DWORD src1_sel:BYTE_0
	v_add_u32_e32 v32, v18, v2
	v_and_b32_e32 v2, 1, v1
	v_add_co_u32_e32 v3, vcc, -1, v2
	v_addc_co_u32_e64 v4, s[26:27], 0, -1, vcc
	v_cmp_ne_u32_e32 vcc, 0, v2
	v_lshlrev_b32_e32 v6, 30, v1
	v_xor_b32_e32 v2, vcc_hi, v4
	v_xor_b32_e32 v3, vcc_lo, v3
	v_cmp_gt_i64_e32 vcc, 0, v[5:6]
	v_not_b32_e32 v4, v6
	v_ashrrev_i32_e32 v4, 31, v4
	v_and_b32_e32 v2, exec_hi, v2
	v_xor_b32_e32 v6, vcc_hi, v4
	v_and_b32_e32 v3, exec_lo, v3
	v_xor_b32_e32 v4, vcc_lo, v4
	v_and_b32_e32 v2, v2, v6
	v_lshlrev_b32_e32 v6, 29, v1
	v_and_b32_e32 v3, v3, v4
	v_cmp_gt_i64_e32 vcc, 0, v[5:6]
	v_not_b32_e32 v4, v6
	v_ashrrev_i32_e32 v4, 31, v4
	v_xor_b32_e32 v6, vcc_hi, v4
	v_xor_b32_e32 v4, vcc_lo, v4
	v_and_b32_e32 v2, v2, v6
	v_lshlrev_b32_e32 v6, 28, v1
	v_and_b32_e32 v3, v3, v4
	v_cmp_gt_i64_e32 vcc, 0, v[5:6]
	v_not_b32_e32 v4, v6
	v_ashrrev_i32_e32 v4, 31, v4
	v_xor_b32_e32 v6, vcc_hi, v4
	;; [unrolled: 8-line block ×5, first 2 shown]
	v_and_b32_e32 v2, v2, v6
	v_lshlrev_b32_e32 v6, 24, v1
	v_xor_b32_e32 v4, vcc_lo, v4
	v_cmp_gt_i64_e32 vcc, 0, v[5:6]
	v_not_b32_e32 v1, v6
	v_ashrrev_i32_e32 v1, 31, v1
	v_and_b32_e32 v3, v3, v4
	v_xor_b32_e32 v4, vcc_hi, v1
	v_xor_b32_e32 v1, vcc_lo, v1
	; wave barrier
	ds_read_b32 v31, v32 offset:16
	v_and_b32_e32 v1, v3, v1
	v_and_b32_e32 v2, v2, v4
	v_mbcnt_lo_u32_b32 v3, v1, 0
	v_mbcnt_hi_u32_b32 v6, v2, v3
	v_cmp_ne_u64_e32 vcc, 0, v[1:2]
	v_cmp_eq_u32_e64 s[26:27], 0, v6
	s_and_b64 s[28:29], vcc, s[26:27]
	; wave barrier
	s_and_saveexec_b64 s[26:27], s[28:29]
	s_cbranch_execz .LBB26_10
; %bb.9:                                ;   in Loop: Header=BB26_4 Depth=2
	v_bcnt_u32_b32 v1, v1, 0
	v_bcnt_u32_b32 v1, v2, v1
	s_waitcnt lgkmcnt(0)
	v_add_u32_e32 v1, v31, v1
	ds_write_b32 v32, v1 offset:16
.LBB26_10:                              ;   in Loop: Header=BB26_4 Depth=2
	s_or_b64 exec, exec, s[26:27]
	; wave barrier
	s_waitcnt lgkmcnt(0)
	s_barrier
	ds_read2_b64 v[1:4], v13 offset0:2 offset1:3
	s_waitcnt lgkmcnt(0)
	v_add_u32_e32 v33, v2, v1
	v_add3_u32 v4, v33, v3, v4
	s_nop 1
	v_mov_b32_dpp v33, v4 row_shr:1 row_mask:0xf bank_mask:0xf
	v_cndmask_b32_e64 v33, v33, 0, s[0:1]
	v_add_u32_e32 v4, v33, v4
	s_nop 1
	v_mov_b32_dpp v33, v4 row_shr:2 row_mask:0xf bank_mask:0xf
	v_cndmask_b32_e64 v33, 0, v33, s[2:3]
	v_add_u32_e32 v4, v4, v33
	;; [unrolled: 4-line block ×4, first 2 shown]
	s_nop 1
	v_mov_b32_dpp v33, v4 row_bcast:15 row_mask:0xf bank_mask:0xf
	v_cndmask_b32_e64 v33, v33, 0, s[8:9]
	v_add_u32_e32 v4, v4, v33
	s_nop 1
	v_mov_b32_dpp v33, v4 row_bcast:31 row_mask:0xf bank_mask:0xf
	v_cndmask_b32_e64 v33, 0, v33, s[10:11]
	v_add_u32_e32 v4, v4, v33
	s_and_saveexec_b64 s[26:27], s[12:13]
; %bb.11:                               ;   in Loop: Header=BB26_4 Depth=2
	ds_write_b32 v15, v4
; %bb.12:                               ;   in Loop: Header=BB26_4 Depth=2
	s_or_b64 exec, exec, s[26:27]
	s_waitcnt lgkmcnt(0)
	s_barrier
	s_and_saveexec_b64 s[26:27], s[14:15]
	s_cbranch_execz .LBB26_14
; %bb.13:                               ;   in Loop: Header=BB26_4 Depth=2
	ds_read_b32 v33, v16
	s_waitcnt lgkmcnt(0)
	s_nop 0
	v_mov_b32_dpp v34, v33 row_shr:1 row_mask:0xf bank_mask:0xf
	v_cndmask_b32_e64 v34, v34, 0, s[22:23]
	v_add_u32_e32 v33, v34, v33
	s_nop 1
	v_mov_b32_dpp v34, v33 row_shr:2 row_mask:0xf bank_mask:0xf
	v_cndmask_b32_e64 v34, 0, v34, s[24:25]
	v_add_u32_e32 v33, v33, v34
	ds_write_b32 v16, v33
.LBB26_14:                              ;   in Loop: Header=BB26_4 Depth=2
	s_or_b64 exec, exec, s[26:27]
	v_mov_b32_e32 v33, 0
	s_waitcnt lgkmcnt(0)
	s_barrier
	s_and_saveexec_b64 s[26:27], s[16:17]
; %bb.15:                               ;   in Loop: Header=BB26_4 Depth=2
	ds_read_b32 v33, v17
; %bb.16:                               ;   in Loop: Header=BB26_4 Depth=2
	s_or_b64 exec, exec, s[26:27]
	s_waitcnt lgkmcnt(0)
	v_add_u32_e32 v4, v33, v4
	ds_bpermute_b32 v4, v14, v4
	v_cmp_lt_u32_e32 vcc, 23, v24
	s_and_b64 vcc, exec, vcc
	s_mov_b64 s[26:27], -1
	s_waitcnt lgkmcnt(0)
	v_cndmask_b32_e64 v4, v4, v33, s[18:19]
	v_cndmask_b32_e64 v33, v4, 0, s[20:21]
	v_add_u32_e32 v34, v33, v1
	v_add_u32_e32 v1, v34, v2
	;; [unrolled: 1-line block ×3, first 2 shown]
	ds_write2_b64 v13, v[33:34], v[1:2] offset0:2 offset1:3
	s_waitcnt lgkmcnt(0)
	s_barrier
	ds_read_b32 v1, v27 offset:16
	ds_read_b32 v2, v29 offset:16
	;; [unrolled: 1-line block ×3, first 2 shown]
	s_waitcnt lgkmcnt(2)
	v_add_u32_e32 v26, v1, v26
	s_waitcnt lgkmcnt(1)
	v_add3_u32 v4, v30, v28, v2
	s_waitcnt lgkmcnt(0)
	v_add3_u32 v3, v6, v31, v3
                                        ; implicit-def: $vgpr6
                                        ; implicit-def: $vgpr2
	s_cbranch_vccnz .LBB26_3
; %bb.17:                               ;   in Loop: Header=BB26_4 Depth=2
	v_lshlrev_b32_e32 v1, 2, v26
	s_barrier
	ds_write_b32 v1, v25
	v_lshlrev_b32_e32 v1, 2, v4
	ds_write_b32 v1, v23
	v_lshlrev_b32_e32 v1, 2, v3
	ds_write_b32 v1, v22
	s_waitcnt lgkmcnt(0)
	s_barrier
	ds_read2st64_b32 v[1:2], v19 offset1:1
	ds_read_b32 v6, v19 offset:512
	v_add_u32_e32 v24, 8, v24
	s_mov_b64 s[26:27], 0
	s_waitcnt lgkmcnt(0)
	s_barrier
	s_branch .LBB26_3
.LBB26_18:
	s_add_u32 s0, s30, s36
	s_addc_u32 s1, s31, s37
	v_lshlrev_b32_e32 v0, 2, v0
	global_store_dword v0, v3, s[0:1]
	global_store_dword v0, v4, s[0:1] offset:1024
	global_store_dword v0, v6, s[0:1] offset:2048
	s_endpgm
	.section	.rodata,"a",@progbits
	.p2align	6, 0x0
	.amdhsa_kernel _Z16sort_keys_kernelI22helper_blocked_blockediLj256ELj3ELj10EEvPKT0_PS1_
		.amdhsa_group_segment_fixed_size 4112
		.amdhsa_private_segment_fixed_size 0
		.amdhsa_kernarg_size 272
		.amdhsa_user_sgpr_count 6
		.amdhsa_user_sgpr_private_segment_buffer 1
		.amdhsa_user_sgpr_dispatch_ptr 0
		.amdhsa_user_sgpr_queue_ptr 0
		.amdhsa_user_sgpr_kernarg_segment_ptr 1
		.amdhsa_user_sgpr_dispatch_id 0
		.amdhsa_user_sgpr_flat_scratch_init 0
		.amdhsa_user_sgpr_private_segment_size 0
		.amdhsa_uses_dynamic_stack 0
		.amdhsa_system_sgpr_private_segment_wavefront_offset 0
		.amdhsa_system_sgpr_workgroup_id_x 1
		.amdhsa_system_sgpr_workgroup_id_y 0
		.amdhsa_system_sgpr_workgroup_id_z 0
		.amdhsa_system_sgpr_workgroup_info 0
		.amdhsa_system_vgpr_workitem_id 2
		.amdhsa_next_free_vgpr 35
		.amdhsa_next_free_sgpr 38
		.amdhsa_reserve_vcc 1
		.amdhsa_reserve_flat_scratch 0
		.amdhsa_float_round_mode_32 0
		.amdhsa_float_round_mode_16_64 0
		.amdhsa_float_denorm_mode_32 3
		.amdhsa_float_denorm_mode_16_64 3
		.amdhsa_dx10_clamp 1
		.amdhsa_ieee_mode 1
		.amdhsa_fp16_overflow 0
		.amdhsa_exception_fp_ieee_invalid_op 0
		.amdhsa_exception_fp_denorm_src 0
		.amdhsa_exception_fp_ieee_div_zero 0
		.amdhsa_exception_fp_ieee_overflow 0
		.amdhsa_exception_fp_ieee_underflow 0
		.amdhsa_exception_fp_ieee_inexact 0
		.amdhsa_exception_int_div_zero 0
	.end_amdhsa_kernel
	.section	.text._Z16sort_keys_kernelI22helper_blocked_blockediLj256ELj3ELj10EEvPKT0_PS1_,"axG",@progbits,_Z16sort_keys_kernelI22helper_blocked_blockediLj256ELj3ELj10EEvPKT0_PS1_,comdat
.Lfunc_end26:
	.size	_Z16sort_keys_kernelI22helper_blocked_blockediLj256ELj3ELj10EEvPKT0_PS1_, .Lfunc_end26-_Z16sort_keys_kernelI22helper_blocked_blockediLj256ELj3ELj10EEvPKT0_PS1_
                                        ; -- End function
	.set _Z16sort_keys_kernelI22helper_blocked_blockediLj256ELj3ELj10EEvPKT0_PS1_.num_vgpr, 35
	.set _Z16sort_keys_kernelI22helper_blocked_blockediLj256ELj3ELj10EEvPKT0_PS1_.num_agpr, 0
	.set _Z16sort_keys_kernelI22helper_blocked_blockediLj256ELj3ELj10EEvPKT0_PS1_.numbered_sgpr, 38
	.set _Z16sort_keys_kernelI22helper_blocked_blockediLj256ELj3ELj10EEvPKT0_PS1_.num_named_barrier, 0
	.set _Z16sort_keys_kernelI22helper_blocked_blockediLj256ELj3ELj10EEvPKT0_PS1_.private_seg_size, 0
	.set _Z16sort_keys_kernelI22helper_blocked_blockediLj256ELj3ELj10EEvPKT0_PS1_.uses_vcc, 1
	.set _Z16sort_keys_kernelI22helper_blocked_blockediLj256ELj3ELj10EEvPKT0_PS1_.uses_flat_scratch, 0
	.set _Z16sort_keys_kernelI22helper_blocked_blockediLj256ELj3ELj10EEvPKT0_PS1_.has_dyn_sized_stack, 0
	.set _Z16sort_keys_kernelI22helper_blocked_blockediLj256ELj3ELj10EEvPKT0_PS1_.has_recursion, 0
	.set _Z16sort_keys_kernelI22helper_blocked_blockediLj256ELj3ELj10EEvPKT0_PS1_.has_indirect_call, 0
	.section	.AMDGPU.csdata,"",@progbits
; Kernel info:
; codeLenInByte = 2240
; TotalNumSgprs: 42
; NumVgprs: 35
; ScratchSize: 0
; MemoryBound: 0
; FloatMode: 240
; IeeeMode: 1
; LDSByteSize: 4112 bytes/workgroup (compile time only)
; SGPRBlocks: 5
; VGPRBlocks: 8
; NumSGPRsForWavesPerEU: 42
; NumVGPRsForWavesPerEU: 35
; Occupancy: 7
; WaveLimiterHint : 1
; COMPUTE_PGM_RSRC2:SCRATCH_EN: 0
; COMPUTE_PGM_RSRC2:USER_SGPR: 6
; COMPUTE_PGM_RSRC2:TRAP_HANDLER: 0
; COMPUTE_PGM_RSRC2:TGID_X_EN: 1
; COMPUTE_PGM_RSRC2:TGID_Y_EN: 0
; COMPUTE_PGM_RSRC2:TGID_Z_EN: 0
; COMPUTE_PGM_RSRC2:TIDIG_COMP_CNT: 2
	.section	.text._Z17sort_pairs_kernelI22helper_blocked_blockediLj256ELj3ELj10EEvPKT0_PS1_,"axG",@progbits,_Z17sort_pairs_kernelI22helper_blocked_blockediLj256ELj3ELj10EEvPKT0_PS1_,comdat
	.protected	_Z17sort_pairs_kernelI22helper_blocked_blockediLj256ELj3ELj10EEvPKT0_PS1_ ; -- Begin function _Z17sort_pairs_kernelI22helper_blocked_blockediLj256ELj3ELj10EEvPKT0_PS1_
	.globl	_Z17sort_pairs_kernelI22helper_blocked_blockediLj256ELj3ELj10EEvPKT0_PS1_
	.p2align	8
	.type	_Z17sort_pairs_kernelI22helper_blocked_blockediLj256ELj3ELj10EEvPKT0_PS1_,@function
_Z17sort_pairs_kernelI22helper_blocked_blockediLj256ELj3ELj10EEvPKT0_PS1_: ; @_Z17sort_pairs_kernelI22helper_blocked_blockediLj256ELj3ELj10EEvPKT0_PS1_
; %bb.0:
	s_load_dwordx4 s[28:31], s[4:5], 0x0
	s_load_dword s33, s[4:5], 0x1c
	s_mul_i32 s36, s6, 0x300
	s_mov_b32 s37, 0
	s_lshl_b64 s[34:35], s[36:37], 2
	s_waitcnt lgkmcnt(0)
	s_add_u32 s0, s28, s34
	s_addc_u32 s1, s29, s35
	v_lshlrev_b32_e32 v3, 2, v0
	global_load_dword v6, v3, s[0:1]
	global_load_dword v11, v3, s[0:1] offset:1024
	global_load_dword v12, v3, s[0:1] offset:2048
	s_lshr_b32 s28, s33, 16
	s_and_b32 s29, s33, 0xffff
	v_mad_u32_u24 v1, v2, s28, v1
	v_mbcnt_lo_u32_b32 v3, -1, 0
	v_mad_u64_u32 v[1:2], s[28:29], v1, s29, v[0:1]
	v_mbcnt_hi_u32_b32 v3, -1, v3
	v_lshrrev_b32_e32 v4, 6, v0
	v_lshlrev_b32_e32 v14, 4, v0
	v_and_b32_e32 v7, 0xc0, v0
	v_mul_u32_u24_e32 v9, 0xc0, v4
	v_subrev_co_u32_e64 v20, s[8:9], 1, v3
	v_and_b32_e32 v21, 64, v3
	v_lshlrev_b32_e32 v8, 3, v0
	s_mov_b32 s26, s37
	v_lshlrev_b32_e32 v10, 2, v3
	v_and_b32_e32 v18, 16, v3
	v_or_b32_e32 v19, 63, v7
	v_mad_i32_i24 v16, v0, -12, v14
	v_mul_u32_u24_e32 v7, 12, v7
	s_mov_b32 s36, s37
	v_lshlrev_b32_e32 v9, 2, v9
	v_cmp_lt_i32_e32 vcc, v20, v21
	s_mov_b32 s27, s37
	v_and_b32_e32 v17, 15, v3
	v_lshlrev_b32_e32 v15, 2, v4
	v_and_b32_e32 v4, 3, v3
	v_cmp_eq_u32_e64 s[18:19], 0, v18
	v_cmp_eq_u32_e64 s[20:21], v0, v19
	v_cndmask_b32_e32 v22, v20, v3, vcc
	v_add_u32_e32 v18, v10, v7
	v_add_u32_e32 v19, v16, v8
	v_mov_b32_e32 v7, s36
	v_mad_u32_u24 v20, v3, 12, v9
	v_add_u32_e32 v21, v10, v9
	v_lshrrev_b32_e32 v1, 4, v1
	v_mov_b32_e32 v9, s26
	v_mov_b32_e32 v5, 0
	;; [unrolled: 1-line block ×3, first 2 shown]
	v_cmp_gt_u32_e64 s[0:1], 4, v0
	v_cmp_lt_u32_e64 s[2:3], 63, v0
	v_cmp_eq_u32_e64 s[4:5], 0, v0
	v_cmp_lt_u32_e64 s[6:7], 31, v3
	v_cmp_eq_u32_e64 s[10:11], 0, v17
	v_cmp_lt_u32_e64 s[12:13], 1, v17
	v_cmp_lt_u32_e64 s[14:15], 3, v17
	;; [unrolled: 1-line block ×3, first 2 shown]
	v_cmp_eq_u32_e64 s[22:23], 0, v4
	v_cmp_lt_u32_e64 s[24:25], 1, v4
	v_add_u32_e32 v17, -4, v15
	v_mov_b32_e32 v8, s37
	v_lshlrev_b32_e32 v22, 2, v22
	v_and_b32_e32 v23, 0xffffffc, v1
	v_mov_b32_e32 v10, s27
	s_waitcnt vmcnt(2)
	v_add_u32_e32 v3, 1, v6
	s_waitcnt vmcnt(1)
	v_add_u32_e32 v4, 1, v11
	;; [unrolled: 2-line block ×3, first 2 shown]
	s_branch .LBB27_2
.LBB27_1:                               ;   in Loop: Header=BB27_2 Depth=1
	v_lshlrev_b32_e32 v3, 2, v12
	v_lshlrev_b32_e32 v4, 2, v11
	;; [unrolled: 1-line block ×3, first 2 shown]
	s_barrier
	ds_write_b32 v3, v25
	ds_write_b32 v4, v30
	;; [unrolled: 1-line block ×3, first 2 shown]
	s_waitcnt lgkmcnt(0)
	s_barrier
	ds_read2_b32 v[1:2], v19 offset1:1
	ds_read_b32 v12, v19 offset:8
	s_waitcnt lgkmcnt(0)
	s_barrier
	ds_write_b32 v3, v28
	ds_write_b32 v4, v27
	;; [unrolled: 1-line block ×3, first 2 shown]
	s_waitcnt lgkmcnt(0)
	s_barrier
	ds_read2_b32 v[3:4], v19 offset1:1
	ds_read_b32 v24, v19 offset:8
	s_add_i32 s37, s37, 1
	v_xor_b32_e32 v6, 0x80000000, v1
	v_xor_b32_e32 v11, 0x80000000, v2
	s_cmp_eq_u32 s37, 10
	v_xor_b32_e32 v12, 0x80000000, v12
	s_cbranch_scc1 .LBB27_18
.LBB27_2:                               ; =>This Loop Header: Depth=1
                                        ;     Child Loop BB27_4 Depth 2
	v_xor_b32_e32 v1, 0x80000000, v6
	v_xor_b32_e32 v2, 0x80000000, v11
	v_xor_b32_e32 v6, 0x80000000, v12
	ds_write2_b32 v20, v1, v2 offset1:1
	ds_write_b32 v20, v6 offset:8
	; wave barrier
	ds_read2st64_b32 v[1:2], v21 offset1:1
	ds_read_b32 v31, v21 offset:512
	; wave barrier
	s_waitcnt lgkmcnt(5)
	ds_write2_b32 v20, v3, v4 offset1:1
	s_waitcnt lgkmcnt(5)
	ds_write_b32 v20, v24 offset:8
	; wave barrier
	ds_read2st64_b32 v[3:4], v21 offset1:1
	ds_read_b32 v32, v21 offset:512
	v_mov_b32_e32 v24, v5
	s_waitcnt lgkmcnt(0)
	s_barrier
	s_branch .LBB27_4
.LBB27_3:                               ;   in Loop: Header=BB27_4 Depth=2
	s_andn2_b64 vcc, exec, s[26:27]
	s_cbranch_vccz .LBB27_1
.LBB27_4:                               ;   Parent Loop BB27_2 Depth=1
                                        ; =>  This Inner Loop Header: Depth=2
	v_mov_b32_e32 v25, v1
	v_lshrrev_b32_e32 v1, v24, v25
	v_and_b32_e32 v6, 1, v1
	v_add_co_u32_e64 v11, s[26:27], -1, v6
	v_cmp_ne_u32_e32 vcc, 0, v6
	v_addc_co_u32_e64 v6, s[26:27], 0, -1, s[26:27]
	v_xor_b32_e32 v6, vcc_hi, v6
	v_and_b32_e32 v12, exec_hi, v6
	v_lshlrev_b32_e32 v6, 30, v1
	v_cmp_gt_i64_e64 s[26:27], 0, v[5:6]
	v_not_b32_e32 v6, v6
	v_ashrrev_i32_e32 v6, 31, v6
	v_xor_b32_e32 v11, vcc_lo, v11
	v_xor_b32_e32 v26, s27, v6
	v_and_b32_e32 v11, exec_lo, v11
	v_xor_b32_e32 v6, s26, v6
	v_and_b32_e32 v11, v11, v6
	v_lshlrev_b32_e32 v6, 29, v1
	v_cmp_gt_i64_e32 vcc, 0, v[5:6]
	v_not_b32_e32 v6, v6
	v_ashrrev_i32_e32 v6, 31, v6
	v_and_b32_e32 v12, v12, v26
	v_xor_b32_e32 v26, vcc_hi, v6
	v_xor_b32_e32 v6, vcc_lo, v6
	v_and_b32_e32 v11, v11, v6
	v_lshlrev_b32_e32 v6, 28, v1
	v_cmp_gt_i64_e32 vcc, 0, v[5:6]
	v_not_b32_e32 v6, v6
	v_ashrrev_i32_e32 v6, 31, v6
	v_and_b32_e32 v12, v12, v26
	v_xor_b32_e32 v26, vcc_hi, v6
	v_xor_b32_e32 v6, vcc_lo, v6
	;; [unrolled: 8-line block ×6, first 2 shown]
	v_and_b32_e32 v11, v11, v6
	v_and_b32_e32 v12, v12, v26
	v_mov_b32_e32 v30, v2
	v_mbcnt_lo_u32_b32 v2, v11, 0
	v_mov_b32_e32 v29, v31
	v_mbcnt_hi_u32_b32 v31, v12, v2
	v_cmp_ne_u64_e32 vcc, 0, v[11:12]
	v_lshlrev_b32_sdwa v1, v13, v1 dst_sel:DWORD dst_unused:UNUSED_PAD src0_sel:DWORD src1_sel:BYTE_0
	v_cmp_eq_u32_e64 s[26:27], 0, v31
	v_mov_b32_e32 v26, v32
	v_mov_b32_e32 v27, v4
	;; [unrolled: 1-line block ×3, first 2 shown]
	s_and_b64 s[28:29], vcc, s[26:27]
	v_add_u32_e32 v32, v23, v1
	ds_write2_b64 v14, v[7:8], v[9:10] offset0:2 offset1:3
	s_waitcnt lgkmcnt(0)
	s_barrier
	; wave barrier
	s_and_saveexec_b64 s[26:27], s[28:29]
; %bb.5:                                ;   in Loop: Header=BB27_4 Depth=2
	v_bcnt_u32_b32 v1, v11, 0
	v_bcnt_u32_b32 v1, v12, v1
	ds_write_b32 v32, v1 offset:16
; %bb.6:                                ;   in Loop: Header=BB27_4 Depth=2
	s_or_b64 exec, exec, s[26:27]
	v_lshrrev_b32_e32 v1, v24, v30
	v_lshlrev_b32_sdwa v2, v13, v1 dst_sel:DWORD dst_unused:UNUSED_PAD src0_sel:DWORD src1_sel:BYTE_0
	v_add_u32_e32 v12, v23, v2
	v_and_b32_e32 v2, 1, v1
	v_add_co_u32_e32 v3, vcc, -1, v2
	v_addc_co_u32_e64 v4, s[26:27], 0, -1, vcc
	v_cmp_ne_u32_e32 vcc, 0, v2
	v_lshlrev_b32_e32 v6, 30, v1
	v_xor_b32_e32 v2, vcc_hi, v4
	v_xor_b32_e32 v3, vcc_lo, v3
	v_cmp_gt_i64_e32 vcc, 0, v[5:6]
	v_not_b32_e32 v4, v6
	v_ashrrev_i32_e32 v4, 31, v4
	v_and_b32_e32 v2, exec_hi, v2
	v_xor_b32_e32 v6, vcc_hi, v4
	v_and_b32_e32 v3, exec_lo, v3
	v_xor_b32_e32 v4, vcc_lo, v4
	v_and_b32_e32 v2, v2, v6
	v_lshlrev_b32_e32 v6, 29, v1
	v_and_b32_e32 v3, v3, v4
	v_cmp_gt_i64_e32 vcc, 0, v[5:6]
	v_not_b32_e32 v4, v6
	v_ashrrev_i32_e32 v4, 31, v4
	v_xor_b32_e32 v6, vcc_hi, v4
	v_xor_b32_e32 v4, vcc_lo, v4
	v_and_b32_e32 v2, v2, v6
	v_lshlrev_b32_e32 v6, 28, v1
	v_and_b32_e32 v3, v3, v4
	v_cmp_gt_i64_e32 vcc, 0, v[5:6]
	v_not_b32_e32 v4, v6
	v_ashrrev_i32_e32 v4, 31, v4
	v_xor_b32_e32 v6, vcc_hi, v4
	;; [unrolled: 8-line block ×5, first 2 shown]
	v_and_b32_e32 v2, v2, v6
	v_lshlrev_b32_e32 v6, 24, v1
	v_xor_b32_e32 v4, vcc_lo, v4
	v_cmp_gt_i64_e32 vcc, 0, v[5:6]
	v_not_b32_e32 v1, v6
	v_ashrrev_i32_e32 v1, 31, v1
	v_and_b32_e32 v3, v3, v4
	v_xor_b32_e32 v4, vcc_hi, v1
	v_xor_b32_e32 v1, vcc_lo, v1
	; wave barrier
	ds_read_b32 v11, v12 offset:16
	v_and_b32_e32 v1, v3, v1
	v_and_b32_e32 v2, v2, v4
	v_mbcnt_lo_u32_b32 v3, v1, 0
	v_mbcnt_hi_u32_b32 v33, v2, v3
	v_cmp_ne_u64_e32 vcc, 0, v[1:2]
	v_cmp_eq_u32_e64 s[26:27], 0, v33
	s_and_b64 s[28:29], vcc, s[26:27]
	; wave barrier
	s_and_saveexec_b64 s[26:27], s[28:29]
	s_cbranch_execz .LBB27_8
; %bb.7:                                ;   in Loop: Header=BB27_4 Depth=2
	v_bcnt_u32_b32 v1, v1, 0
	v_bcnt_u32_b32 v1, v2, v1
	s_waitcnt lgkmcnt(0)
	v_add_u32_e32 v1, v11, v1
	ds_write_b32 v12, v1 offset:16
.LBB27_8:                               ;   in Loop: Header=BB27_4 Depth=2
	s_or_b64 exec, exec, s[26:27]
	v_lshrrev_b32_e32 v1, v24, v29
	v_lshlrev_b32_sdwa v2, v13, v1 dst_sel:DWORD dst_unused:UNUSED_PAD src0_sel:DWORD src1_sel:BYTE_0
	v_add_u32_e32 v35, v23, v2
	v_and_b32_e32 v2, 1, v1
	v_add_co_u32_e32 v3, vcc, -1, v2
	v_addc_co_u32_e64 v4, s[26:27], 0, -1, vcc
	v_cmp_ne_u32_e32 vcc, 0, v2
	v_lshlrev_b32_e32 v6, 30, v1
	v_xor_b32_e32 v2, vcc_hi, v4
	v_xor_b32_e32 v3, vcc_lo, v3
	v_cmp_gt_i64_e32 vcc, 0, v[5:6]
	v_not_b32_e32 v4, v6
	v_ashrrev_i32_e32 v4, 31, v4
	v_and_b32_e32 v2, exec_hi, v2
	v_xor_b32_e32 v6, vcc_hi, v4
	v_and_b32_e32 v3, exec_lo, v3
	v_xor_b32_e32 v4, vcc_lo, v4
	v_and_b32_e32 v2, v2, v6
	v_lshlrev_b32_e32 v6, 29, v1
	v_and_b32_e32 v3, v3, v4
	v_cmp_gt_i64_e32 vcc, 0, v[5:6]
	v_not_b32_e32 v4, v6
	v_ashrrev_i32_e32 v4, 31, v4
	v_xor_b32_e32 v6, vcc_hi, v4
	v_xor_b32_e32 v4, vcc_lo, v4
	v_and_b32_e32 v2, v2, v6
	v_lshlrev_b32_e32 v6, 28, v1
	v_and_b32_e32 v3, v3, v4
	v_cmp_gt_i64_e32 vcc, 0, v[5:6]
	v_not_b32_e32 v4, v6
	v_ashrrev_i32_e32 v4, 31, v4
	v_xor_b32_e32 v6, vcc_hi, v4
	;; [unrolled: 8-line block ×5, first 2 shown]
	v_and_b32_e32 v2, v2, v6
	v_lshlrev_b32_e32 v6, 24, v1
	v_xor_b32_e32 v4, vcc_lo, v4
	v_cmp_gt_i64_e32 vcc, 0, v[5:6]
	v_not_b32_e32 v1, v6
	v_ashrrev_i32_e32 v1, 31, v1
	v_and_b32_e32 v3, v3, v4
	v_xor_b32_e32 v4, vcc_hi, v1
	v_xor_b32_e32 v1, vcc_lo, v1
	; wave barrier
	ds_read_b32 v34, v35 offset:16
	v_and_b32_e32 v1, v3, v1
	v_and_b32_e32 v2, v2, v4
	v_mbcnt_lo_u32_b32 v3, v1, 0
	v_mbcnt_hi_u32_b32 v6, v2, v3
	v_cmp_ne_u64_e32 vcc, 0, v[1:2]
	v_cmp_eq_u32_e64 s[26:27], 0, v6
	s_and_b64 s[28:29], vcc, s[26:27]
	; wave barrier
	s_and_saveexec_b64 s[26:27], s[28:29]
	s_cbranch_execz .LBB27_10
; %bb.9:                                ;   in Loop: Header=BB27_4 Depth=2
	v_bcnt_u32_b32 v1, v1, 0
	v_bcnt_u32_b32 v1, v2, v1
	s_waitcnt lgkmcnt(0)
	v_add_u32_e32 v1, v34, v1
	ds_write_b32 v35, v1 offset:16
.LBB27_10:                              ;   in Loop: Header=BB27_4 Depth=2
	s_or_b64 exec, exec, s[26:27]
	; wave barrier
	s_waitcnt lgkmcnt(0)
	s_barrier
	ds_read2_b64 v[1:4], v14 offset0:2 offset1:3
	s_waitcnt lgkmcnt(0)
	v_add_u32_e32 v36, v2, v1
	v_add3_u32 v4, v36, v3, v4
	s_nop 1
	v_mov_b32_dpp v36, v4 row_shr:1 row_mask:0xf bank_mask:0xf
	v_cndmask_b32_e64 v36, v36, 0, s[10:11]
	v_add_u32_e32 v4, v36, v4
	s_nop 1
	v_mov_b32_dpp v36, v4 row_shr:2 row_mask:0xf bank_mask:0xf
	v_cndmask_b32_e64 v36, 0, v36, s[12:13]
	v_add_u32_e32 v4, v4, v36
	;; [unrolled: 4-line block ×4, first 2 shown]
	s_nop 1
	v_mov_b32_dpp v36, v4 row_bcast:15 row_mask:0xf bank_mask:0xf
	v_cndmask_b32_e64 v36, v36, 0, s[18:19]
	v_add_u32_e32 v4, v4, v36
	s_nop 1
	v_mov_b32_dpp v36, v4 row_bcast:31 row_mask:0xf bank_mask:0xf
	v_cndmask_b32_e64 v36, 0, v36, s[6:7]
	v_add_u32_e32 v4, v4, v36
	s_and_saveexec_b64 s[26:27], s[20:21]
; %bb.11:                               ;   in Loop: Header=BB27_4 Depth=2
	ds_write_b32 v15, v4
; %bb.12:                               ;   in Loop: Header=BB27_4 Depth=2
	s_or_b64 exec, exec, s[26:27]
	s_waitcnt lgkmcnt(0)
	s_barrier
	s_and_saveexec_b64 s[26:27], s[0:1]
	s_cbranch_execz .LBB27_14
; %bb.13:                               ;   in Loop: Header=BB27_4 Depth=2
	ds_read_b32 v36, v16
	s_waitcnt lgkmcnt(0)
	s_nop 0
	v_mov_b32_dpp v37, v36 row_shr:1 row_mask:0xf bank_mask:0xf
	v_cndmask_b32_e64 v37, v37, 0, s[22:23]
	v_add_u32_e32 v36, v37, v36
	s_nop 1
	v_mov_b32_dpp v37, v36 row_shr:2 row_mask:0xf bank_mask:0xf
	v_cndmask_b32_e64 v37, 0, v37, s[24:25]
	v_add_u32_e32 v36, v36, v37
	ds_write_b32 v16, v36
.LBB27_14:                              ;   in Loop: Header=BB27_4 Depth=2
	s_or_b64 exec, exec, s[26:27]
	v_mov_b32_e32 v36, 0
	s_waitcnt lgkmcnt(0)
	s_barrier
	s_and_saveexec_b64 s[26:27], s[2:3]
; %bb.15:                               ;   in Loop: Header=BB27_4 Depth=2
	ds_read_b32 v36, v17
; %bb.16:                               ;   in Loop: Header=BB27_4 Depth=2
	s_or_b64 exec, exec, s[26:27]
	s_waitcnt lgkmcnt(0)
	v_add_u32_e32 v4, v36, v4
	ds_bpermute_b32 v4, v22, v4
	v_cmp_lt_u32_e32 vcc, 23, v24
	s_and_b64 vcc, exec, vcc
	s_mov_b64 s[26:27], -1
	s_waitcnt lgkmcnt(0)
	v_cndmask_b32_e64 v4, v4, v36, s[8:9]
	v_cndmask_b32_e64 v36, v4, 0, s[4:5]
	v_add_u32_e32 v37, v36, v1
	v_add_u32_e32 v1, v37, v2
	;; [unrolled: 1-line block ×3, first 2 shown]
	ds_write2_b64 v14, v[36:37], v[1:2] offset0:2 offset1:3
	s_waitcnt lgkmcnt(0)
	s_barrier
	ds_read_b32 v1, v32 offset:16
	ds_read_b32 v2, v12 offset:16
	;; [unrolled: 1-line block ×3, first 2 shown]
                                        ; implicit-def: $vgpr32
	s_waitcnt lgkmcnt(2)
	v_add_u32_e32 v12, v1, v31
	s_waitcnt lgkmcnt(1)
	v_add3_u32 v11, v33, v11, v2
	s_waitcnt lgkmcnt(0)
	v_add3_u32 v6, v6, v34, v3
                                        ; implicit-def: $vgpr31
                                        ; implicit-def: $vgpr2
                                        ; implicit-def: $vgpr4
	s_cbranch_vccnz .LBB27_3
; %bb.17:                               ;   in Loop: Header=BB27_4 Depth=2
	v_lshlrev_b32_e32 v3, 2, v12
	v_lshlrev_b32_e32 v4, 2, v11
	;; [unrolled: 1-line block ×3, first 2 shown]
	s_barrier
	ds_write_b32 v3, v25
	ds_write_b32 v4, v30
	;; [unrolled: 1-line block ×3, first 2 shown]
	s_waitcnt lgkmcnt(0)
	s_barrier
	ds_read2st64_b32 v[1:2], v18 offset1:1
	ds_read_b32 v31, v18 offset:512
	s_waitcnt lgkmcnt(0)
	s_barrier
	ds_write_b32 v3, v28
	ds_write_b32 v4, v27
	;; [unrolled: 1-line block ×3, first 2 shown]
	s_waitcnt lgkmcnt(0)
	s_barrier
	ds_read2st64_b32 v[3:4], v18 offset1:1
	ds_read_b32 v32, v18 offset:512
	v_add_u32_e32 v24, 8, v24
	s_mov_b64 s[26:27], 0
	s_waitcnt lgkmcnt(0)
	s_barrier
	s_branch .LBB27_3
.LBB27_18:
	s_add_u32 s0, s30, s34
	s_waitcnt lgkmcnt(1)
	v_add_u32_e32 v1, v6, v3
	s_addc_u32 s1, s31, s35
	v_lshlrev_b32_e32 v0, 2, v0
	v_add_u32_e32 v2, v11, v4
	s_waitcnt lgkmcnt(0)
	v_add_u32_e32 v3, v12, v24
	global_store_dword v0, v1, s[0:1]
	global_store_dword v0, v2, s[0:1] offset:1024
	global_store_dword v0, v3, s[0:1] offset:2048
	s_endpgm
	.section	.rodata,"a",@progbits
	.p2align	6, 0x0
	.amdhsa_kernel _Z17sort_pairs_kernelI22helper_blocked_blockediLj256ELj3ELj10EEvPKT0_PS1_
		.amdhsa_group_segment_fixed_size 4112
		.amdhsa_private_segment_fixed_size 0
		.amdhsa_kernarg_size 272
		.amdhsa_user_sgpr_count 6
		.amdhsa_user_sgpr_private_segment_buffer 1
		.amdhsa_user_sgpr_dispatch_ptr 0
		.amdhsa_user_sgpr_queue_ptr 0
		.amdhsa_user_sgpr_kernarg_segment_ptr 1
		.amdhsa_user_sgpr_dispatch_id 0
		.amdhsa_user_sgpr_flat_scratch_init 0
		.amdhsa_user_sgpr_private_segment_size 0
		.amdhsa_uses_dynamic_stack 0
		.amdhsa_system_sgpr_private_segment_wavefront_offset 0
		.amdhsa_system_sgpr_workgroup_id_x 1
		.amdhsa_system_sgpr_workgroup_id_y 0
		.amdhsa_system_sgpr_workgroup_id_z 0
		.amdhsa_system_sgpr_workgroup_info 0
		.amdhsa_system_vgpr_workitem_id 2
		.amdhsa_next_free_vgpr 38
		.amdhsa_next_free_sgpr 38
		.amdhsa_reserve_vcc 1
		.amdhsa_reserve_flat_scratch 0
		.amdhsa_float_round_mode_32 0
		.amdhsa_float_round_mode_16_64 0
		.amdhsa_float_denorm_mode_32 3
		.amdhsa_float_denorm_mode_16_64 3
		.amdhsa_dx10_clamp 1
		.amdhsa_ieee_mode 1
		.amdhsa_fp16_overflow 0
		.amdhsa_exception_fp_ieee_invalid_op 0
		.amdhsa_exception_fp_denorm_src 0
		.amdhsa_exception_fp_ieee_div_zero 0
		.amdhsa_exception_fp_ieee_overflow 0
		.amdhsa_exception_fp_ieee_underflow 0
		.amdhsa_exception_fp_ieee_inexact 0
		.amdhsa_exception_int_div_zero 0
	.end_amdhsa_kernel
	.section	.text._Z17sort_pairs_kernelI22helper_blocked_blockediLj256ELj3ELj10EEvPKT0_PS1_,"axG",@progbits,_Z17sort_pairs_kernelI22helper_blocked_blockediLj256ELj3ELj10EEvPKT0_PS1_,comdat
.Lfunc_end27:
	.size	_Z17sort_pairs_kernelI22helper_blocked_blockediLj256ELj3ELj10EEvPKT0_PS1_, .Lfunc_end27-_Z17sort_pairs_kernelI22helper_blocked_blockediLj256ELj3ELj10EEvPKT0_PS1_
                                        ; -- End function
	.set _Z17sort_pairs_kernelI22helper_blocked_blockediLj256ELj3ELj10EEvPKT0_PS1_.num_vgpr, 38
	.set _Z17sort_pairs_kernelI22helper_blocked_blockediLj256ELj3ELj10EEvPKT0_PS1_.num_agpr, 0
	.set _Z17sort_pairs_kernelI22helper_blocked_blockediLj256ELj3ELj10EEvPKT0_PS1_.numbered_sgpr, 38
	.set _Z17sort_pairs_kernelI22helper_blocked_blockediLj256ELj3ELj10EEvPKT0_PS1_.num_named_barrier, 0
	.set _Z17sort_pairs_kernelI22helper_blocked_blockediLj256ELj3ELj10EEvPKT0_PS1_.private_seg_size, 0
	.set _Z17sort_pairs_kernelI22helper_blocked_blockediLj256ELj3ELj10EEvPKT0_PS1_.uses_vcc, 1
	.set _Z17sort_pairs_kernelI22helper_blocked_blockediLj256ELj3ELj10EEvPKT0_PS1_.uses_flat_scratch, 0
	.set _Z17sort_pairs_kernelI22helper_blocked_blockediLj256ELj3ELj10EEvPKT0_PS1_.has_dyn_sized_stack, 0
	.set _Z17sort_pairs_kernelI22helper_blocked_blockediLj256ELj3ELj10EEvPKT0_PS1_.has_recursion, 0
	.set _Z17sort_pairs_kernelI22helper_blocked_blockediLj256ELj3ELj10EEvPKT0_PS1_.has_indirect_call, 0
	.section	.AMDGPU.csdata,"",@progbits
; Kernel info:
; codeLenInByte = 2432
; TotalNumSgprs: 42
; NumVgprs: 38
; ScratchSize: 0
; MemoryBound: 0
; FloatMode: 240
; IeeeMode: 1
; LDSByteSize: 4112 bytes/workgroup (compile time only)
; SGPRBlocks: 5
; VGPRBlocks: 9
; NumSGPRsForWavesPerEU: 42
; NumVGPRsForWavesPerEU: 38
; Occupancy: 6
; WaveLimiterHint : 1
; COMPUTE_PGM_RSRC2:SCRATCH_EN: 0
; COMPUTE_PGM_RSRC2:USER_SGPR: 6
; COMPUTE_PGM_RSRC2:TRAP_HANDLER: 0
; COMPUTE_PGM_RSRC2:TGID_X_EN: 1
; COMPUTE_PGM_RSRC2:TGID_Y_EN: 0
; COMPUTE_PGM_RSRC2:TGID_Z_EN: 0
; COMPUTE_PGM_RSRC2:TIDIG_COMP_CNT: 2
	.section	.text._Z16sort_keys_kernelI22helper_blocked_blockediLj256ELj4ELj10EEvPKT0_PS1_,"axG",@progbits,_Z16sort_keys_kernelI22helper_blocked_blockediLj256ELj4ELj10EEvPKT0_PS1_,comdat
	.protected	_Z16sort_keys_kernelI22helper_blocked_blockediLj256ELj4ELj10EEvPKT0_PS1_ ; -- Begin function _Z16sort_keys_kernelI22helper_blocked_blockediLj256ELj4ELj10EEvPKT0_PS1_
	.globl	_Z16sort_keys_kernelI22helper_blocked_blockediLj256ELj4ELj10EEvPKT0_PS1_
	.p2align	8
	.type	_Z16sort_keys_kernelI22helper_blocked_blockediLj256ELj4ELj10EEvPKT0_PS1_,@function
_Z16sort_keys_kernelI22helper_blocked_blockediLj256ELj4ELj10EEvPKT0_PS1_: ; @_Z16sort_keys_kernelI22helper_blocked_blockediLj256ELj4ELj10EEvPKT0_PS1_
; %bb.0:
	s_load_dwordx4 s[36:39], s[4:5], 0x0
	s_load_dword s8, s[4:5], 0x1c
	s_lshl_b32 s40, s6, 10
	s_mov_b32 s41, 0
	s_lshl_b64 s[42:43], s[40:41], 2
	s_waitcnt lgkmcnt(0)
	s_add_u32 s0, s36, s42
	s_addc_u32 s1, s37, s43
	v_lshlrev_b32_e32 v5, 2, v0
	global_load_dword v24, v5, s[0:1]
	global_load_dword v3, v5, s[0:1] offset:1024
	global_load_dword v4, v5, s[0:1] offset:2048
	;; [unrolled: 1-line block ×3, first 2 shown]
	s_lshr_b32 s9, s8, 16
	v_mbcnt_lo_u32_b32 v7, -1, 0
	s_and_b32 s8, s8, 0xffff
	v_mad_u32_u24 v1, v2, s9, v1
	v_mbcnt_hi_u32_b32 v7, -1, v7
	v_mad_u64_u32 v[1:2], s[8:9], v1, s8, v[0:1]
	v_and_b32_e32 v2, 15, v7
	v_cmp_eq_u32_e64 s[8:9], 0, v2
	v_cmp_lt_u32_e64 s[10:11], 1, v2
	v_cmp_lt_u32_e64 s[12:13], 3, v2
	;; [unrolled: 1-line block ×3, first 2 shown]
	v_and_b32_e32 v2, 16, v7
	v_cmp_eq_u32_e64 s[16:17], 0, v2
	v_or_b32_e32 v2, 63, v0
	v_and_b32_e32 v10, 64, v7
	v_cmp_eq_u32_e64 s[20:21], v0, v2
	v_subrev_co_u32_e64 v2, s[26:27], 1, v7
	v_cmp_lt_i32_e32 vcc, v2, v10
	v_lshrrev_b32_e32 v8, 2, v7
	v_cndmask_b32_e32 v2, v2, v7, vcc
	v_or_b32_e32 v11, v8, v10
	v_add_u32_e32 v8, 48, v8
	v_lshlrev_b32_e32 v15, 4, v0
	v_lshlrev_b32_e32 v16, 2, v2
	v_lshrrev_b32_e32 v2, 4, v0
	v_and_b32_e32 v9, 3, v7
	v_and_or_b32 v8, v8, 63, v10
	v_and_b32_e32 v17, 12, v2
	v_and_b32_e32 v2, 0xc00, v15
	v_lshrrev_b32_e32 v1, 4, v1
	s_mov_b32 s40, s41
	s_mov_b32 s34, s41
	v_cmp_eq_u32_e64 s[0:1], 3, v9
	v_cmp_eq_u32_e64 s[2:3], 2, v9
	v_cmp_eq_u32_e64 s[4:5], 1, v9
	v_cmp_eq_u32_e64 s[6:7], 0, v9
	v_lshlrev_b32_e32 v11, 2, v11
	v_lshlrev_b32_e32 v14, 2, v8
	v_cmp_lt_u32_e64 s[18:19], 31, v7
	v_mad_i32_i24 v18, v0, -12, v15
	v_cmp_lt_u32_e64 s[30:31], 1, v9
	v_lshl_or_b32 v19, v7, 2, v2
	v_and_b32_e32 v21, 0xffffffc, v1
	v_mul_u32_u24_e32 v1, 12, v0
	s_mov_b32 s35, s41
	v_mov_b32_e32 v7, s40
	v_mov_b32_e32 v9, s34
	;; [unrolled: 1-line block ×3, first 2 shown]
	v_add_u32_e32 v12, 64, v11
	v_or_b32_e32 v13, 0x80, v11
	v_cmp_gt_u32_e64 s[22:23], 4, v0
	v_cmp_lt_u32_e64 s[24:25], 63, v0
	v_cmp_eq_u32_e64 s[28:29], 0, v0
	v_add_u32_e32 v20, -4, v17
	v_add_u32_e32 v22, v18, v1
	v_mov_b32_e32 v23, 4
	v_mov_b32_e32 v8, s41
	;; [unrolled: 1-line block ×3, first 2 shown]
	s_branch .LBB28_2
.LBB28_1:                               ;   in Loop: Header=BB28_2 Depth=1
	v_lshlrev_b32_e32 v1, 2, v32
	s_barrier
	ds_write_b32 v1, v28
	v_lshlrev_b32_e32 v1, 2, v30
	ds_write_b32 v1, v27
	v_lshlrev_b32_e32 v1, 2, v29
	;; [unrolled: 2-line block ×3, first 2 shown]
	ds_write_b32 v1, v24
	s_waitcnt lgkmcnt(0)
	s_barrier
	ds_read2_b64 v[24:27], v22 offset1:1
	s_add_i32 s41, s41, 1
	s_cmp_eq_u32 s41, 10
	s_waitcnt lgkmcnt(0)
	v_xor_b32_e32 v24, 0x80000000, v24
	v_xor_b32_e32 v3, 0x80000000, v25
	v_xor_b32_e32 v4, 0x80000000, v26
	v_xor_b32_e32 v6, 0x80000000, v27
	s_cbranch_scc1 .LBB28_20
.LBB28_2:                               ; =>This Loop Header: Depth=1
                                        ;     Child Loop BB28_4 Depth 2
	s_waitcnt vmcnt(3)
	v_xor_b32_e32 v24, 0x80000000, v24
	ds_bpermute_b32 v1, v11, v24
	s_waitcnt vmcnt(2)
	v_xor_b32_e32 v3, 0x80000000, v3
	s_waitcnt vmcnt(1)
	v_xor_b32_e32 v4, 0x80000000, v4
	ds_bpermute_b32 v2, v11, v3
	ds_bpermute_b32 v25, v11, v4
	;; [unrolled: 1-line block ×3, first 2 shown]
	s_waitcnt vmcnt(0)
	v_xor_b32_e32 v6, 0x80000000, v6
	ds_bpermute_b32 v26, v11, v6
	s_waitcnt lgkmcnt(4)
	v_cndmask_b32_e64 v1, 0, v1, s[6:7]
	ds_bpermute_b32 v28, v12, v3
	s_waitcnt lgkmcnt(4)
	v_cndmask_b32_e64 v1, v1, v2, s[4:5]
	s_waitcnt lgkmcnt(3)
	v_cndmask_b32_e64 v1, v1, v25, s[2:3]
	;; [unrolled: 2-line block ×3, first 2 shown]
	ds_bpermute_b32 v25, v12, v4
	ds_bpermute_b32 v27, v13, v24
	s_waitcnt lgkmcnt(3)
	v_cndmask_b32_e64 v1, v1, v26, s[0:1]
	ds_bpermute_b32 v26, v12, v6
	s_waitcnt lgkmcnt(3)
	v_cndmask_b32_e64 v2, v2, v28, s[4:5]
	ds_bpermute_b32 v24, v14, v24
	ds_bpermute_b32 v28, v13, v3
	s_waitcnt lgkmcnt(4)
	v_cndmask_b32_e64 v2, v2, v25, s[2:3]
	s_waitcnt lgkmcnt(3)
	v_cndmask_b32_e64 v25, 0, v27, s[6:7]
	ds_bpermute_b32 v27, v14, v3
	ds_bpermute_b32 v29, v13, v4
	;; [unrolled: 1-line block ×3, first 2 shown]
	s_waitcnt lgkmcnt(5)
	v_cndmask_b32_e64 v2, v2, v26, s[0:1]
	ds_bpermute_b32 v26, v13, v6
	ds_bpermute_b32 v6, v14, v6
	s_waitcnt lgkmcnt(6)
	v_cndmask_b32_e64 v24, 0, v24, s[6:7]
	s_waitcnt lgkmcnt(5)
	v_cndmask_b32_e64 v25, v25, v28, s[4:5]
	;; [unrolled: 2-line block ×7, first 2 shown]
	v_mov_b32_e32 v26, v5
	s_barrier
	s_branch .LBB28_4
.LBB28_3:                               ;   in Loop: Header=BB28_4 Depth=2
	s_andn2_b64 vcc, exec, s[34:35]
	s_cbranch_vccz .LBB28_1
.LBB28_4:                               ;   Parent Loop BB28_2 Depth=1
                                        ; =>  This Inner Loop Header: Depth=2
	v_mov_b32_e32 v28, v1
	v_lshrrev_b32_e32 v1, v26, v28
	v_mov_b32_e32 v27, v2
	v_and_b32_e32 v2, 1, v1
	v_mov_b32_e32 v24, v4
	v_add_co_u32_e32 v4, vcc, -1, v2
	v_addc_co_u32_e64 v6, s[34:35], 0, -1, vcc
	v_cmp_ne_u32_e32 vcc, 0, v2
	v_xor_b32_e32 v2, vcc_hi, v6
	v_lshlrev_b32_e32 v6, 30, v1
	v_xor_b32_e32 v4, vcc_lo, v4
	v_cmp_gt_i64_e32 vcc, 0, v[5:6]
	v_not_b32_e32 v6, v6
	v_ashrrev_i32_e32 v6, 31, v6
	v_and_b32_e32 v4, exec_lo, v4
	v_xor_b32_e32 v29, vcc_hi, v6
	v_xor_b32_e32 v6, vcc_lo, v6
	v_and_b32_e32 v4, v4, v6
	v_lshlrev_b32_e32 v6, 29, v1
	v_cmp_gt_i64_e32 vcc, 0, v[5:6]
	v_not_b32_e32 v6, v6
	v_and_b32_e32 v2, exec_hi, v2
	v_ashrrev_i32_e32 v6, 31, v6
	v_and_b32_e32 v2, v2, v29
	v_xor_b32_e32 v29, vcc_hi, v6
	v_xor_b32_e32 v6, vcc_lo, v6
	v_and_b32_e32 v4, v4, v6
	v_lshlrev_b32_e32 v6, 28, v1
	v_cmp_gt_i64_e32 vcc, 0, v[5:6]
	v_not_b32_e32 v6, v6
	v_ashrrev_i32_e32 v6, 31, v6
	v_and_b32_e32 v2, v2, v29
	v_xor_b32_e32 v29, vcc_hi, v6
	v_xor_b32_e32 v6, vcc_lo, v6
	v_and_b32_e32 v4, v4, v6
	v_lshlrev_b32_e32 v6, 27, v1
	v_cmp_gt_i64_e32 vcc, 0, v[5:6]
	v_not_b32_e32 v6, v6
	;; [unrolled: 8-line block ×4, first 2 shown]
	v_ashrrev_i32_e32 v6, 31, v6
	v_and_b32_e32 v2, v2, v29
	v_xor_b32_e32 v29, vcc_hi, v6
	v_xor_b32_e32 v6, vcc_lo, v6
	v_and_b32_e32 v4, v4, v6
	v_lshlrev_b32_e32 v6, 24, v1
	v_mov_b32_e32 v25, v3
	v_lshlrev_b32_sdwa v3, v23, v1 dst_sel:DWORD dst_unused:UNUSED_PAD src0_sel:DWORD src1_sel:BYTE_0
	v_cmp_gt_i64_e32 vcc, 0, v[5:6]
	v_not_b32_e32 v1, v6
	v_ashrrev_i32_e32 v1, 31, v1
	v_xor_b32_e32 v6, vcc_hi, v1
	v_xor_b32_e32 v1, vcc_lo, v1
	v_and_b32_e32 v2, v2, v29
	v_and_b32_e32 v1, v4, v1
	;; [unrolled: 1-line block ×3, first 2 shown]
	v_mbcnt_lo_u32_b32 v4, v1, 0
	v_mbcnt_hi_u32_b32 v29, v2, v4
	v_cmp_ne_u64_e32 vcc, 0, v[1:2]
	v_cmp_eq_u32_e64 s[34:35], 0, v29
	s_and_b64 s[36:37], vcc, s[34:35]
	v_add_u32_e32 v30, v21, v3
	ds_write2_b64 v15, v[7:8], v[9:10] offset0:2 offset1:3
	s_waitcnt lgkmcnt(0)
	s_barrier
	; wave barrier
	s_and_saveexec_b64 s[34:35], s[36:37]
; %bb.5:                                ;   in Loop: Header=BB28_4 Depth=2
	v_bcnt_u32_b32 v1, v1, 0
	v_bcnt_u32_b32 v1, v2, v1
	ds_write_b32 v30, v1 offset:16
; %bb.6:                                ;   in Loop: Header=BB28_4 Depth=2
	s_or_b64 exec, exec, s[34:35]
	v_lshrrev_b32_e32 v1, v26, v27
	v_lshlrev_b32_sdwa v2, v23, v1 dst_sel:DWORD dst_unused:UNUSED_PAD src0_sel:DWORD src1_sel:BYTE_0
	v_add_u32_e32 v32, v21, v2
	v_and_b32_e32 v2, 1, v1
	v_add_co_u32_e32 v3, vcc, -1, v2
	v_addc_co_u32_e64 v4, s[34:35], 0, -1, vcc
	v_cmp_ne_u32_e32 vcc, 0, v2
	v_lshlrev_b32_e32 v6, 30, v1
	v_xor_b32_e32 v2, vcc_hi, v4
	v_xor_b32_e32 v3, vcc_lo, v3
	v_cmp_gt_i64_e32 vcc, 0, v[5:6]
	v_not_b32_e32 v4, v6
	v_ashrrev_i32_e32 v4, 31, v4
	v_and_b32_e32 v2, exec_hi, v2
	v_xor_b32_e32 v6, vcc_hi, v4
	v_and_b32_e32 v3, exec_lo, v3
	v_xor_b32_e32 v4, vcc_lo, v4
	v_and_b32_e32 v2, v2, v6
	v_lshlrev_b32_e32 v6, 29, v1
	v_and_b32_e32 v3, v3, v4
	v_cmp_gt_i64_e32 vcc, 0, v[5:6]
	v_not_b32_e32 v4, v6
	v_ashrrev_i32_e32 v4, 31, v4
	v_xor_b32_e32 v6, vcc_hi, v4
	v_xor_b32_e32 v4, vcc_lo, v4
	v_and_b32_e32 v2, v2, v6
	v_lshlrev_b32_e32 v6, 28, v1
	v_and_b32_e32 v3, v3, v4
	v_cmp_gt_i64_e32 vcc, 0, v[5:6]
	v_not_b32_e32 v4, v6
	v_ashrrev_i32_e32 v4, 31, v4
	v_xor_b32_e32 v6, vcc_hi, v4
	;; [unrolled: 8-line block ×5, first 2 shown]
	v_and_b32_e32 v2, v2, v6
	v_lshlrev_b32_e32 v6, 24, v1
	v_xor_b32_e32 v4, vcc_lo, v4
	v_cmp_gt_i64_e32 vcc, 0, v[5:6]
	v_not_b32_e32 v1, v6
	v_ashrrev_i32_e32 v1, 31, v1
	v_and_b32_e32 v3, v3, v4
	v_xor_b32_e32 v4, vcc_hi, v1
	v_xor_b32_e32 v1, vcc_lo, v1
	; wave barrier
	ds_read_b32 v31, v32 offset:16
	v_and_b32_e32 v1, v3, v1
	v_and_b32_e32 v2, v2, v4
	v_mbcnt_lo_u32_b32 v3, v1, 0
	v_mbcnt_hi_u32_b32 v33, v2, v3
	v_cmp_ne_u64_e32 vcc, 0, v[1:2]
	v_cmp_eq_u32_e64 s[34:35], 0, v33
	s_and_b64 s[36:37], vcc, s[34:35]
	; wave barrier
	s_and_saveexec_b64 s[34:35], s[36:37]
	s_cbranch_execz .LBB28_8
; %bb.7:                                ;   in Loop: Header=BB28_4 Depth=2
	v_bcnt_u32_b32 v1, v1, 0
	v_bcnt_u32_b32 v1, v2, v1
	s_waitcnt lgkmcnt(0)
	v_add_u32_e32 v1, v31, v1
	ds_write_b32 v32, v1 offset:16
.LBB28_8:                               ;   in Loop: Header=BB28_4 Depth=2
	s_or_b64 exec, exec, s[34:35]
	v_lshrrev_b32_e32 v1, v26, v25
	v_lshlrev_b32_sdwa v2, v23, v1 dst_sel:DWORD dst_unused:UNUSED_PAD src0_sel:DWORD src1_sel:BYTE_0
	v_add_u32_e32 v35, v21, v2
	v_and_b32_e32 v2, 1, v1
	v_add_co_u32_e32 v3, vcc, -1, v2
	v_addc_co_u32_e64 v4, s[34:35], 0, -1, vcc
	v_cmp_ne_u32_e32 vcc, 0, v2
	v_lshlrev_b32_e32 v6, 30, v1
	v_xor_b32_e32 v2, vcc_hi, v4
	v_xor_b32_e32 v3, vcc_lo, v3
	v_cmp_gt_i64_e32 vcc, 0, v[5:6]
	v_not_b32_e32 v4, v6
	v_ashrrev_i32_e32 v4, 31, v4
	v_and_b32_e32 v2, exec_hi, v2
	v_xor_b32_e32 v6, vcc_hi, v4
	v_and_b32_e32 v3, exec_lo, v3
	v_xor_b32_e32 v4, vcc_lo, v4
	v_and_b32_e32 v2, v2, v6
	v_lshlrev_b32_e32 v6, 29, v1
	v_and_b32_e32 v3, v3, v4
	v_cmp_gt_i64_e32 vcc, 0, v[5:6]
	v_not_b32_e32 v4, v6
	v_ashrrev_i32_e32 v4, 31, v4
	v_xor_b32_e32 v6, vcc_hi, v4
	v_xor_b32_e32 v4, vcc_lo, v4
	v_and_b32_e32 v2, v2, v6
	v_lshlrev_b32_e32 v6, 28, v1
	v_and_b32_e32 v3, v3, v4
	v_cmp_gt_i64_e32 vcc, 0, v[5:6]
	v_not_b32_e32 v4, v6
	v_ashrrev_i32_e32 v4, 31, v4
	v_xor_b32_e32 v6, vcc_hi, v4
	;; [unrolled: 8-line block ×5, first 2 shown]
	v_and_b32_e32 v2, v2, v6
	v_lshlrev_b32_e32 v6, 24, v1
	v_xor_b32_e32 v4, vcc_lo, v4
	v_cmp_gt_i64_e32 vcc, 0, v[5:6]
	v_not_b32_e32 v1, v6
	v_ashrrev_i32_e32 v1, 31, v1
	v_and_b32_e32 v3, v3, v4
	v_xor_b32_e32 v4, vcc_hi, v1
	v_xor_b32_e32 v1, vcc_lo, v1
	; wave barrier
	ds_read_b32 v34, v35 offset:16
	v_and_b32_e32 v1, v3, v1
	v_and_b32_e32 v2, v2, v4
	v_mbcnt_lo_u32_b32 v3, v1, 0
	v_mbcnt_hi_u32_b32 v36, v2, v3
	v_cmp_ne_u64_e32 vcc, 0, v[1:2]
	v_cmp_eq_u32_e64 s[34:35], 0, v36
	s_and_b64 s[36:37], vcc, s[34:35]
	; wave barrier
	s_and_saveexec_b64 s[34:35], s[36:37]
	s_cbranch_execz .LBB28_10
; %bb.9:                                ;   in Loop: Header=BB28_4 Depth=2
	v_bcnt_u32_b32 v1, v1, 0
	v_bcnt_u32_b32 v1, v2, v1
	s_waitcnt lgkmcnt(0)
	v_add_u32_e32 v1, v34, v1
	ds_write_b32 v35, v1 offset:16
.LBB28_10:                              ;   in Loop: Header=BB28_4 Depth=2
	s_or_b64 exec, exec, s[34:35]
	v_lshrrev_b32_e32 v1, v26, v24
	v_lshlrev_b32_sdwa v2, v23, v1 dst_sel:DWORD dst_unused:UNUSED_PAD src0_sel:DWORD src1_sel:BYTE_0
	v_add_u32_e32 v38, v21, v2
	v_and_b32_e32 v2, 1, v1
	v_add_co_u32_e32 v3, vcc, -1, v2
	v_addc_co_u32_e64 v4, s[34:35], 0, -1, vcc
	v_cmp_ne_u32_e32 vcc, 0, v2
	v_lshlrev_b32_e32 v6, 30, v1
	v_xor_b32_e32 v2, vcc_hi, v4
	v_xor_b32_e32 v3, vcc_lo, v3
	v_cmp_gt_i64_e32 vcc, 0, v[5:6]
	v_not_b32_e32 v4, v6
	v_ashrrev_i32_e32 v4, 31, v4
	v_and_b32_e32 v2, exec_hi, v2
	v_xor_b32_e32 v6, vcc_hi, v4
	v_and_b32_e32 v3, exec_lo, v3
	v_xor_b32_e32 v4, vcc_lo, v4
	v_and_b32_e32 v2, v2, v6
	v_lshlrev_b32_e32 v6, 29, v1
	v_and_b32_e32 v3, v3, v4
	v_cmp_gt_i64_e32 vcc, 0, v[5:6]
	v_not_b32_e32 v4, v6
	v_ashrrev_i32_e32 v4, 31, v4
	v_xor_b32_e32 v6, vcc_hi, v4
	v_xor_b32_e32 v4, vcc_lo, v4
	v_and_b32_e32 v2, v2, v6
	v_lshlrev_b32_e32 v6, 28, v1
	v_and_b32_e32 v3, v3, v4
	v_cmp_gt_i64_e32 vcc, 0, v[5:6]
	v_not_b32_e32 v4, v6
	v_ashrrev_i32_e32 v4, 31, v4
	v_xor_b32_e32 v6, vcc_hi, v4
	;; [unrolled: 8-line block ×5, first 2 shown]
	v_and_b32_e32 v2, v2, v6
	v_lshlrev_b32_e32 v6, 24, v1
	v_xor_b32_e32 v4, vcc_lo, v4
	v_cmp_gt_i64_e32 vcc, 0, v[5:6]
	v_not_b32_e32 v1, v6
	v_ashrrev_i32_e32 v1, 31, v1
	v_and_b32_e32 v3, v3, v4
	v_xor_b32_e32 v4, vcc_hi, v1
	v_xor_b32_e32 v1, vcc_lo, v1
	; wave barrier
	ds_read_b32 v37, v38 offset:16
	v_and_b32_e32 v1, v3, v1
	v_and_b32_e32 v2, v2, v4
	v_mbcnt_lo_u32_b32 v3, v1, 0
	v_mbcnt_hi_u32_b32 v6, v2, v3
	v_cmp_ne_u64_e32 vcc, 0, v[1:2]
	v_cmp_eq_u32_e64 s[34:35], 0, v6
	s_and_b64 s[36:37], vcc, s[34:35]
	; wave barrier
	s_and_saveexec_b64 s[34:35], s[36:37]
	s_cbranch_execz .LBB28_12
; %bb.11:                               ;   in Loop: Header=BB28_4 Depth=2
	v_bcnt_u32_b32 v1, v1, 0
	v_bcnt_u32_b32 v1, v2, v1
	s_waitcnt lgkmcnt(0)
	v_add_u32_e32 v1, v37, v1
	ds_write_b32 v38, v1 offset:16
.LBB28_12:                              ;   in Loop: Header=BB28_4 Depth=2
	s_or_b64 exec, exec, s[34:35]
	; wave barrier
	s_waitcnt lgkmcnt(0)
	s_barrier
	ds_read2_b64 v[1:4], v15 offset0:2 offset1:3
	s_waitcnt lgkmcnt(0)
	v_add_u32_e32 v39, v2, v1
	v_add3_u32 v4, v39, v3, v4
	s_nop 1
	v_mov_b32_dpp v39, v4 row_shr:1 row_mask:0xf bank_mask:0xf
	v_cndmask_b32_e64 v39, v39, 0, s[8:9]
	v_add_u32_e32 v4, v39, v4
	s_nop 1
	v_mov_b32_dpp v39, v4 row_shr:2 row_mask:0xf bank_mask:0xf
	v_cndmask_b32_e64 v39, 0, v39, s[10:11]
	v_add_u32_e32 v4, v4, v39
	;; [unrolled: 4-line block ×4, first 2 shown]
	s_nop 1
	v_mov_b32_dpp v39, v4 row_bcast:15 row_mask:0xf bank_mask:0xf
	v_cndmask_b32_e64 v39, v39, 0, s[16:17]
	v_add_u32_e32 v4, v4, v39
	s_nop 1
	v_mov_b32_dpp v39, v4 row_bcast:31 row_mask:0xf bank_mask:0xf
	v_cndmask_b32_e64 v39, 0, v39, s[18:19]
	v_add_u32_e32 v4, v4, v39
	s_and_saveexec_b64 s[34:35], s[20:21]
; %bb.13:                               ;   in Loop: Header=BB28_4 Depth=2
	ds_write_b32 v17, v4
; %bb.14:                               ;   in Loop: Header=BB28_4 Depth=2
	s_or_b64 exec, exec, s[34:35]
	s_waitcnt lgkmcnt(0)
	s_barrier
	s_and_saveexec_b64 s[34:35], s[22:23]
	s_cbranch_execz .LBB28_16
; %bb.15:                               ;   in Loop: Header=BB28_4 Depth=2
	ds_read_b32 v39, v18
	s_waitcnt lgkmcnt(0)
	s_nop 0
	v_mov_b32_dpp v40, v39 row_shr:1 row_mask:0xf bank_mask:0xf
	v_cndmask_b32_e64 v40, v40, 0, s[6:7]
	v_add_u32_e32 v39, v40, v39
	s_nop 1
	v_mov_b32_dpp v40, v39 row_shr:2 row_mask:0xf bank_mask:0xf
	v_cndmask_b32_e64 v40, 0, v40, s[30:31]
	v_add_u32_e32 v39, v39, v40
	ds_write_b32 v18, v39
.LBB28_16:                              ;   in Loop: Header=BB28_4 Depth=2
	s_or_b64 exec, exec, s[34:35]
	v_mov_b32_e32 v39, 0
	s_waitcnt lgkmcnt(0)
	s_barrier
	s_and_saveexec_b64 s[34:35], s[24:25]
; %bb.17:                               ;   in Loop: Header=BB28_4 Depth=2
	ds_read_b32 v39, v20
; %bb.18:                               ;   in Loop: Header=BB28_4 Depth=2
	s_or_b64 exec, exec, s[34:35]
	s_waitcnt lgkmcnt(0)
	v_add_u32_e32 v4, v39, v4
	ds_bpermute_b32 v4, v16, v4
	v_cmp_lt_u32_e32 vcc, 23, v26
	s_and_b64 vcc, exec, vcc
	s_mov_b64 s[34:35], -1
	s_waitcnt lgkmcnt(0)
	v_cndmask_b32_e64 v4, v4, v39, s[26:27]
	v_cndmask_b32_e64 v39, v4, 0, s[28:29]
	v_add_u32_e32 v40, v39, v1
	v_add_u32_e32 v1, v40, v2
	;; [unrolled: 1-line block ×3, first 2 shown]
	ds_write2_b64 v15, v[39:40], v[1:2] offset0:2 offset1:3
	s_waitcnt lgkmcnt(0)
	s_barrier
	ds_read_b32 v1, v30 offset:16
	ds_read_b32 v2, v32 offset:16
	;; [unrolled: 1-line block ×4, first 2 shown]
	s_waitcnt lgkmcnt(3)
	v_add_u32_e32 v32, v1, v29
	s_waitcnt lgkmcnt(2)
	v_add3_u32 v30, v33, v31, v2
	s_waitcnt lgkmcnt(1)
	v_add3_u32 v29, v36, v34, v3
	;; [unrolled: 2-line block ×3, first 2 shown]
                                        ; implicit-def: $vgpr4
                                        ; implicit-def: $vgpr2
	s_cbranch_vccnz .LBB28_3
; %bb.19:                               ;   in Loop: Header=BB28_4 Depth=2
	v_lshlrev_b32_e32 v1, 2, v32
	s_barrier
	ds_write_b32 v1, v28
	v_lshlrev_b32_e32 v1, 2, v30
	ds_write_b32 v1, v27
	v_lshlrev_b32_e32 v1, 2, v29
	;; [unrolled: 2-line block ×3, first 2 shown]
	ds_write_b32 v1, v24
	s_waitcnt lgkmcnt(0)
	s_barrier
	ds_read2st64_b32 v[1:2], v19 offset1:1
	ds_read2st64_b32 v[3:4], v19 offset0:2 offset1:3
	v_add_u32_e32 v26, 8, v26
	s_mov_b64 s[34:35], 0
	s_waitcnt lgkmcnt(0)
	s_barrier
	s_branch .LBB28_3
.LBB28_20:
	s_add_u32 s0, s38, s42
	s_addc_u32 s1, s39, s43
	v_lshlrev_b32_e32 v0, 2, v0
	global_store_dword v0, v24, s[0:1]
	global_store_dword v0, v3, s[0:1] offset:1024
	global_store_dword v0, v4, s[0:1] offset:2048
	;; [unrolled: 1-line block ×3, first 2 shown]
	s_endpgm
	.section	.rodata,"a",@progbits
	.p2align	6, 0x0
	.amdhsa_kernel _Z16sort_keys_kernelI22helper_blocked_blockediLj256ELj4ELj10EEvPKT0_PS1_
		.amdhsa_group_segment_fixed_size 4112
		.amdhsa_private_segment_fixed_size 0
		.amdhsa_kernarg_size 272
		.amdhsa_user_sgpr_count 6
		.amdhsa_user_sgpr_private_segment_buffer 1
		.amdhsa_user_sgpr_dispatch_ptr 0
		.amdhsa_user_sgpr_queue_ptr 0
		.amdhsa_user_sgpr_kernarg_segment_ptr 1
		.amdhsa_user_sgpr_dispatch_id 0
		.amdhsa_user_sgpr_flat_scratch_init 0
		.amdhsa_user_sgpr_private_segment_size 0
		.amdhsa_uses_dynamic_stack 0
		.amdhsa_system_sgpr_private_segment_wavefront_offset 0
		.amdhsa_system_sgpr_workgroup_id_x 1
		.amdhsa_system_sgpr_workgroup_id_y 0
		.amdhsa_system_sgpr_workgroup_id_z 0
		.amdhsa_system_sgpr_workgroup_info 0
		.amdhsa_system_vgpr_workitem_id 2
		.amdhsa_next_free_vgpr 41
		.amdhsa_next_free_sgpr 44
		.amdhsa_reserve_vcc 1
		.amdhsa_reserve_flat_scratch 0
		.amdhsa_float_round_mode_32 0
		.amdhsa_float_round_mode_16_64 0
		.amdhsa_float_denorm_mode_32 3
		.amdhsa_float_denorm_mode_16_64 3
		.amdhsa_dx10_clamp 1
		.amdhsa_ieee_mode 1
		.amdhsa_fp16_overflow 0
		.amdhsa_exception_fp_ieee_invalid_op 0
		.amdhsa_exception_fp_denorm_src 0
		.amdhsa_exception_fp_ieee_div_zero 0
		.amdhsa_exception_fp_ieee_overflow 0
		.amdhsa_exception_fp_ieee_underflow 0
		.amdhsa_exception_fp_ieee_inexact 0
		.amdhsa_exception_int_div_zero 0
	.end_amdhsa_kernel
	.section	.text._Z16sort_keys_kernelI22helper_blocked_blockediLj256ELj4ELj10EEvPKT0_PS1_,"axG",@progbits,_Z16sort_keys_kernelI22helper_blocked_blockediLj256ELj4ELj10EEvPKT0_PS1_,comdat
.Lfunc_end28:
	.size	_Z16sort_keys_kernelI22helper_blocked_blockediLj256ELj4ELj10EEvPKT0_PS1_, .Lfunc_end28-_Z16sort_keys_kernelI22helper_blocked_blockediLj256ELj4ELj10EEvPKT0_PS1_
                                        ; -- End function
	.set _Z16sort_keys_kernelI22helper_blocked_blockediLj256ELj4ELj10EEvPKT0_PS1_.num_vgpr, 41
	.set _Z16sort_keys_kernelI22helper_blocked_blockediLj256ELj4ELj10EEvPKT0_PS1_.num_agpr, 0
	.set _Z16sort_keys_kernelI22helper_blocked_blockediLj256ELj4ELj10EEvPKT0_PS1_.numbered_sgpr, 44
	.set _Z16sort_keys_kernelI22helper_blocked_blockediLj256ELj4ELj10EEvPKT0_PS1_.num_named_barrier, 0
	.set _Z16sort_keys_kernelI22helper_blocked_blockediLj256ELj4ELj10EEvPKT0_PS1_.private_seg_size, 0
	.set _Z16sort_keys_kernelI22helper_blocked_blockediLj256ELj4ELj10EEvPKT0_PS1_.uses_vcc, 1
	.set _Z16sort_keys_kernelI22helper_blocked_blockediLj256ELj4ELj10EEvPKT0_PS1_.uses_flat_scratch, 0
	.set _Z16sort_keys_kernelI22helper_blocked_blockediLj256ELj4ELj10EEvPKT0_PS1_.has_dyn_sized_stack, 0
	.set _Z16sort_keys_kernelI22helper_blocked_blockediLj256ELj4ELj10EEvPKT0_PS1_.has_recursion, 0
	.set _Z16sort_keys_kernelI22helper_blocked_blockediLj256ELj4ELj10EEvPKT0_PS1_.has_indirect_call, 0
	.section	.AMDGPU.csdata,"",@progbits
; Kernel info:
; codeLenInByte = 2984
; TotalNumSgprs: 48
; NumVgprs: 41
; ScratchSize: 0
; MemoryBound: 0
; FloatMode: 240
; IeeeMode: 1
; LDSByteSize: 4112 bytes/workgroup (compile time only)
; SGPRBlocks: 5
; VGPRBlocks: 10
; NumSGPRsForWavesPerEU: 48
; NumVGPRsForWavesPerEU: 41
; Occupancy: 5
; WaveLimiterHint : 1
; COMPUTE_PGM_RSRC2:SCRATCH_EN: 0
; COMPUTE_PGM_RSRC2:USER_SGPR: 6
; COMPUTE_PGM_RSRC2:TRAP_HANDLER: 0
; COMPUTE_PGM_RSRC2:TGID_X_EN: 1
; COMPUTE_PGM_RSRC2:TGID_Y_EN: 0
; COMPUTE_PGM_RSRC2:TGID_Z_EN: 0
; COMPUTE_PGM_RSRC2:TIDIG_COMP_CNT: 2
	.section	.text._Z17sort_pairs_kernelI22helper_blocked_blockediLj256ELj4ELj10EEvPKT0_PS1_,"axG",@progbits,_Z17sort_pairs_kernelI22helper_blocked_blockediLj256ELj4ELj10EEvPKT0_PS1_,comdat
	.protected	_Z17sort_pairs_kernelI22helper_blocked_blockediLj256ELj4ELj10EEvPKT0_PS1_ ; -- Begin function _Z17sort_pairs_kernelI22helper_blocked_blockediLj256ELj4ELj10EEvPKT0_PS1_
	.globl	_Z17sort_pairs_kernelI22helper_blocked_blockediLj256ELj4ELj10EEvPKT0_PS1_
	.p2align	8
	.type	_Z17sort_pairs_kernelI22helper_blocked_blockediLj256ELj4ELj10EEvPKT0_PS1_,@function
_Z17sort_pairs_kernelI22helper_blocked_blockediLj256ELj4ELj10EEvPKT0_PS1_: ; @_Z17sort_pairs_kernelI22helper_blocked_blockediLj256ELj4ELj10EEvPKT0_PS1_
; %bb.0:
	s_load_dwordx4 s[36:39], s[4:5], 0x0
	s_load_dword s33, s[4:5], 0x1c
	s_lshl_b32 s42, s6, 10
	s_mov_b32 s43, 0
	s_lshl_b64 s[40:41], s[42:43], 2
	s_waitcnt lgkmcnt(0)
	s_add_u32 s0, s36, s40
	s_addc_u32 s1, s37, s41
	v_lshlrev_b32_e32 v3, 2, v0
	global_load_dword v12, v3, s[0:1]
	global_load_dword v13, v3, s[0:1] offset:1024
	global_load_dword v6, v3, s[0:1] offset:2048
	;; [unrolled: 1-line block ×3, first 2 shown]
	s_lshr_b32 s36, s33, 16
	s_and_b32 s33, s33, 0xffff
	v_mad_u32_u24 v1, v2, s36, v1
	v_mbcnt_lo_u32_b32 v3, -1, 0
	v_mad_u64_u32 v[1:2], s[36:37], v1, s33, v[0:1]
	v_mbcnt_hi_u32_b32 v3, -1, v3
	v_or_b32_e32 v4, 63, v0
	v_lshlrev_b32_e32 v18, 4, v0
	v_lshrrev_b32_e32 v7, 4, v0
	v_lshrrev_b32_e32 v9, 2, v3
	v_and_b32_e32 v14, 64, v3
	v_and_b32_e32 v15, 15, v3
	v_cmp_eq_u32_e64 s[8:9], v0, v4
	v_subrev_co_u32_e64 v4, s[10:11], 1, v3
	v_mul_u32_u24_e32 v8, 12, v0
	s_mov_b32 s34, s43
	v_and_b32_e32 v10, 3, v3
	v_and_b32_e32 v19, 12, v7
	v_mad_i32_i24 v20, v0, -12, v18
	v_and_b32_e32 v7, 0xc00, v18
	s_mov_b32 s42, s43
	v_cmp_eq_u32_e64 s[12:13], 0, v15
	v_cmp_lt_u32_e64 s[14:15], 1, v15
	v_cmp_lt_u32_e64 s[16:17], 3, v15
	;; [unrolled: 1-line block ×3, first 2 shown]
	v_or_b32_e32 v15, v9, v14
	v_add_u32_e32 v9, 48, v9
	v_cmp_lt_i32_e32 vcc, v4, v14
	s_mov_b32 s35, s43
	v_and_b32_e32 v16, 16, v3
	v_cmp_lt_u32_e64 s[6:7], 31, v3
	v_cmp_eq_u32_e64 s[20:21], 3, v10
	v_cmp_eq_u32_e64 s[22:23], 2, v10
	;; [unrolled: 1-line block ×4, first 2 shown]
	v_cndmask_b32_e32 v4, v4, v3, vcc
	v_cmp_lt_u32_e64 s[30:31], 1, v10
	v_lshl_or_b32 v21, v3, 2, v7
	v_add_u32_e32 v22, v20, v8
	v_mov_b32_e32 v7, s42
	v_lshlrev_b32_e32 v24, 2, v15
	v_and_or_b32 v3, v9, 63, v14
	v_lshrrev_b32_e32 v1, 4, v1
	v_mov_b32_e32 v9, s34
	v_mov_b32_e32 v17, 4
	;; [unrolled: 1-line block ×3, first 2 shown]
	v_cmp_gt_u32_e64 s[0:1], 4, v0
	v_cmp_lt_u32_e64 s[2:3], 63, v0
	v_cmp_eq_u32_e64 s[4:5], 0, v0
	v_cmp_eq_u32_e64 s[28:29], 0, v16
	v_add_u32_e32 v23, -4, v19
	v_mov_b32_e32 v8, s43
	v_lshlrev_b32_e32 v25, 2, v4
	v_lshlrev_b32_e32 v26, 2, v3
	v_add_u32_e32 v27, 64, v24
	v_or_b32_e32 v28, 0x80, v24
	v_and_b32_e32 v29, 0xffffffc, v1
	v_mov_b32_e32 v10, s35
	s_waitcnt vmcnt(3)
	v_add_u32_e32 v1, 1, v12
	s_waitcnt vmcnt(2)
	v_add_u32_e32 v2, 1, v13
	;; [unrolled: 2-line block ×4, first 2 shown]
	s_branch .LBB29_2
.LBB29_1:                               ;   in Loop: Header=BB29_2 Depth=1
	v_lshlrev_b32_e32 v1, 2, v42
	v_lshlrev_b32_e32 v2, 2, v39
	;; [unrolled: 1-line block ×4, first 2 shown]
	s_barrier
	ds_write_b32 v1, v38
	ds_write_b32 v2, v37
	;; [unrolled: 1-line block ×4, first 2 shown]
	s_waitcnt lgkmcnt(0)
	s_barrier
	ds_read2_b64 v[12:15], v22 offset1:1
	s_waitcnt lgkmcnt(0)
	s_barrier
	ds_write_b32 v1, v33
	ds_write_b32 v2, v32
	;; [unrolled: 1-line block ×4, first 2 shown]
	s_waitcnt lgkmcnt(0)
	s_barrier
	ds_read2_b64 v[1:4], v22 offset1:1
	s_add_i32 s43, s43, 1
	v_xor_b32_e32 v12, 0x80000000, v12
	v_xor_b32_e32 v13, 0x80000000, v13
	;; [unrolled: 1-line block ×3, first 2 shown]
	s_cmp_eq_u32 s43, 10
	v_xor_b32_e32 v11, 0x80000000, v15
	s_cbranch_scc1 .LBB29_20
.LBB29_2:                               ; =>This Loop Header: Depth=1
                                        ;     Child Loop BB29_4 Depth 2
	v_xor_b32_e32 v14, 0x80000000, v12
	v_xor_b32_e32 v15, 0x80000000, v13
	ds_bpermute_b32 v12, v24, v14
	ds_bpermute_b32 v13, v24, v15
	v_xor_b32_e32 v6, 0x80000000, v6
	v_xor_b32_e32 v16, 0x80000000, v11
	ds_bpermute_b32 v30, v27, v14
	s_waitcnt lgkmcnt(2)
	v_cndmask_b32_e64 v11, 0, v12, s[26:27]
	ds_bpermute_b32 v12, v24, v6
	s_waitcnt lgkmcnt(2)
	v_cndmask_b32_e64 v11, v11, v13, s[24:25]
	ds_bpermute_b32 v13, v24, v16
	ds_bpermute_b32 v31, v27, v15
	;; [unrolled: 1-line block ×3, first 2 shown]
	s_waitcnt lgkmcnt(3)
	v_cndmask_b32_e64 v11, v11, v12, s[22:23]
	v_cndmask_b32_e64 v12, 0, v30, s[26:27]
	s_waitcnt lgkmcnt(2)
	v_cndmask_b32_e64 v11, v11, v13, s[20:21]
	ds_bpermute_b32 v13, v27, v16
	ds_bpermute_b32 v30, v28, v14
	;; [unrolled: 1-line block ×3, first 2 shown]
	s_waitcnt lgkmcnt(4)
	v_cndmask_b32_e64 v12, v12, v31, s[24:25]
	ds_bpermute_b32 v31, v28, v15
	ds_bpermute_b32 v15, v26, v15
	s_waitcnt lgkmcnt(5)
	v_cndmask_b32_e64 v12, v12, v32, s[22:23]
	ds_bpermute_b32 v32, v28, v6
	ds_bpermute_b32 v6, v26, v6
	;; [unrolled: 1-line block ×4, first 2 shown]
	s_waitcnt lgkmcnt(8)
	v_cndmask_b32_e64 v12, v12, v13, s[20:21]
	s_waitcnt lgkmcnt(7)
	v_cndmask_b32_e64 v13, 0, v30, s[26:27]
	ds_bpermute_b32 v30, v24, v1
	s_waitcnt lgkmcnt(7)
	v_cndmask_b32_e64 v14, 0, v14, s[26:27]
	s_waitcnt lgkmcnt(5)
	v_cndmask_b32_e64 v14, v14, v15, s[24:25]
	;; [unrolled: 2-line block ×3, first 2 shown]
	ds_bpermute_b32 v15, v24, v2
	s_waitcnt lgkmcnt(2)
	v_cndmask_b32_e64 v14, v6, v16, s[20:21]
	ds_bpermute_b32 v16, v24, v3
	v_cndmask_b32_e64 v13, v13, v31, s[24:25]
	s_waitcnt lgkmcnt(2)
	v_cndmask_b32_e64 v6, 0, v30, s[26:27]
	ds_bpermute_b32 v30, v24, v4
	ds_bpermute_b32 v31, v27, v1
	v_cndmask_b32_e64 v13, v13, v32, s[22:23]
	ds_bpermute_b32 v32, v27, v2
	s_waitcnt lgkmcnt(4)
	v_cndmask_b32_e64 v6, v6, v15, s[24:25]
	s_waitcnt lgkmcnt(3)
	v_cndmask_b32_e64 v6, v6, v16, s[22:23]
	ds_bpermute_b32 v16, v27, v3
	s_waitcnt lgkmcnt(3)
	v_cndmask_b32_e64 v15, v6, v30, s[20:21]
	s_waitcnt lgkmcnt(2)
	v_cndmask_b32_e64 v6, 0, v31, s[26:27]
	ds_bpermute_b32 v30, v27, v4
	ds_bpermute_b32 v31, v28, v1
	s_waitcnt lgkmcnt(3)
	v_cndmask_b32_e64 v6, v6, v32, s[24:25]
	ds_bpermute_b32 v32, v28, v2
	v_cndmask_b32_e64 v13, v13, v33, s[20:21]
	ds_bpermute_b32 v33, v28, v3
	s_waitcnt lgkmcnt(4)
	v_cndmask_b32_e64 v6, v6, v16, s[22:23]
	s_waitcnt lgkmcnt(3)
	v_cndmask_b32_e64 v16, v6, v30, s[20:21]
	;; [unrolled: 2-line block ×3, first 2 shown]
	ds_bpermute_b32 v30, v28, v4
	ds_bpermute_b32 v31, v26, v1
	;; [unrolled: 1-line block ×4, first 2 shown]
	s_waitcnt lgkmcnt(5)
	v_cndmask_b32_e64 v6, v6, v32, s[24:25]
	ds_bpermute_b32 v4, v26, v4
	s_waitcnt lgkmcnt(5)
	v_cndmask_b32_e64 v6, v6, v33, s[22:23]
	s_waitcnt lgkmcnt(4)
	v_cndmask_b32_e64 v1, v6, v30, s[20:21]
	s_waitcnt lgkmcnt(3)
	v_cndmask_b32_e64 v6, 0, v31, s[26:27]
	s_waitcnt lgkmcnt(2)
	v_cndmask_b32_e64 v2, v6, v2, s[24:25]
	s_waitcnt lgkmcnt(1)
	v_cndmask_b32_e64 v2, v2, v3, s[22:23]
	s_waitcnt lgkmcnt(0)
	v_cndmask_b32_e64 v2, v2, v4, s[20:21]
	v_mov_b32_e32 v35, v5
	s_barrier
	s_branch .LBB29_4
.LBB29_3:                               ;   in Loop: Header=BB29_4 Depth=2
	s_andn2_b64 vcc, exec, s[34:35]
	s_cbranch_vccz .LBB29_1
.LBB29_4:                               ;   Parent Loop BB29_2 Depth=1
                                        ; =>  This Inner Loop Header: Depth=2
	v_mov_b32_e32 v38, v11
	v_mov_b32_e32 v31, v1
	v_lshrrev_b32_e32 v1, v35, v38
	v_mov_b32_e32 v30, v2
	v_and_b32_e32 v2, 1, v1
	v_add_co_u32_e32 v4, vcc, -1, v2
	v_addc_co_u32_e64 v6, s[34:35], 0, -1, vcc
	v_cmp_ne_u32_e32 vcc, 0, v2
	v_xor_b32_e32 v2, vcc_hi, v6
	v_lshlrev_b32_e32 v6, 30, v1
	v_xor_b32_e32 v4, vcc_lo, v4
	v_cmp_gt_i64_e32 vcc, 0, v[5:6]
	v_not_b32_e32 v6, v6
	v_ashrrev_i32_e32 v6, 31, v6
	v_and_b32_e32 v4, exec_lo, v4
	v_xor_b32_e32 v11, vcc_hi, v6
	v_xor_b32_e32 v6, vcc_lo, v6
	v_and_b32_e32 v4, v4, v6
	v_lshlrev_b32_e32 v6, 29, v1
	v_cmp_gt_i64_e32 vcc, 0, v[5:6]
	v_not_b32_e32 v6, v6
	v_and_b32_e32 v2, exec_hi, v2
	v_ashrrev_i32_e32 v6, 31, v6
	v_and_b32_e32 v2, v2, v11
	v_xor_b32_e32 v11, vcc_hi, v6
	v_xor_b32_e32 v6, vcc_lo, v6
	v_and_b32_e32 v4, v4, v6
	v_lshlrev_b32_e32 v6, 28, v1
	v_cmp_gt_i64_e32 vcc, 0, v[5:6]
	v_not_b32_e32 v6, v6
	v_ashrrev_i32_e32 v6, 31, v6
	v_and_b32_e32 v2, v2, v11
	v_xor_b32_e32 v11, vcc_hi, v6
	v_xor_b32_e32 v6, vcc_lo, v6
	v_and_b32_e32 v4, v4, v6
	v_lshlrev_b32_e32 v6, 27, v1
	v_cmp_gt_i64_e32 vcc, 0, v[5:6]
	v_not_b32_e32 v6, v6
	v_ashrrev_i32_e32 v6, 31, v6
	v_and_b32_e32 v2, v2, v11
	v_xor_b32_e32 v11, vcc_hi, v6
	v_xor_b32_e32 v6, vcc_lo, v6
	v_and_b32_e32 v4, v4, v6
	v_lshlrev_b32_e32 v6, 26, v1
	v_cmp_gt_i64_e32 vcc, 0, v[5:6]
	v_not_b32_e32 v6, v6
	v_ashrrev_i32_e32 v6, 31, v6
	v_and_b32_e32 v2, v2, v11
	v_xor_b32_e32 v11, vcc_hi, v6
	v_xor_b32_e32 v6, vcc_lo, v6
	v_and_b32_e32 v4, v4, v6
	v_lshlrev_b32_e32 v6, 25, v1
	v_cmp_gt_i64_e32 vcc, 0, v[5:6]
	v_not_b32_e32 v6, v6
	v_ashrrev_i32_e32 v6, 31, v6
	v_and_b32_e32 v2, v2, v11
	v_xor_b32_e32 v11, vcc_hi, v6
	v_xor_b32_e32 v6, vcc_lo, v6
	v_and_b32_e32 v4, v4, v6
	v_lshlrev_b32_e32 v6, 24, v1
	v_lshlrev_b32_sdwa v3, v17, v1 dst_sel:DWORD dst_unused:UNUSED_PAD src0_sel:DWORD src1_sel:BYTE_0
	v_cmp_gt_i64_e32 vcc, 0, v[5:6]
	v_not_b32_e32 v1, v6
	v_ashrrev_i32_e32 v1, 31, v1
	v_xor_b32_e32 v6, vcc_hi, v1
	v_xor_b32_e32 v1, vcc_lo, v1
	v_and_b32_e32 v2, v2, v11
	v_and_b32_e32 v1, v4, v1
	;; [unrolled: 1-line block ×3, first 2 shown]
	v_mbcnt_lo_u32_b32 v4, v1, 0
	v_mbcnt_hi_u32_b32 v11, v2, v4
	v_cmp_ne_u64_e32 vcc, 0, v[1:2]
	v_cmp_eq_u32_e64 s[34:35], 0, v11
	v_mov_b32_e32 v34, v14
	v_mov_b32_e32 v36, v13
	;; [unrolled: 1-line block ×5, first 2 shown]
	s_and_b64 s[36:37], vcc, s[34:35]
	v_add_u32_e32 v12, v29, v3
	ds_write2_b64 v18, v[7:8], v[9:10] offset0:2 offset1:3
	s_waitcnt lgkmcnt(0)
	s_barrier
	; wave barrier
	s_and_saveexec_b64 s[34:35], s[36:37]
; %bb.5:                                ;   in Loop: Header=BB29_4 Depth=2
	v_bcnt_u32_b32 v1, v1, 0
	v_bcnt_u32_b32 v1, v2, v1
	ds_write_b32 v12, v1 offset:16
; %bb.6:                                ;   in Loop: Header=BB29_4 Depth=2
	s_or_b64 exec, exec, s[34:35]
	v_lshrrev_b32_e32 v1, v35, v37
	v_lshlrev_b32_sdwa v2, v17, v1 dst_sel:DWORD dst_unused:UNUSED_PAD src0_sel:DWORD src1_sel:BYTE_0
	v_add_u32_e32 v14, v29, v2
	v_and_b32_e32 v2, 1, v1
	v_add_co_u32_e32 v3, vcc, -1, v2
	v_addc_co_u32_e64 v4, s[34:35], 0, -1, vcc
	v_cmp_ne_u32_e32 vcc, 0, v2
	v_lshlrev_b32_e32 v6, 30, v1
	v_xor_b32_e32 v2, vcc_hi, v4
	v_xor_b32_e32 v3, vcc_lo, v3
	v_cmp_gt_i64_e32 vcc, 0, v[5:6]
	v_not_b32_e32 v4, v6
	v_ashrrev_i32_e32 v4, 31, v4
	v_and_b32_e32 v2, exec_hi, v2
	v_xor_b32_e32 v6, vcc_hi, v4
	v_and_b32_e32 v3, exec_lo, v3
	v_xor_b32_e32 v4, vcc_lo, v4
	v_and_b32_e32 v2, v2, v6
	v_lshlrev_b32_e32 v6, 29, v1
	v_and_b32_e32 v3, v3, v4
	v_cmp_gt_i64_e32 vcc, 0, v[5:6]
	v_not_b32_e32 v4, v6
	v_ashrrev_i32_e32 v4, 31, v4
	v_xor_b32_e32 v6, vcc_hi, v4
	v_xor_b32_e32 v4, vcc_lo, v4
	v_and_b32_e32 v2, v2, v6
	v_lshlrev_b32_e32 v6, 28, v1
	v_and_b32_e32 v3, v3, v4
	v_cmp_gt_i64_e32 vcc, 0, v[5:6]
	v_not_b32_e32 v4, v6
	v_ashrrev_i32_e32 v4, 31, v4
	v_xor_b32_e32 v6, vcc_hi, v4
	;; [unrolled: 8-line block ×5, first 2 shown]
	v_and_b32_e32 v2, v2, v6
	v_lshlrev_b32_e32 v6, 24, v1
	v_xor_b32_e32 v4, vcc_lo, v4
	v_cmp_gt_i64_e32 vcc, 0, v[5:6]
	v_not_b32_e32 v1, v6
	v_ashrrev_i32_e32 v1, 31, v1
	v_and_b32_e32 v3, v3, v4
	v_xor_b32_e32 v4, vcc_hi, v1
	v_xor_b32_e32 v1, vcc_lo, v1
	; wave barrier
	ds_read_b32 v13, v14 offset:16
	v_and_b32_e32 v1, v3, v1
	v_and_b32_e32 v2, v2, v4
	v_mbcnt_lo_u32_b32 v3, v1, 0
	v_mbcnt_hi_u32_b32 v15, v2, v3
	v_cmp_ne_u64_e32 vcc, 0, v[1:2]
	v_cmp_eq_u32_e64 s[34:35], 0, v15
	s_and_b64 s[36:37], vcc, s[34:35]
	; wave barrier
	s_and_saveexec_b64 s[34:35], s[36:37]
	s_cbranch_execz .LBB29_8
; %bb.7:                                ;   in Loop: Header=BB29_4 Depth=2
	v_bcnt_u32_b32 v1, v1, 0
	v_bcnt_u32_b32 v1, v2, v1
	s_waitcnt lgkmcnt(0)
	v_add_u32_e32 v1, v13, v1
	ds_write_b32 v14, v1 offset:16
.LBB29_8:                               ;   in Loop: Header=BB29_4 Depth=2
	s_or_b64 exec, exec, s[34:35]
	v_lshrrev_b32_e32 v1, v35, v36
	v_lshlrev_b32_sdwa v2, v17, v1 dst_sel:DWORD dst_unused:UNUSED_PAD src0_sel:DWORD src1_sel:BYTE_0
	v_add_u32_e32 v39, v29, v2
	v_and_b32_e32 v2, 1, v1
	v_add_co_u32_e32 v3, vcc, -1, v2
	v_addc_co_u32_e64 v4, s[34:35], 0, -1, vcc
	v_cmp_ne_u32_e32 vcc, 0, v2
	v_lshlrev_b32_e32 v6, 30, v1
	v_xor_b32_e32 v2, vcc_hi, v4
	v_xor_b32_e32 v3, vcc_lo, v3
	v_cmp_gt_i64_e32 vcc, 0, v[5:6]
	v_not_b32_e32 v4, v6
	v_ashrrev_i32_e32 v4, 31, v4
	v_and_b32_e32 v2, exec_hi, v2
	v_xor_b32_e32 v6, vcc_hi, v4
	v_and_b32_e32 v3, exec_lo, v3
	v_xor_b32_e32 v4, vcc_lo, v4
	v_and_b32_e32 v2, v2, v6
	v_lshlrev_b32_e32 v6, 29, v1
	v_and_b32_e32 v3, v3, v4
	v_cmp_gt_i64_e32 vcc, 0, v[5:6]
	v_not_b32_e32 v4, v6
	v_ashrrev_i32_e32 v4, 31, v4
	v_xor_b32_e32 v6, vcc_hi, v4
	v_xor_b32_e32 v4, vcc_lo, v4
	v_and_b32_e32 v2, v2, v6
	v_lshlrev_b32_e32 v6, 28, v1
	v_and_b32_e32 v3, v3, v4
	v_cmp_gt_i64_e32 vcc, 0, v[5:6]
	v_not_b32_e32 v4, v6
	v_ashrrev_i32_e32 v4, 31, v4
	v_xor_b32_e32 v6, vcc_hi, v4
	;; [unrolled: 8-line block ×5, first 2 shown]
	v_and_b32_e32 v2, v2, v6
	v_lshlrev_b32_e32 v6, 24, v1
	v_xor_b32_e32 v4, vcc_lo, v4
	v_cmp_gt_i64_e32 vcc, 0, v[5:6]
	v_not_b32_e32 v1, v6
	v_ashrrev_i32_e32 v1, 31, v1
	v_and_b32_e32 v3, v3, v4
	v_xor_b32_e32 v4, vcc_hi, v1
	v_xor_b32_e32 v1, vcc_lo, v1
	; wave barrier
	ds_read_b32 v16, v39 offset:16
	v_and_b32_e32 v1, v3, v1
	v_and_b32_e32 v2, v2, v4
	v_mbcnt_lo_u32_b32 v3, v1, 0
	v_mbcnt_hi_u32_b32 v40, v2, v3
	v_cmp_ne_u64_e32 vcc, 0, v[1:2]
	v_cmp_eq_u32_e64 s[34:35], 0, v40
	s_and_b64 s[36:37], vcc, s[34:35]
	; wave barrier
	s_and_saveexec_b64 s[34:35], s[36:37]
	s_cbranch_execz .LBB29_10
; %bb.9:                                ;   in Loop: Header=BB29_4 Depth=2
	v_bcnt_u32_b32 v1, v1, 0
	v_bcnt_u32_b32 v1, v2, v1
	s_waitcnt lgkmcnt(0)
	v_add_u32_e32 v1, v16, v1
	ds_write_b32 v39, v1 offset:16
.LBB29_10:                              ;   in Loop: Header=BB29_4 Depth=2
	s_or_b64 exec, exec, s[34:35]
	v_lshrrev_b32_e32 v1, v35, v34
	v_lshlrev_b32_sdwa v2, v17, v1 dst_sel:DWORD dst_unused:UNUSED_PAD src0_sel:DWORD src1_sel:BYTE_0
	v_add_u32_e32 v42, v29, v2
	v_and_b32_e32 v2, 1, v1
	v_add_co_u32_e32 v3, vcc, -1, v2
	v_addc_co_u32_e64 v4, s[34:35], 0, -1, vcc
	v_cmp_ne_u32_e32 vcc, 0, v2
	v_lshlrev_b32_e32 v6, 30, v1
	v_xor_b32_e32 v2, vcc_hi, v4
	v_xor_b32_e32 v3, vcc_lo, v3
	v_cmp_gt_i64_e32 vcc, 0, v[5:6]
	v_not_b32_e32 v4, v6
	v_ashrrev_i32_e32 v4, 31, v4
	v_and_b32_e32 v2, exec_hi, v2
	v_xor_b32_e32 v6, vcc_hi, v4
	v_and_b32_e32 v3, exec_lo, v3
	v_xor_b32_e32 v4, vcc_lo, v4
	v_and_b32_e32 v2, v2, v6
	v_lshlrev_b32_e32 v6, 29, v1
	v_and_b32_e32 v3, v3, v4
	v_cmp_gt_i64_e32 vcc, 0, v[5:6]
	v_not_b32_e32 v4, v6
	v_ashrrev_i32_e32 v4, 31, v4
	v_xor_b32_e32 v6, vcc_hi, v4
	v_xor_b32_e32 v4, vcc_lo, v4
	v_and_b32_e32 v2, v2, v6
	v_lshlrev_b32_e32 v6, 28, v1
	v_and_b32_e32 v3, v3, v4
	v_cmp_gt_i64_e32 vcc, 0, v[5:6]
	v_not_b32_e32 v4, v6
	v_ashrrev_i32_e32 v4, 31, v4
	v_xor_b32_e32 v6, vcc_hi, v4
	;; [unrolled: 8-line block ×5, first 2 shown]
	v_and_b32_e32 v2, v2, v6
	v_lshlrev_b32_e32 v6, 24, v1
	v_xor_b32_e32 v4, vcc_lo, v4
	v_cmp_gt_i64_e32 vcc, 0, v[5:6]
	v_not_b32_e32 v1, v6
	v_ashrrev_i32_e32 v1, 31, v1
	v_and_b32_e32 v3, v3, v4
	v_xor_b32_e32 v4, vcc_hi, v1
	v_xor_b32_e32 v1, vcc_lo, v1
	; wave barrier
	ds_read_b32 v41, v42 offset:16
	v_and_b32_e32 v1, v3, v1
	v_and_b32_e32 v2, v2, v4
	v_mbcnt_lo_u32_b32 v3, v1, 0
	v_mbcnt_hi_u32_b32 v6, v2, v3
	v_cmp_ne_u64_e32 vcc, 0, v[1:2]
	v_cmp_eq_u32_e64 s[34:35], 0, v6
	s_and_b64 s[36:37], vcc, s[34:35]
	; wave barrier
	s_and_saveexec_b64 s[34:35], s[36:37]
	s_cbranch_execz .LBB29_12
; %bb.11:                               ;   in Loop: Header=BB29_4 Depth=2
	v_bcnt_u32_b32 v1, v1, 0
	v_bcnt_u32_b32 v1, v2, v1
	s_waitcnt lgkmcnt(0)
	v_add_u32_e32 v1, v41, v1
	ds_write_b32 v42, v1 offset:16
.LBB29_12:                              ;   in Loop: Header=BB29_4 Depth=2
	s_or_b64 exec, exec, s[34:35]
	; wave barrier
	s_waitcnt lgkmcnt(0)
	s_barrier
	ds_read2_b64 v[1:4], v18 offset0:2 offset1:3
	s_waitcnt lgkmcnt(0)
	v_add_u32_e32 v43, v2, v1
	v_add3_u32 v4, v43, v3, v4
	s_nop 1
	v_mov_b32_dpp v43, v4 row_shr:1 row_mask:0xf bank_mask:0xf
	v_cndmask_b32_e64 v43, v43, 0, s[12:13]
	v_add_u32_e32 v4, v43, v4
	s_nop 1
	v_mov_b32_dpp v43, v4 row_shr:2 row_mask:0xf bank_mask:0xf
	v_cndmask_b32_e64 v43, 0, v43, s[14:15]
	v_add_u32_e32 v4, v4, v43
	;; [unrolled: 4-line block ×4, first 2 shown]
	s_nop 1
	v_mov_b32_dpp v43, v4 row_bcast:15 row_mask:0xf bank_mask:0xf
	v_cndmask_b32_e64 v43, v43, 0, s[28:29]
	v_add_u32_e32 v4, v4, v43
	s_nop 1
	v_mov_b32_dpp v43, v4 row_bcast:31 row_mask:0xf bank_mask:0xf
	v_cndmask_b32_e64 v43, 0, v43, s[6:7]
	v_add_u32_e32 v4, v4, v43
	s_and_saveexec_b64 s[34:35], s[8:9]
; %bb.13:                               ;   in Loop: Header=BB29_4 Depth=2
	ds_write_b32 v19, v4
; %bb.14:                               ;   in Loop: Header=BB29_4 Depth=2
	s_or_b64 exec, exec, s[34:35]
	s_waitcnt lgkmcnt(0)
	s_barrier
	s_and_saveexec_b64 s[34:35], s[0:1]
	s_cbranch_execz .LBB29_16
; %bb.15:                               ;   in Loop: Header=BB29_4 Depth=2
	ds_read_b32 v43, v20
	s_waitcnt lgkmcnt(0)
	s_nop 0
	v_mov_b32_dpp v44, v43 row_shr:1 row_mask:0xf bank_mask:0xf
	v_cndmask_b32_e64 v44, v44, 0, s[26:27]
	v_add_u32_e32 v43, v44, v43
	s_nop 1
	v_mov_b32_dpp v44, v43 row_shr:2 row_mask:0xf bank_mask:0xf
	v_cndmask_b32_e64 v44, 0, v44, s[30:31]
	v_add_u32_e32 v43, v43, v44
	ds_write_b32 v20, v43
.LBB29_16:                              ;   in Loop: Header=BB29_4 Depth=2
	s_or_b64 exec, exec, s[34:35]
	v_mov_b32_e32 v43, 0
	s_waitcnt lgkmcnt(0)
	s_barrier
	s_and_saveexec_b64 s[34:35], s[2:3]
; %bb.17:                               ;   in Loop: Header=BB29_4 Depth=2
	ds_read_b32 v43, v23
; %bb.18:                               ;   in Loop: Header=BB29_4 Depth=2
	s_or_b64 exec, exec, s[34:35]
	s_waitcnt lgkmcnt(0)
	v_add_u32_e32 v4, v43, v4
	ds_bpermute_b32 v4, v25, v4
	v_cmp_lt_u32_e32 vcc, 23, v35
	s_and_b64 vcc, exec, vcc
	s_mov_b64 s[34:35], -1
	s_waitcnt lgkmcnt(0)
	v_cndmask_b32_e64 v4, v4, v43, s[10:11]
	v_cndmask_b32_e64 v43, v4, 0, s[4:5]
	v_add_u32_e32 v44, v43, v1
	v_add_u32_e32 v1, v44, v2
	;; [unrolled: 1-line block ×3, first 2 shown]
	ds_write2_b64 v18, v[43:44], v[1:2] offset0:2 offset1:3
	s_waitcnt lgkmcnt(0)
	s_barrier
	ds_read_b32 v1, v12 offset:16
	ds_read_b32 v2, v14 offset:16
	;; [unrolled: 1-line block ×4, first 2 shown]
	s_waitcnt lgkmcnt(3)
	v_add_u32_e32 v42, v1, v11
	s_waitcnt lgkmcnt(2)
	v_add3_u32 v39, v15, v13, v2
	s_waitcnt lgkmcnt(1)
	v_add3_u32 v4, v40, v16, v3
	;; [unrolled: 2-line block ×3, first 2 shown]
                                        ; implicit-def: $vgpr14
                                        ; implicit-def: $vgpr12
                                        ; implicit-def: $vgpr2
                                        ; implicit-def: $vgpr16
	s_cbranch_vccnz .LBB29_3
; %bb.19:                               ;   in Loop: Header=BB29_4 Depth=2
	v_lshlrev_b32_e32 v1, 2, v42
	v_lshlrev_b32_e32 v2, 2, v39
	;; [unrolled: 1-line block ×4, first 2 shown]
	s_barrier
	ds_write_b32 v1, v38
	ds_write_b32 v2, v37
	;; [unrolled: 1-line block ×4, first 2 shown]
	s_waitcnt lgkmcnt(0)
	s_barrier
	ds_read2st64_b32 v[11:12], v21 offset1:1
	ds_read2st64_b32 v[13:14], v21 offset0:2 offset1:3
	s_waitcnt lgkmcnt(0)
	s_barrier
	ds_write_b32 v1, v33
	ds_write_b32 v2, v32
	;; [unrolled: 1-line block ×4, first 2 shown]
	s_waitcnt lgkmcnt(0)
	s_barrier
	ds_read2st64_b32 v[15:16], v21 offset1:1
	ds_read2st64_b32 v[1:2], v21 offset0:2 offset1:3
	v_add_u32_e32 v35, 8, v35
	s_mov_b64 s[34:35], 0
	s_waitcnt lgkmcnt(0)
	s_barrier
	s_branch .LBB29_3
.LBB29_20:
	s_add_u32 s0, s38, s40
	s_waitcnt lgkmcnt(0)
	v_add_u32_e32 v1, v12, v1
	s_addc_u32 s1, s39, s41
	v_lshlrev_b32_e32 v0, 2, v0
	v_add_u32_e32 v2, v13, v2
	v_add_u32_e32 v3, v6, v3
	;; [unrolled: 1-line block ×3, first 2 shown]
	global_store_dword v0, v1, s[0:1]
	global_store_dword v0, v2, s[0:1] offset:1024
	global_store_dword v0, v3, s[0:1] offset:2048
	;; [unrolled: 1-line block ×3, first 2 shown]
	s_endpgm
	.section	.rodata,"a",@progbits
	.p2align	6, 0x0
	.amdhsa_kernel _Z17sort_pairs_kernelI22helper_blocked_blockediLj256ELj4ELj10EEvPKT0_PS1_
		.amdhsa_group_segment_fixed_size 4112
		.amdhsa_private_segment_fixed_size 0
		.amdhsa_kernarg_size 272
		.amdhsa_user_sgpr_count 6
		.amdhsa_user_sgpr_private_segment_buffer 1
		.amdhsa_user_sgpr_dispatch_ptr 0
		.amdhsa_user_sgpr_queue_ptr 0
		.amdhsa_user_sgpr_kernarg_segment_ptr 1
		.amdhsa_user_sgpr_dispatch_id 0
		.amdhsa_user_sgpr_flat_scratch_init 0
		.amdhsa_user_sgpr_private_segment_size 0
		.amdhsa_uses_dynamic_stack 0
		.amdhsa_system_sgpr_private_segment_wavefront_offset 0
		.amdhsa_system_sgpr_workgroup_id_x 1
		.amdhsa_system_sgpr_workgroup_id_y 0
		.amdhsa_system_sgpr_workgroup_id_z 0
		.amdhsa_system_sgpr_workgroup_info 0
		.amdhsa_system_vgpr_workitem_id 2
		.amdhsa_next_free_vgpr 45
		.amdhsa_next_free_sgpr 44
		.amdhsa_reserve_vcc 1
		.amdhsa_reserve_flat_scratch 0
		.amdhsa_float_round_mode_32 0
		.amdhsa_float_round_mode_16_64 0
		.amdhsa_float_denorm_mode_32 3
		.amdhsa_float_denorm_mode_16_64 3
		.amdhsa_dx10_clamp 1
		.amdhsa_ieee_mode 1
		.amdhsa_fp16_overflow 0
		.amdhsa_exception_fp_ieee_invalid_op 0
		.amdhsa_exception_fp_denorm_src 0
		.amdhsa_exception_fp_ieee_div_zero 0
		.amdhsa_exception_fp_ieee_overflow 0
		.amdhsa_exception_fp_ieee_underflow 0
		.amdhsa_exception_fp_ieee_inexact 0
		.amdhsa_exception_int_div_zero 0
	.end_amdhsa_kernel
	.section	.text._Z17sort_pairs_kernelI22helper_blocked_blockediLj256ELj4ELj10EEvPKT0_PS1_,"axG",@progbits,_Z17sort_pairs_kernelI22helper_blocked_blockediLj256ELj4ELj10EEvPKT0_PS1_,comdat
.Lfunc_end29:
	.size	_Z17sort_pairs_kernelI22helper_blocked_blockediLj256ELj4ELj10EEvPKT0_PS1_, .Lfunc_end29-_Z17sort_pairs_kernelI22helper_blocked_blockediLj256ELj4ELj10EEvPKT0_PS1_
                                        ; -- End function
	.set _Z17sort_pairs_kernelI22helper_blocked_blockediLj256ELj4ELj10EEvPKT0_PS1_.num_vgpr, 45
	.set _Z17sort_pairs_kernelI22helper_blocked_blockediLj256ELj4ELj10EEvPKT0_PS1_.num_agpr, 0
	.set _Z17sort_pairs_kernelI22helper_blocked_blockediLj256ELj4ELj10EEvPKT0_PS1_.numbered_sgpr, 44
	.set _Z17sort_pairs_kernelI22helper_blocked_blockediLj256ELj4ELj10EEvPKT0_PS1_.num_named_barrier, 0
	.set _Z17sort_pairs_kernelI22helper_blocked_blockediLj256ELj4ELj10EEvPKT0_PS1_.private_seg_size, 0
	.set _Z17sort_pairs_kernelI22helper_blocked_blockediLj256ELj4ELj10EEvPKT0_PS1_.uses_vcc, 1
	.set _Z17sort_pairs_kernelI22helper_blocked_blockediLj256ELj4ELj10EEvPKT0_PS1_.uses_flat_scratch, 0
	.set _Z17sort_pairs_kernelI22helper_blocked_blockediLj256ELj4ELj10EEvPKT0_PS1_.has_dyn_sized_stack, 0
	.set _Z17sort_pairs_kernelI22helper_blocked_blockediLj256ELj4ELj10EEvPKT0_PS1_.has_recursion, 0
	.set _Z17sort_pairs_kernelI22helper_blocked_blockediLj256ELj4ELj10EEvPKT0_PS1_.has_indirect_call, 0
	.section	.AMDGPU.csdata,"",@progbits
; Kernel info:
; codeLenInByte = 3456
; TotalNumSgprs: 48
; NumVgprs: 45
; ScratchSize: 0
; MemoryBound: 0
; FloatMode: 240
; IeeeMode: 1
; LDSByteSize: 4112 bytes/workgroup (compile time only)
; SGPRBlocks: 5
; VGPRBlocks: 11
; NumSGPRsForWavesPerEU: 48
; NumVGPRsForWavesPerEU: 45
; Occupancy: 5
; WaveLimiterHint : 1
; COMPUTE_PGM_RSRC2:SCRATCH_EN: 0
; COMPUTE_PGM_RSRC2:USER_SGPR: 6
; COMPUTE_PGM_RSRC2:TRAP_HANDLER: 0
; COMPUTE_PGM_RSRC2:TGID_X_EN: 1
; COMPUTE_PGM_RSRC2:TGID_Y_EN: 0
; COMPUTE_PGM_RSRC2:TGID_Z_EN: 0
; COMPUTE_PGM_RSRC2:TIDIG_COMP_CNT: 2
	.section	.text._Z16sort_keys_kernelI22helper_blocked_blockediLj256ELj8ELj10EEvPKT0_PS1_,"axG",@progbits,_Z16sort_keys_kernelI22helper_blocked_blockediLj256ELj8ELj10EEvPKT0_PS1_,comdat
	.protected	_Z16sort_keys_kernelI22helper_blocked_blockediLj256ELj8ELj10EEvPKT0_PS1_ ; -- Begin function _Z16sort_keys_kernelI22helper_blocked_blockediLj256ELj8ELj10EEvPKT0_PS1_
	.globl	_Z16sort_keys_kernelI22helper_blocked_blockediLj256ELj8ELj10EEvPKT0_PS1_
	.p2align	8
	.type	_Z16sort_keys_kernelI22helper_blocked_blockediLj256ELj8ELj10EEvPKT0_PS1_,@function
_Z16sort_keys_kernelI22helper_blocked_blockediLj256ELj8ELj10EEvPKT0_PS1_: ; @_Z16sort_keys_kernelI22helper_blocked_blockediLj256ELj8ELj10EEvPKT0_PS1_
; %bb.0:
	s_load_dwordx4 s[28:31], s[4:5], 0x0
	s_load_dword s2, s[4:5], 0x1c
	s_lshl_b32 s34, s6, 11
	s_mov_b32 s35, 0
	s_lshl_b64 s[36:37], s[34:35], 2
	s_waitcnt lgkmcnt(0)
	s_add_u32 s0, s28, s36
	s_addc_u32 s1, s29, s37
	v_lshlrev_b32_e32 v5, 2, v0
	v_mov_b32_e32 v3, s1
	v_add_co_u32_e32 v4, vcc, s0, v5
	v_addc_co_u32_e32 v3, vcc, 0, v3, vcc
	s_movk_i32 s3, 0x1000
	v_add_co_u32_e32 v7, vcc, s3, v4
	v_addc_co_u32_e32 v8, vcc, 0, v3, vcc
	global_load_dword v12, v5, s[0:1]
	global_load_dword v13, v5, s[0:1] offset:1024
	global_load_dword v14, v5, s[0:1] offset:2048
	;; [unrolled: 1-line block ×3, first 2 shown]
	global_load_dword v3, v[7:8], off
	global_load_dword v4, v[7:8], off offset:1024
	global_load_dword v6, v[7:8], off offset:2048
	;; [unrolled: 1-line block ×3, first 2 shown]
	s_lshr_b32 s0, s2, 16
	v_mbcnt_lo_u32_b32 v7, -1, 0
	s_and_b32 s1, s2, 0xffff
	v_mad_u32_u24 v1, v2, s0, v1
	v_mbcnt_hi_u32_b32 v7, -1, v7
	v_mad_u64_u32 v[1:2], s[0:1], v1, s1, v[0:1]
	v_and_b32_e32 v2, 15, v7
	v_and_b32_e32 v8, 0xc0, v0
	v_cmp_eq_u32_e64 s[0:1], 0, v2
	v_cmp_lt_u32_e64 s[2:3], 1, v2
	v_cmp_lt_u32_e64 s[4:5], 3, v2
	;; [unrolled: 1-line block ×3, first 2 shown]
	v_and_b32_e32 v2, 16, v7
	v_cmp_eq_u32_e64 s[8:9], 0, v2
	v_or_b32_e32 v2, 63, v8
	v_add_lshl_u32 v15, v7, v8, 5
	v_cmp_eq_u32_e64 s[12:13], v0, v2
	v_subrev_co_u32_e64 v2, s[18:19], 1, v7
	v_and_b32_e32 v8, 64, v7
	v_cmp_lt_i32_e32 vcc, v2, v8
	v_lshlrev_b32_e32 v9, 5, v0
	v_cndmask_b32_e32 v2, v2, v7, vcc
	v_and_b32_e32 v9, 0x1800, v9
	v_lshlrev_b32_e32 v17, 4, v0
	v_lshlrev_b32_e32 v18, 2, v2
	v_lshrrev_b32_e32 v2, 4, v0
	v_lshrrev_b32_e32 v1, 4, v1
	s_mov_b32 s34, s35
	s_mov_b32 s26, s35
	v_lshl_or_b32 v16, v7, 2, v9
	v_cmp_lt_u32_e64 s[10:11], 31, v7
	v_and_b32_e32 v19, 12, v2
	v_mad_i32_i24 v20, v0, -12, v17
	v_and_b32_e32 v2, 3, v7
	v_and_b32_e32 v22, 0xffffffc, v1
	v_mul_u32_u24_e32 v1, 28, v0
	s_mov_b32 s27, s35
	v_mov_b32_e32 v7, s34
	v_mov_b32_e32 v9, s26
	;; [unrolled: 1-line block ×3, first 2 shown]
	v_cmp_gt_u32_e64 s[14:15], 4, v0
	v_cmp_lt_u32_e64 s[16:17], 63, v0
	v_cmp_eq_u32_e64 s[20:21], 0, v0
	v_cmp_eq_u32_e64 s[22:23], 0, v2
	v_cmp_lt_u32_e64 s[24:25], 1, v2
	v_add_u32_e32 v21, -4, v19
	v_mov_b32_e32 v8, s35
	v_mov_b32_e32 v10, s27
	v_add_u32_e32 v23, v20, v1
	v_mov_b32_e32 v24, 4
	s_branch .LBB30_2
.LBB30_1:                               ;   in Loop: Header=BB30_2 Depth=1
	v_lshlrev_b32_e32 v1, 2, v45
	s_barrier
	ds_write_b32 v1, v33
	v_lshlrev_b32_e32 v1, 2, v42
	ds_write_b32 v1, v32
	v_lshlrev_b32_e32 v1, 2, v39
	;; [unrolled: 2-line block ×7, first 2 shown]
	ds_write_b32 v1, v25
	s_waitcnt lgkmcnt(0)
	s_barrier
	ds_read2_b64 v[1:4], v23 offset1:1
	ds_read2_b64 v[26:29], v23 offset0:2 offset1:3
	s_add_i32 s35, s35, 1
	s_cmp_eq_u32 s35, 10
	s_waitcnt lgkmcnt(1)
	v_xor_b32_e32 v12, 0x80000000, v1
	v_xor_b32_e32 v13, 0x80000000, v2
	;; [unrolled: 1-line block ×4, first 2 shown]
	s_waitcnt lgkmcnt(0)
	v_xor_b32_e32 v3, 0x80000000, v26
	v_xor_b32_e32 v4, 0x80000000, v27
	;; [unrolled: 1-line block ×4, first 2 shown]
	s_cbranch_scc1 .LBB30_28
.LBB30_2:                               ; =>This Loop Header: Depth=1
                                        ;     Child Loop BB30_4 Depth 2
	s_waitcnt vmcnt(7)
	v_xor_b32_e32 v1, 0x80000000, v12
	s_waitcnt vmcnt(6)
	v_xor_b32_e32 v2, 0x80000000, v13
	;; [unrolled: 2-line block ×8, first 2 shown]
	ds_write2_b64 v15, v[1:2], v[12:13] offset1:1
	ds_write2_b64 v15, v[3:4], v[25:26] offset0:2 offset1:3
	; wave barrier
	ds_read2st64_b32 v[1:2], v16 offset1:1
	ds_read2st64_b32 v[3:4], v16 offset0:2 offset1:3
	ds_read2st64_b32 v[11:12], v16 offset0:4 offset1:5
	;; [unrolled: 1-line block ×3, first 2 shown]
	v_mov_b32_e32 v29, v5
	s_waitcnt lgkmcnt(0)
	s_barrier
	; wave barrier
	s_barrier
	s_branch .LBB30_4
.LBB30_3:                               ;   in Loop: Header=BB30_4 Depth=2
	s_andn2_b64 vcc, exec, s[26:27]
	s_cbranch_vccz .LBB30_1
.LBB30_4:                               ;   Parent Loop BB30_2 Depth=1
                                        ; =>  This Inner Loop Header: Depth=2
	v_mov_b32_e32 v33, v1
	v_lshrrev_b32_e32 v1, v29, v33
	v_mov_b32_e32 v32, v2
	v_and_b32_e32 v2, 1, v1
	v_mov_b32_e32 v30, v4
	v_add_co_u32_e32 v4, vcc, -1, v2
	v_addc_co_u32_e64 v6, s[26:27], 0, -1, vcc
	v_cmp_ne_u32_e32 vcc, 0, v2
	v_xor_b32_e32 v2, vcc_hi, v6
	v_lshlrev_b32_e32 v6, 30, v1
	v_xor_b32_e32 v4, vcc_lo, v4
	v_cmp_gt_i64_e32 vcc, 0, v[5:6]
	v_not_b32_e32 v6, v6
	v_ashrrev_i32_e32 v6, 31, v6
	v_mov_b32_e32 v28, v11
	v_and_b32_e32 v4, exec_lo, v4
	v_xor_b32_e32 v11, vcc_hi, v6
	v_xor_b32_e32 v6, vcc_lo, v6
	v_and_b32_e32 v4, v4, v6
	v_lshlrev_b32_e32 v6, 29, v1
	v_cmp_gt_i64_e32 vcc, 0, v[5:6]
	v_not_b32_e32 v6, v6
	v_and_b32_e32 v2, exec_hi, v2
	v_ashrrev_i32_e32 v6, 31, v6
	v_and_b32_e32 v2, v2, v11
	v_xor_b32_e32 v11, vcc_hi, v6
	v_xor_b32_e32 v6, vcc_lo, v6
	v_and_b32_e32 v4, v4, v6
	v_lshlrev_b32_e32 v6, 28, v1
	v_cmp_gt_i64_e32 vcc, 0, v[5:6]
	v_not_b32_e32 v6, v6
	v_ashrrev_i32_e32 v6, 31, v6
	v_and_b32_e32 v2, v2, v11
	v_xor_b32_e32 v11, vcc_hi, v6
	v_xor_b32_e32 v6, vcc_lo, v6
	v_and_b32_e32 v4, v4, v6
	v_lshlrev_b32_e32 v6, 27, v1
	v_cmp_gt_i64_e32 vcc, 0, v[5:6]
	v_not_b32_e32 v6, v6
	;; [unrolled: 8-line block ×4, first 2 shown]
	v_ashrrev_i32_e32 v6, 31, v6
	v_and_b32_e32 v2, v2, v11
	v_xor_b32_e32 v11, vcc_hi, v6
	v_xor_b32_e32 v6, vcc_lo, v6
	v_and_b32_e32 v4, v4, v6
	v_lshlrev_b32_e32 v6, 24, v1
	v_mov_b32_e32 v31, v3
	v_lshlrev_b32_sdwa v3, v24, v1 dst_sel:DWORD dst_unused:UNUSED_PAD src0_sel:DWORD src1_sel:BYTE_0
	v_cmp_gt_i64_e32 vcc, 0, v[5:6]
	v_not_b32_e32 v1, v6
	v_ashrrev_i32_e32 v1, 31, v1
	v_xor_b32_e32 v6, vcc_hi, v1
	v_xor_b32_e32 v1, vcc_lo, v1
	v_and_b32_e32 v2, v2, v11
	v_and_b32_e32 v1, v4, v1
	;; [unrolled: 1-line block ×3, first 2 shown]
	v_mbcnt_lo_u32_b32 v4, v1, 0
	v_mbcnt_hi_u32_b32 v11, v2, v4
	v_cmp_ne_u64_e32 vcc, 0, v[1:2]
	v_cmp_eq_u32_e64 s[26:27], 0, v11
	v_mov_b32_e32 v25, v14
	v_mov_b32_e32 v26, v13
	v_mov_b32_e32 v27, v12
	s_and_b64 s[28:29], vcc, s[26:27]
	v_add_u32_e32 v12, v22, v3
	ds_write2_b64 v17, v[7:8], v[9:10] offset0:2 offset1:3
	s_waitcnt lgkmcnt(0)
	s_barrier
	; wave barrier
	s_and_saveexec_b64 s[26:27], s[28:29]
; %bb.5:                                ;   in Loop: Header=BB30_4 Depth=2
	v_bcnt_u32_b32 v1, v1, 0
	v_bcnt_u32_b32 v1, v2, v1
	ds_write_b32 v12, v1 offset:16
; %bb.6:                                ;   in Loop: Header=BB30_4 Depth=2
	s_or_b64 exec, exec, s[26:27]
	v_lshrrev_b32_e32 v1, v29, v32
	v_lshlrev_b32_sdwa v2, v24, v1 dst_sel:DWORD dst_unused:UNUSED_PAD src0_sel:DWORD src1_sel:BYTE_0
	v_add_u32_e32 v14, v22, v2
	v_and_b32_e32 v2, 1, v1
	v_add_co_u32_e32 v3, vcc, -1, v2
	v_addc_co_u32_e64 v4, s[26:27], 0, -1, vcc
	v_cmp_ne_u32_e32 vcc, 0, v2
	v_lshlrev_b32_e32 v6, 30, v1
	v_xor_b32_e32 v2, vcc_hi, v4
	v_xor_b32_e32 v3, vcc_lo, v3
	v_cmp_gt_i64_e32 vcc, 0, v[5:6]
	v_not_b32_e32 v4, v6
	v_ashrrev_i32_e32 v4, 31, v4
	v_and_b32_e32 v2, exec_hi, v2
	v_xor_b32_e32 v6, vcc_hi, v4
	v_and_b32_e32 v3, exec_lo, v3
	v_xor_b32_e32 v4, vcc_lo, v4
	v_and_b32_e32 v2, v2, v6
	v_lshlrev_b32_e32 v6, 29, v1
	v_and_b32_e32 v3, v3, v4
	v_cmp_gt_i64_e32 vcc, 0, v[5:6]
	v_not_b32_e32 v4, v6
	v_ashrrev_i32_e32 v4, 31, v4
	v_xor_b32_e32 v6, vcc_hi, v4
	v_xor_b32_e32 v4, vcc_lo, v4
	v_and_b32_e32 v2, v2, v6
	v_lshlrev_b32_e32 v6, 28, v1
	v_and_b32_e32 v3, v3, v4
	v_cmp_gt_i64_e32 vcc, 0, v[5:6]
	v_not_b32_e32 v4, v6
	v_ashrrev_i32_e32 v4, 31, v4
	v_xor_b32_e32 v6, vcc_hi, v4
	;; [unrolled: 8-line block ×5, first 2 shown]
	v_and_b32_e32 v2, v2, v6
	v_lshlrev_b32_e32 v6, 24, v1
	v_xor_b32_e32 v4, vcc_lo, v4
	v_cmp_gt_i64_e32 vcc, 0, v[5:6]
	v_not_b32_e32 v1, v6
	v_ashrrev_i32_e32 v1, 31, v1
	v_and_b32_e32 v3, v3, v4
	v_xor_b32_e32 v4, vcc_hi, v1
	v_xor_b32_e32 v1, vcc_lo, v1
	; wave barrier
	ds_read_b32 v13, v14 offset:16
	v_and_b32_e32 v1, v3, v1
	v_and_b32_e32 v2, v2, v4
	v_mbcnt_lo_u32_b32 v3, v1, 0
	v_mbcnt_hi_u32_b32 v34, v2, v3
	v_cmp_ne_u64_e32 vcc, 0, v[1:2]
	v_cmp_eq_u32_e64 s[26:27], 0, v34
	s_and_b64 s[28:29], vcc, s[26:27]
	; wave barrier
	s_and_saveexec_b64 s[26:27], s[28:29]
	s_cbranch_execz .LBB30_8
; %bb.7:                                ;   in Loop: Header=BB30_4 Depth=2
	v_bcnt_u32_b32 v1, v1, 0
	v_bcnt_u32_b32 v1, v2, v1
	s_waitcnt lgkmcnt(0)
	v_add_u32_e32 v1, v13, v1
	ds_write_b32 v14, v1 offset:16
.LBB30_8:                               ;   in Loop: Header=BB30_4 Depth=2
	s_or_b64 exec, exec, s[26:27]
	v_lshrrev_b32_e32 v1, v29, v31
	v_lshlrev_b32_sdwa v2, v24, v1 dst_sel:DWORD dst_unused:UNUSED_PAD src0_sel:DWORD src1_sel:BYTE_0
	v_add_u32_e32 v36, v22, v2
	v_and_b32_e32 v2, 1, v1
	v_add_co_u32_e32 v3, vcc, -1, v2
	v_addc_co_u32_e64 v4, s[26:27], 0, -1, vcc
	v_cmp_ne_u32_e32 vcc, 0, v2
	v_lshlrev_b32_e32 v6, 30, v1
	v_xor_b32_e32 v2, vcc_hi, v4
	v_xor_b32_e32 v3, vcc_lo, v3
	v_cmp_gt_i64_e32 vcc, 0, v[5:6]
	v_not_b32_e32 v4, v6
	v_ashrrev_i32_e32 v4, 31, v4
	v_and_b32_e32 v2, exec_hi, v2
	v_xor_b32_e32 v6, vcc_hi, v4
	v_and_b32_e32 v3, exec_lo, v3
	v_xor_b32_e32 v4, vcc_lo, v4
	v_and_b32_e32 v2, v2, v6
	v_lshlrev_b32_e32 v6, 29, v1
	v_and_b32_e32 v3, v3, v4
	v_cmp_gt_i64_e32 vcc, 0, v[5:6]
	v_not_b32_e32 v4, v6
	v_ashrrev_i32_e32 v4, 31, v4
	v_xor_b32_e32 v6, vcc_hi, v4
	v_xor_b32_e32 v4, vcc_lo, v4
	v_and_b32_e32 v2, v2, v6
	v_lshlrev_b32_e32 v6, 28, v1
	v_and_b32_e32 v3, v3, v4
	v_cmp_gt_i64_e32 vcc, 0, v[5:6]
	v_not_b32_e32 v4, v6
	v_ashrrev_i32_e32 v4, 31, v4
	v_xor_b32_e32 v6, vcc_hi, v4
	;; [unrolled: 8-line block ×5, first 2 shown]
	v_and_b32_e32 v2, v2, v6
	v_lshlrev_b32_e32 v6, 24, v1
	v_xor_b32_e32 v4, vcc_lo, v4
	v_cmp_gt_i64_e32 vcc, 0, v[5:6]
	v_not_b32_e32 v1, v6
	v_ashrrev_i32_e32 v1, 31, v1
	v_and_b32_e32 v3, v3, v4
	v_xor_b32_e32 v4, vcc_hi, v1
	v_xor_b32_e32 v1, vcc_lo, v1
	; wave barrier
	ds_read_b32 v35, v36 offset:16
	v_and_b32_e32 v1, v3, v1
	v_and_b32_e32 v2, v2, v4
	v_mbcnt_lo_u32_b32 v3, v1, 0
	v_mbcnt_hi_u32_b32 v37, v2, v3
	v_cmp_ne_u64_e32 vcc, 0, v[1:2]
	v_cmp_eq_u32_e64 s[26:27], 0, v37
	s_and_b64 s[28:29], vcc, s[26:27]
	; wave barrier
	s_and_saveexec_b64 s[26:27], s[28:29]
	s_cbranch_execz .LBB30_10
; %bb.9:                                ;   in Loop: Header=BB30_4 Depth=2
	v_bcnt_u32_b32 v1, v1, 0
	v_bcnt_u32_b32 v1, v2, v1
	s_waitcnt lgkmcnt(0)
	v_add_u32_e32 v1, v35, v1
	ds_write_b32 v36, v1 offset:16
.LBB30_10:                              ;   in Loop: Header=BB30_4 Depth=2
	s_or_b64 exec, exec, s[26:27]
	v_lshrrev_b32_e32 v1, v29, v30
	v_lshlrev_b32_sdwa v2, v24, v1 dst_sel:DWORD dst_unused:UNUSED_PAD src0_sel:DWORD src1_sel:BYTE_0
	v_add_u32_e32 v39, v22, v2
	v_and_b32_e32 v2, 1, v1
	v_add_co_u32_e32 v3, vcc, -1, v2
	v_addc_co_u32_e64 v4, s[26:27], 0, -1, vcc
	v_cmp_ne_u32_e32 vcc, 0, v2
	v_lshlrev_b32_e32 v6, 30, v1
	v_xor_b32_e32 v2, vcc_hi, v4
	v_xor_b32_e32 v3, vcc_lo, v3
	v_cmp_gt_i64_e32 vcc, 0, v[5:6]
	v_not_b32_e32 v4, v6
	v_ashrrev_i32_e32 v4, 31, v4
	v_and_b32_e32 v2, exec_hi, v2
	v_xor_b32_e32 v6, vcc_hi, v4
	v_and_b32_e32 v3, exec_lo, v3
	v_xor_b32_e32 v4, vcc_lo, v4
	v_and_b32_e32 v2, v2, v6
	v_lshlrev_b32_e32 v6, 29, v1
	v_and_b32_e32 v3, v3, v4
	v_cmp_gt_i64_e32 vcc, 0, v[5:6]
	v_not_b32_e32 v4, v6
	v_ashrrev_i32_e32 v4, 31, v4
	v_xor_b32_e32 v6, vcc_hi, v4
	v_xor_b32_e32 v4, vcc_lo, v4
	v_and_b32_e32 v2, v2, v6
	v_lshlrev_b32_e32 v6, 28, v1
	v_and_b32_e32 v3, v3, v4
	v_cmp_gt_i64_e32 vcc, 0, v[5:6]
	v_not_b32_e32 v4, v6
	v_ashrrev_i32_e32 v4, 31, v4
	v_xor_b32_e32 v6, vcc_hi, v4
	;; [unrolled: 8-line block ×5, first 2 shown]
	v_and_b32_e32 v2, v2, v6
	v_lshlrev_b32_e32 v6, 24, v1
	v_xor_b32_e32 v4, vcc_lo, v4
	v_cmp_gt_i64_e32 vcc, 0, v[5:6]
	v_not_b32_e32 v1, v6
	v_ashrrev_i32_e32 v1, 31, v1
	v_and_b32_e32 v3, v3, v4
	v_xor_b32_e32 v4, vcc_hi, v1
	v_xor_b32_e32 v1, vcc_lo, v1
	; wave barrier
	ds_read_b32 v38, v39 offset:16
	v_and_b32_e32 v1, v3, v1
	v_and_b32_e32 v2, v2, v4
	v_mbcnt_lo_u32_b32 v3, v1, 0
	v_mbcnt_hi_u32_b32 v40, v2, v3
	v_cmp_ne_u64_e32 vcc, 0, v[1:2]
	v_cmp_eq_u32_e64 s[26:27], 0, v40
	s_and_b64 s[28:29], vcc, s[26:27]
	; wave barrier
	s_and_saveexec_b64 s[26:27], s[28:29]
	s_cbranch_execz .LBB30_12
; %bb.11:                               ;   in Loop: Header=BB30_4 Depth=2
	v_bcnt_u32_b32 v1, v1, 0
	v_bcnt_u32_b32 v1, v2, v1
	s_waitcnt lgkmcnt(0)
	v_add_u32_e32 v1, v38, v1
	ds_write_b32 v39, v1 offset:16
.LBB30_12:                              ;   in Loop: Header=BB30_4 Depth=2
	s_or_b64 exec, exec, s[26:27]
	v_lshrrev_b32_e32 v1, v29, v28
	v_lshlrev_b32_sdwa v2, v24, v1 dst_sel:DWORD dst_unused:UNUSED_PAD src0_sel:DWORD src1_sel:BYTE_0
	v_add_u32_e32 v42, v22, v2
	v_and_b32_e32 v2, 1, v1
	v_add_co_u32_e32 v3, vcc, -1, v2
	v_addc_co_u32_e64 v4, s[26:27], 0, -1, vcc
	v_cmp_ne_u32_e32 vcc, 0, v2
	v_lshlrev_b32_e32 v6, 30, v1
	v_xor_b32_e32 v2, vcc_hi, v4
	v_xor_b32_e32 v3, vcc_lo, v3
	v_cmp_gt_i64_e32 vcc, 0, v[5:6]
	v_not_b32_e32 v4, v6
	v_ashrrev_i32_e32 v4, 31, v4
	v_and_b32_e32 v2, exec_hi, v2
	v_xor_b32_e32 v6, vcc_hi, v4
	v_and_b32_e32 v3, exec_lo, v3
	v_xor_b32_e32 v4, vcc_lo, v4
	v_and_b32_e32 v2, v2, v6
	v_lshlrev_b32_e32 v6, 29, v1
	v_and_b32_e32 v3, v3, v4
	v_cmp_gt_i64_e32 vcc, 0, v[5:6]
	v_not_b32_e32 v4, v6
	v_ashrrev_i32_e32 v4, 31, v4
	v_xor_b32_e32 v6, vcc_hi, v4
	v_xor_b32_e32 v4, vcc_lo, v4
	v_and_b32_e32 v2, v2, v6
	v_lshlrev_b32_e32 v6, 28, v1
	v_and_b32_e32 v3, v3, v4
	v_cmp_gt_i64_e32 vcc, 0, v[5:6]
	v_not_b32_e32 v4, v6
	v_ashrrev_i32_e32 v4, 31, v4
	v_xor_b32_e32 v6, vcc_hi, v4
	;; [unrolled: 8-line block ×5, first 2 shown]
	v_and_b32_e32 v2, v2, v6
	v_lshlrev_b32_e32 v6, 24, v1
	v_xor_b32_e32 v4, vcc_lo, v4
	v_cmp_gt_i64_e32 vcc, 0, v[5:6]
	v_not_b32_e32 v1, v6
	v_ashrrev_i32_e32 v1, 31, v1
	v_and_b32_e32 v3, v3, v4
	v_xor_b32_e32 v4, vcc_hi, v1
	v_xor_b32_e32 v1, vcc_lo, v1
	; wave barrier
	ds_read_b32 v41, v42 offset:16
	v_and_b32_e32 v1, v3, v1
	v_and_b32_e32 v2, v2, v4
	v_mbcnt_lo_u32_b32 v3, v1, 0
	v_mbcnt_hi_u32_b32 v43, v2, v3
	v_cmp_ne_u64_e32 vcc, 0, v[1:2]
	v_cmp_eq_u32_e64 s[26:27], 0, v43
	s_and_b64 s[28:29], vcc, s[26:27]
	; wave barrier
	s_and_saveexec_b64 s[26:27], s[28:29]
	s_cbranch_execz .LBB30_14
; %bb.13:                               ;   in Loop: Header=BB30_4 Depth=2
	v_bcnt_u32_b32 v1, v1, 0
	v_bcnt_u32_b32 v1, v2, v1
	s_waitcnt lgkmcnt(0)
	v_add_u32_e32 v1, v41, v1
	ds_write_b32 v42, v1 offset:16
.LBB30_14:                              ;   in Loop: Header=BB30_4 Depth=2
	s_or_b64 exec, exec, s[26:27]
	v_lshrrev_b32_e32 v1, v29, v27
	v_lshlrev_b32_sdwa v2, v24, v1 dst_sel:DWORD dst_unused:UNUSED_PAD src0_sel:DWORD src1_sel:BYTE_0
	v_add_u32_e32 v45, v22, v2
	v_and_b32_e32 v2, 1, v1
	v_add_co_u32_e32 v3, vcc, -1, v2
	v_addc_co_u32_e64 v4, s[26:27], 0, -1, vcc
	v_cmp_ne_u32_e32 vcc, 0, v2
	v_lshlrev_b32_e32 v6, 30, v1
	v_xor_b32_e32 v2, vcc_hi, v4
	v_xor_b32_e32 v3, vcc_lo, v3
	v_cmp_gt_i64_e32 vcc, 0, v[5:6]
	v_not_b32_e32 v4, v6
	v_ashrrev_i32_e32 v4, 31, v4
	v_and_b32_e32 v2, exec_hi, v2
	v_xor_b32_e32 v6, vcc_hi, v4
	v_and_b32_e32 v3, exec_lo, v3
	v_xor_b32_e32 v4, vcc_lo, v4
	v_and_b32_e32 v2, v2, v6
	v_lshlrev_b32_e32 v6, 29, v1
	v_and_b32_e32 v3, v3, v4
	v_cmp_gt_i64_e32 vcc, 0, v[5:6]
	v_not_b32_e32 v4, v6
	v_ashrrev_i32_e32 v4, 31, v4
	v_xor_b32_e32 v6, vcc_hi, v4
	v_xor_b32_e32 v4, vcc_lo, v4
	v_and_b32_e32 v2, v2, v6
	v_lshlrev_b32_e32 v6, 28, v1
	v_and_b32_e32 v3, v3, v4
	v_cmp_gt_i64_e32 vcc, 0, v[5:6]
	v_not_b32_e32 v4, v6
	v_ashrrev_i32_e32 v4, 31, v4
	v_xor_b32_e32 v6, vcc_hi, v4
	;; [unrolled: 8-line block ×5, first 2 shown]
	v_and_b32_e32 v2, v2, v6
	v_lshlrev_b32_e32 v6, 24, v1
	v_xor_b32_e32 v4, vcc_lo, v4
	v_cmp_gt_i64_e32 vcc, 0, v[5:6]
	v_not_b32_e32 v1, v6
	v_ashrrev_i32_e32 v1, 31, v1
	v_and_b32_e32 v3, v3, v4
	v_xor_b32_e32 v4, vcc_hi, v1
	v_xor_b32_e32 v1, vcc_lo, v1
	; wave barrier
	ds_read_b32 v44, v45 offset:16
	v_and_b32_e32 v1, v3, v1
	v_and_b32_e32 v2, v2, v4
	v_mbcnt_lo_u32_b32 v3, v1, 0
	v_mbcnt_hi_u32_b32 v46, v2, v3
	v_cmp_ne_u64_e32 vcc, 0, v[1:2]
	v_cmp_eq_u32_e64 s[26:27], 0, v46
	s_and_b64 s[28:29], vcc, s[26:27]
	; wave barrier
	s_and_saveexec_b64 s[26:27], s[28:29]
	s_cbranch_execz .LBB30_16
; %bb.15:                               ;   in Loop: Header=BB30_4 Depth=2
	v_bcnt_u32_b32 v1, v1, 0
	v_bcnt_u32_b32 v1, v2, v1
	s_waitcnt lgkmcnt(0)
	v_add_u32_e32 v1, v44, v1
	ds_write_b32 v45, v1 offset:16
.LBB30_16:                              ;   in Loop: Header=BB30_4 Depth=2
	s_or_b64 exec, exec, s[26:27]
	v_lshrrev_b32_e32 v1, v29, v26
	v_lshlrev_b32_sdwa v2, v24, v1 dst_sel:DWORD dst_unused:UNUSED_PAD src0_sel:DWORD src1_sel:BYTE_0
	v_add_u32_e32 v48, v22, v2
	v_and_b32_e32 v2, 1, v1
	v_add_co_u32_e32 v3, vcc, -1, v2
	v_addc_co_u32_e64 v4, s[26:27], 0, -1, vcc
	v_cmp_ne_u32_e32 vcc, 0, v2
	v_lshlrev_b32_e32 v6, 30, v1
	v_xor_b32_e32 v2, vcc_hi, v4
	v_xor_b32_e32 v3, vcc_lo, v3
	v_cmp_gt_i64_e32 vcc, 0, v[5:6]
	v_not_b32_e32 v4, v6
	v_ashrrev_i32_e32 v4, 31, v4
	v_and_b32_e32 v2, exec_hi, v2
	v_xor_b32_e32 v6, vcc_hi, v4
	v_and_b32_e32 v3, exec_lo, v3
	v_xor_b32_e32 v4, vcc_lo, v4
	v_and_b32_e32 v2, v2, v6
	v_lshlrev_b32_e32 v6, 29, v1
	v_and_b32_e32 v3, v3, v4
	v_cmp_gt_i64_e32 vcc, 0, v[5:6]
	v_not_b32_e32 v4, v6
	v_ashrrev_i32_e32 v4, 31, v4
	v_xor_b32_e32 v6, vcc_hi, v4
	v_xor_b32_e32 v4, vcc_lo, v4
	v_and_b32_e32 v2, v2, v6
	v_lshlrev_b32_e32 v6, 28, v1
	v_and_b32_e32 v3, v3, v4
	v_cmp_gt_i64_e32 vcc, 0, v[5:6]
	v_not_b32_e32 v4, v6
	v_ashrrev_i32_e32 v4, 31, v4
	v_xor_b32_e32 v6, vcc_hi, v4
	;; [unrolled: 8-line block ×5, first 2 shown]
	v_and_b32_e32 v2, v2, v6
	v_lshlrev_b32_e32 v6, 24, v1
	v_xor_b32_e32 v4, vcc_lo, v4
	v_cmp_gt_i64_e32 vcc, 0, v[5:6]
	v_not_b32_e32 v1, v6
	v_ashrrev_i32_e32 v1, 31, v1
	v_and_b32_e32 v3, v3, v4
	v_xor_b32_e32 v4, vcc_hi, v1
	v_xor_b32_e32 v1, vcc_lo, v1
	; wave barrier
	ds_read_b32 v47, v48 offset:16
	v_and_b32_e32 v1, v3, v1
	v_and_b32_e32 v2, v2, v4
	v_mbcnt_lo_u32_b32 v3, v1, 0
	v_mbcnt_hi_u32_b32 v49, v2, v3
	v_cmp_ne_u64_e32 vcc, 0, v[1:2]
	v_cmp_eq_u32_e64 s[26:27], 0, v49
	s_and_b64 s[28:29], vcc, s[26:27]
	; wave barrier
	s_and_saveexec_b64 s[26:27], s[28:29]
	s_cbranch_execz .LBB30_18
; %bb.17:                               ;   in Loop: Header=BB30_4 Depth=2
	v_bcnt_u32_b32 v1, v1, 0
	v_bcnt_u32_b32 v1, v2, v1
	s_waitcnt lgkmcnt(0)
	v_add_u32_e32 v1, v47, v1
	ds_write_b32 v48, v1 offset:16
.LBB30_18:                              ;   in Loop: Header=BB30_4 Depth=2
	s_or_b64 exec, exec, s[26:27]
	v_lshrrev_b32_e32 v1, v29, v25
	v_lshlrev_b32_sdwa v2, v24, v1 dst_sel:DWORD dst_unused:UNUSED_PAD src0_sel:DWORD src1_sel:BYTE_0
	v_add_u32_e32 v51, v22, v2
	v_and_b32_e32 v2, 1, v1
	v_add_co_u32_e32 v3, vcc, -1, v2
	v_addc_co_u32_e64 v4, s[26:27], 0, -1, vcc
	v_cmp_ne_u32_e32 vcc, 0, v2
	v_lshlrev_b32_e32 v6, 30, v1
	v_xor_b32_e32 v2, vcc_hi, v4
	v_xor_b32_e32 v3, vcc_lo, v3
	v_cmp_gt_i64_e32 vcc, 0, v[5:6]
	v_not_b32_e32 v4, v6
	v_ashrrev_i32_e32 v4, 31, v4
	v_and_b32_e32 v2, exec_hi, v2
	v_xor_b32_e32 v6, vcc_hi, v4
	v_and_b32_e32 v3, exec_lo, v3
	v_xor_b32_e32 v4, vcc_lo, v4
	v_and_b32_e32 v2, v2, v6
	v_lshlrev_b32_e32 v6, 29, v1
	v_and_b32_e32 v3, v3, v4
	v_cmp_gt_i64_e32 vcc, 0, v[5:6]
	v_not_b32_e32 v4, v6
	v_ashrrev_i32_e32 v4, 31, v4
	v_xor_b32_e32 v6, vcc_hi, v4
	v_xor_b32_e32 v4, vcc_lo, v4
	v_and_b32_e32 v2, v2, v6
	v_lshlrev_b32_e32 v6, 28, v1
	v_and_b32_e32 v3, v3, v4
	v_cmp_gt_i64_e32 vcc, 0, v[5:6]
	v_not_b32_e32 v4, v6
	v_ashrrev_i32_e32 v4, 31, v4
	v_xor_b32_e32 v6, vcc_hi, v4
	;; [unrolled: 8-line block ×5, first 2 shown]
	v_and_b32_e32 v2, v2, v6
	v_lshlrev_b32_e32 v6, 24, v1
	v_xor_b32_e32 v4, vcc_lo, v4
	v_cmp_gt_i64_e32 vcc, 0, v[5:6]
	v_not_b32_e32 v1, v6
	v_ashrrev_i32_e32 v1, 31, v1
	v_and_b32_e32 v3, v3, v4
	v_xor_b32_e32 v4, vcc_hi, v1
	v_xor_b32_e32 v1, vcc_lo, v1
	; wave barrier
	ds_read_b32 v50, v51 offset:16
	v_and_b32_e32 v1, v3, v1
	v_and_b32_e32 v2, v2, v4
	v_mbcnt_lo_u32_b32 v3, v1, 0
	v_mbcnt_hi_u32_b32 v6, v2, v3
	v_cmp_ne_u64_e32 vcc, 0, v[1:2]
	v_cmp_eq_u32_e64 s[26:27], 0, v6
	s_and_b64 s[28:29], vcc, s[26:27]
	; wave barrier
	s_and_saveexec_b64 s[26:27], s[28:29]
	s_cbranch_execz .LBB30_20
; %bb.19:                               ;   in Loop: Header=BB30_4 Depth=2
	v_bcnt_u32_b32 v1, v1, 0
	v_bcnt_u32_b32 v1, v2, v1
	s_waitcnt lgkmcnt(0)
	v_add_u32_e32 v1, v50, v1
	ds_write_b32 v51, v1 offset:16
.LBB30_20:                              ;   in Loop: Header=BB30_4 Depth=2
	s_or_b64 exec, exec, s[26:27]
	; wave barrier
	s_waitcnt lgkmcnt(0)
	s_barrier
	ds_read2_b64 v[1:4], v17 offset0:2 offset1:3
	s_waitcnt lgkmcnt(0)
	v_add_u32_e32 v52, v2, v1
	v_add3_u32 v4, v52, v3, v4
	s_nop 1
	v_mov_b32_dpp v52, v4 row_shr:1 row_mask:0xf bank_mask:0xf
	v_cndmask_b32_e64 v52, v52, 0, s[0:1]
	v_add_u32_e32 v4, v52, v4
	s_nop 1
	v_mov_b32_dpp v52, v4 row_shr:2 row_mask:0xf bank_mask:0xf
	v_cndmask_b32_e64 v52, 0, v52, s[2:3]
	v_add_u32_e32 v4, v4, v52
	;; [unrolled: 4-line block ×4, first 2 shown]
	s_nop 1
	v_mov_b32_dpp v52, v4 row_bcast:15 row_mask:0xf bank_mask:0xf
	v_cndmask_b32_e64 v52, v52, 0, s[8:9]
	v_add_u32_e32 v4, v4, v52
	s_nop 1
	v_mov_b32_dpp v52, v4 row_bcast:31 row_mask:0xf bank_mask:0xf
	v_cndmask_b32_e64 v52, 0, v52, s[10:11]
	v_add_u32_e32 v4, v4, v52
	s_and_saveexec_b64 s[26:27], s[12:13]
; %bb.21:                               ;   in Loop: Header=BB30_4 Depth=2
	ds_write_b32 v19, v4
; %bb.22:                               ;   in Loop: Header=BB30_4 Depth=2
	s_or_b64 exec, exec, s[26:27]
	s_waitcnt lgkmcnt(0)
	s_barrier
	s_and_saveexec_b64 s[26:27], s[14:15]
	s_cbranch_execz .LBB30_24
; %bb.23:                               ;   in Loop: Header=BB30_4 Depth=2
	ds_read_b32 v52, v20
	s_waitcnt lgkmcnt(0)
	s_nop 0
	v_mov_b32_dpp v53, v52 row_shr:1 row_mask:0xf bank_mask:0xf
	v_cndmask_b32_e64 v53, v53, 0, s[22:23]
	v_add_u32_e32 v52, v53, v52
	s_nop 1
	v_mov_b32_dpp v53, v52 row_shr:2 row_mask:0xf bank_mask:0xf
	v_cndmask_b32_e64 v53, 0, v53, s[24:25]
	v_add_u32_e32 v52, v52, v53
	ds_write_b32 v20, v52
.LBB30_24:                              ;   in Loop: Header=BB30_4 Depth=2
	s_or_b64 exec, exec, s[26:27]
	v_mov_b32_e32 v52, 0
	s_waitcnt lgkmcnt(0)
	s_barrier
	s_and_saveexec_b64 s[26:27], s[16:17]
; %bb.25:                               ;   in Loop: Header=BB30_4 Depth=2
	ds_read_b32 v52, v21
; %bb.26:                               ;   in Loop: Header=BB30_4 Depth=2
	s_or_b64 exec, exec, s[26:27]
	s_waitcnt lgkmcnt(0)
	v_add_u32_e32 v4, v52, v4
	ds_bpermute_b32 v4, v18, v4
	v_cmp_lt_u32_e32 vcc, 23, v29
	s_and_b64 vcc, exec, vcc
	s_mov_b64 s[26:27], -1
	s_waitcnt lgkmcnt(0)
	v_cndmask_b32_e64 v4, v4, v52, s[18:19]
	v_cndmask_b32_e64 v52, v4, 0, s[20:21]
	v_add_u32_e32 v53, v52, v1
	v_add_u32_e32 v1, v53, v2
	;; [unrolled: 1-line block ×3, first 2 shown]
	ds_write2_b64 v17, v[52:53], v[1:2] offset0:2 offset1:3
	s_waitcnt lgkmcnt(0)
	s_barrier
	ds_read_b32 v1, v12 offset:16
	ds_read_b32 v2, v14 offset:16
	;; [unrolled: 1-line block ×8, first 2 shown]
	s_waitcnt lgkmcnt(7)
	v_add_u32_e32 v45, v1, v11
	s_waitcnt lgkmcnt(6)
	v_add3_u32 v42, v34, v13, v2
	s_waitcnt lgkmcnt(5)
	v_add3_u32 v39, v37, v35, v3
	;; [unrolled: 2-line block ×7, first 2 shown]
                                        ; implicit-def: $vgpr14
                                        ; implicit-def: $vgpr12
                                        ; implicit-def: $vgpr4
                                        ; implicit-def: $vgpr2
	s_cbranch_vccnz .LBB30_3
; %bb.27:                               ;   in Loop: Header=BB30_4 Depth=2
	v_lshlrev_b32_e32 v1, 2, v45
	s_barrier
	ds_write_b32 v1, v33
	v_lshlrev_b32_e32 v1, 2, v42
	ds_write_b32 v1, v32
	v_lshlrev_b32_e32 v1, 2, v39
	;; [unrolled: 2-line block ×7, first 2 shown]
	ds_write_b32 v1, v25
	s_waitcnt lgkmcnt(0)
	s_barrier
	ds_read2st64_b32 v[1:2], v16 offset1:1
	ds_read2st64_b32 v[3:4], v16 offset0:2 offset1:3
	ds_read2st64_b32 v[11:12], v16 offset0:4 offset1:5
	;; [unrolled: 1-line block ×3, first 2 shown]
	v_add_u32_e32 v29, 8, v29
	s_mov_b64 s[26:27], 0
	s_waitcnt lgkmcnt(0)
	s_barrier
	s_branch .LBB30_3
.LBB30_28:
	s_add_u32 s0, s30, s36
	s_addc_u32 s1, s31, s37
	v_lshlrev_b32_e32 v0, 2, v0
	v_mov_b32_e32 v1, s1
	v_add_co_u32_e32 v2, vcc, s0, v0
	v_addc_co_u32_e32 v1, vcc, 0, v1, vcc
	global_store_dword v0, v12, s[0:1]
	global_store_dword v0, v13, s[0:1] offset:1024
	global_store_dword v0, v14, s[0:1] offset:2048
	;; [unrolled: 1-line block ×3, first 2 shown]
	v_add_co_u32_e32 v0, vcc, 0x1000, v2
	v_addc_co_u32_e32 v1, vcc, 0, v1, vcc
	global_store_dword v[0:1], v3, off
	global_store_dword v[0:1], v4, off offset:1024
	global_store_dword v[0:1], v6, off offset:2048
	;; [unrolled: 1-line block ×3, first 2 shown]
	s_endpgm
	.section	.rodata,"a",@progbits
	.p2align	6, 0x0
	.amdhsa_kernel _Z16sort_keys_kernelI22helper_blocked_blockediLj256ELj8ELj10EEvPKT0_PS1_
		.amdhsa_group_segment_fixed_size 8192
		.amdhsa_private_segment_fixed_size 0
		.amdhsa_kernarg_size 272
		.amdhsa_user_sgpr_count 6
		.amdhsa_user_sgpr_private_segment_buffer 1
		.amdhsa_user_sgpr_dispatch_ptr 0
		.amdhsa_user_sgpr_queue_ptr 0
		.amdhsa_user_sgpr_kernarg_segment_ptr 1
		.amdhsa_user_sgpr_dispatch_id 0
		.amdhsa_user_sgpr_flat_scratch_init 0
		.amdhsa_user_sgpr_private_segment_size 0
		.amdhsa_uses_dynamic_stack 0
		.amdhsa_system_sgpr_private_segment_wavefront_offset 0
		.amdhsa_system_sgpr_workgroup_id_x 1
		.amdhsa_system_sgpr_workgroup_id_y 0
		.amdhsa_system_sgpr_workgroup_id_z 0
		.amdhsa_system_sgpr_workgroup_info 0
		.amdhsa_system_vgpr_workitem_id 2
		.amdhsa_next_free_vgpr 54
		.amdhsa_next_free_sgpr 61
		.amdhsa_reserve_vcc 1
		.amdhsa_reserve_flat_scratch 0
		.amdhsa_float_round_mode_32 0
		.amdhsa_float_round_mode_16_64 0
		.amdhsa_float_denorm_mode_32 3
		.amdhsa_float_denorm_mode_16_64 3
		.amdhsa_dx10_clamp 1
		.amdhsa_ieee_mode 1
		.amdhsa_fp16_overflow 0
		.amdhsa_exception_fp_ieee_invalid_op 0
		.amdhsa_exception_fp_denorm_src 0
		.amdhsa_exception_fp_ieee_div_zero 0
		.amdhsa_exception_fp_ieee_overflow 0
		.amdhsa_exception_fp_ieee_underflow 0
		.amdhsa_exception_fp_ieee_inexact 0
		.amdhsa_exception_int_div_zero 0
	.end_amdhsa_kernel
	.section	.text._Z16sort_keys_kernelI22helper_blocked_blockediLj256ELj8ELj10EEvPKT0_PS1_,"axG",@progbits,_Z16sort_keys_kernelI22helper_blocked_blockediLj256ELj8ELj10EEvPKT0_PS1_,comdat
.Lfunc_end30:
	.size	_Z16sort_keys_kernelI22helper_blocked_blockediLj256ELj8ELj10EEvPKT0_PS1_, .Lfunc_end30-_Z16sort_keys_kernelI22helper_blocked_blockediLj256ELj8ELj10EEvPKT0_PS1_
                                        ; -- End function
	.set _Z16sort_keys_kernelI22helper_blocked_blockediLj256ELj8ELj10EEvPKT0_PS1_.num_vgpr, 54
	.set _Z16sort_keys_kernelI22helper_blocked_blockediLj256ELj8ELj10EEvPKT0_PS1_.num_agpr, 0
	.set _Z16sort_keys_kernelI22helper_blocked_blockediLj256ELj8ELj10EEvPKT0_PS1_.numbered_sgpr, 38
	.set _Z16sort_keys_kernelI22helper_blocked_blockediLj256ELj8ELj10EEvPKT0_PS1_.num_named_barrier, 0
	.set _Z16sort_keys_kernelI22helper_blocked_blockediLj256ELj8ELj10EEvPKT0_PS1_.private_seg_size, 0
	.set _Z16sort_keys_kernelI22helper_blocked_blockediLj256ELj8ELj10EEvPKT0_PS1_.uses_vcc, 1
	.set _Z16sort_keys_kernelI22helper_blocked_blockediLj256ELj8ELj10EEvPKT0_PS1_.uses_flat_scratch, 0
	.set _Z16sort_keys_kernelI22helper_blocked_blockediLj256ELj8ELj10EEvPKT0_PS1_.has_dyn_sized_stack, 0
	.set _Z16sort_keys_kernelI22helper_blocked_blockediLj256ELj8ELj10EEvPKT0_PS1_.has_recursion, 0
	.set _Z16sort_keys_kernelI22helper_blocked_blockediLj256ELj8ELj10EEvPKT0_PS1_.has_indirect_call, 0
	.section	.AMDGPU.csdata,"",@progbits
; Kernel info:
; codeLenInByte = 4528
; TotalNumSgprs: 42
; NumVgprs: 54
; ScratchSize: 0
; MemoryBound: 0
; FloatMode: 240
; IeeeMode: 1
; LDSByteSize: 8192 bytes/workgroup (compile time only)
; SGPRBlocks: 8
; VGPRBlocks: 13
; NumSGPRsForWavesPerEU: 65
; NumVGPRsForWavesPerEU: 54
; Occupancy: 4
; WaveLimiterHint : 1
; COMPUTE_PGM_RSRC2:SCRATCH_EN: 0
; COMPUTE_PGM_RSRC2:USER_SGPR: 6
; COMPUTE_PGM_RSRC2:TRAP_HANDLER: 0
; COMPUTE_PGM_RSRC2:TGID_X_EN: 1
; COMPUTE_PGM_RSRC2:TGID_Y_EN: 0
; COMPUTE_PGM_RSRC2:TGID_Z_EN: 0
; COMPUTE_PGM_RSRC2:TIDIG_COMP_CNT: 2
	.section	.text._Z17sort_pairs_kernelI22helper_blocked_blockediLj256ELj8ELj10EEvPKT0_PS1_,"axG",@progbits,_Z17sort_pairs_kernelI22helper_blocked_blockediLj256ELj8ELj10EEvPKT0_PS1_,comdat
	.protected	_Z17sort_pairs_kernelI22helper_blocked_blockediLj256ELj8ELj10EEvPKT0_PS1_ ; -- Begin function _Z17sort_pairs_kernelI22helper_blocked_blockediLj256ELj8ELj10EEvPKT0_PS1_
	.globl	_Z17sort_pairs_kernelI22helper_blocked_blockediLj256ELj8ELj10EEvPKT0_PS1_
	.p2align	8
	.type	_Z17sort_pairs_kernelI22helper_blocked_blockediLj256ELj8ELj10EEvPKT0_PS1_,@function
_Z17sort_pairs_kernelI22helper_blocked_blockediLj256ELj8ELj10EEvPKT0_PS1_: ; @_Z17sort_pairs_kernelI22helper_blocked_blockediLj256ELj8ELj10EEvPKT0_PS1_
; %bb.0:
	s_load_dwordx4 s[28:31], s[4:5], 0x0
	s_load_dword s33, s[4:5], 0x1c
	s_lshl_b32 s36, s6, 11
	s_mov_b32 s37, 0
	s_lshl_b64 s[34:35], s[36:37], 2
	s_waitcnt lgkmcnt(0)
	s_add_u32 s0, s28, s34
	s_addc_u32 s1, s29, s35
	v_lshlrev_b32_e32 v5, 2, v0
	v_mov_b32_e32 v3, s1
	v_add_co_u32_e32 v4, vcc, s0, v5
	v_addc_co_u32_e32 v6, vcc, 0, v3, vcc
	s_movk_i32 s2, 0x1000
	v_add_co_u32_e32 v3, vcc, s2, v4
	v_addc_co_u32_e32 v4, vcc, 0, v6, vcc
	global_load_dword v10, v5, s[0:1]
	global_load_dword v15, v5, s[0:1] offset:1024
	global_load_dword v16, v5, s[0:1] offset:2048
	;; [unrolled: 1-line block ×3, first 2 shown]
	global_load_dword v18, v[3:4], off
	global_load_dword v19, v[3:4], off offset:1024
	global_load_dword v20, v[3:4], off offset:2048
	;; [unrolled: 1-line block ×3, first 2 shown]
	s_lshr_b32 s28, s33, 16
	s_and_b32 s29, s33, 0xffff
	v_mad_u32_u24 v1, v2, s28, v1
	v_mbcnt_lo_u32_b32 v3, -1, 0
	v_mad_u64_u32 v[1:2], s[28:29], v1, s29, v[0:1]
	v_mbcnt_hi_u32_b32 v3, -1, v3
	v_lshlrev_b32_e32 v5, 5, v0
	v_subrev_co_u32_e64 v12, s[8:9], 1, v3
	v_and_b32_e32 v13, 64, v3
	v_and_b32_e32 v4, 0xc0, v0
	v_lshlrev_b32_e32 v24, 4, v0
	v_lshrrev_b32_e32 v6, 4, v0
	s_mov_b32 s26, s37
	v_and_b32_e32 v5, 0x1800, v5
	v_and_b32_e32 v11, 16, v3
	s_mov_b32 s36, s37
	v_cmp_lt_i32_e32 vcc, v12, v13
	v_mul_u32_u24_e32 v7, 28, v0
	s_mov_b32 s27, s37
	v_add_lshl_u32 v25, v3, v4, 5
	v_and_b32_e32 v8, 15, v3
	v_cmp_lt_u32_e64 s[6:7], 31, v3
	v_or_b32_e32 v4, 63, v4
	v_and_b32_e32 v26, 12, v6
	v_mad_i32_i24 v27, v0, -12, v24
	v_and_b32_e32 v6, 3, v3
	v_lshl_or_b32 v28, v3, 2, v5
	v_cmp_eq_u32_e64 s[18:19], 0, v11
	v_cndmask_b32_e32 v3, v12, v3, vcc
	v_mov_b32_e32 v11, s36
	v_lshrrev_b32_e32 v1, 4, v1
	v_mov_b32_e32 v13, s26
	v_mov_b32_e32 v23, 4
	;; [unrolled: 1-line block ×3, first 2 shown]
	v_cmp_gt_u32_e64 s[0:1], 4, v0
	v_cmp_lt_u32_e64 s[2:3], 63, v0
	v_cmp_eq_u32_e64 s[4:5], 0, v0
	v_cmp_eq_u32_e64 s[10:11], 0, v8
	v_cmp_lt_u32_e64 s[12:13], 1, v8
	v_cmp_lt_u32_e64 s[14:15], 3, v8
	;; [unrolled: 1-line block ×3, first 2 shown]
	v_cmp_eq_u32_e64 s[20:21], v0, v4
	v_cmp_eq_u32_e64 s[22:23], 0, v6
	v_cmp_lt_u32_e64 s[24:25], 1, v6
	v_add_u32_e32 v29, -4, v26
	v_add_u32_e32 v30, v27, v7
	v_mov_b32_e32 v12, s37
	v_lshlrev_b32_e32 v31, 2, v3
	v_and_b32_e32 v32, 0xffffffc, v1
	v_mov_b32_e32 v14, s27
	s_waitcnt vmcnt(7)
	v_add_u32_e32 v5, 1, v10
	s_waitcnt vmcnt(6)
	v_add_u32_e32 v6, 1, v15
	;; [unrolled: 2-line block ×8, first 2 shown]
	s_branch .LBB31_2
.LBB31_1:                               ;   in Loop: Header=BB31_2 Depth=1
	v_lshlrev_b32_e32 v1, 2, v61
	v_lshlrev_b32_e32 v2, 2, v60
	;; [unrolled: 1-line block ×8, first 2 shown]
	s_barrier
	ds_write_b32 v1, v49
	ds_write_b32 v2, v48
	;; [unrolled: 1-line block ×8, first 2 shown]
	s_waitcnt lgkmcnt(0)
	s_barrier
	ds_read2_b64 v[15:18], v30 offset1:1
	ds_read2_b64 v[19:22], v30 offset0:2 offset1:3
	s_waitcnt lgkmcnt(0)
	s_barrier
	ds_write_b32 v1, v43
	ds_write_b32 v2, v42
	;; [unrolled: 1-line block ×8, first 2 shown]
	s_waitcnt lgkmcnt(0)
	s_barrier
	ds_read2_b64 v[5:8], v30 offset1:1
	ds_read2_b64 v[1:4], v30 offset0:2 offset1:3
	s_add_i32 s37, s37, 1
	v_xor_b32_e32 v10, 0x80000000, v15
	v_xor_b32_e32 v15, 0x80000000, v16
	;; [unrolled: 1-line block ×7, first 2 shown]
	s_cmp_eq_u32 s37, 10
	v_xor_b32_e32 v21, 0x80000000, v22
	s_cbranch_scc1 .LBB31_28
.LBB31_2:                               ; =>This Loop Header: Depth=1
                                        ;     Child Loop BB31_4 Depth 2
	v_xor_b32_e32 v33, 0x80000000, v10
	v_xor_b32_e32 v34, 0x80000000, v15
	;; [unrolled: 1-line block ×8, first 2 shown]
	ds_write2_b64 v25, v[33:34], v[15:16] offset1:1
	ds_write2_b64 v25, v[17:18], v[19:20] offset0:2 offset1:3
	; wave barrier
	ds_read2st64_b32 v[15:16], v28 offset1:1
	ds_read2st64_b32 v[17:18], v28 offset0:2 offset1:3
	ds_read2st64_b32 v[19:20], v28 offset0:4 offset1:5
	;; [unrolled: 1-line block ×3, first 2 shown]
	; wave barrier
	s_waitcnt lgkmcnt(7)
	ds_write2_b64 v25, v[5:6], v[7:8] offset1:1
	s_waitcnt lgkmcnt(7)
	ds_write2_b64 v25, v[1:2], v[3:4] offset0:2 offset1:3
	; wave barrier
	ds_read2st64_b32 v[1:2], v28 offset1:1
	ds_read2st64_b32 v[3:4], v28 offset0:2 offset1:3
	ds_read2st64_b32 v[5:6], v28 offset0:4 offset1:5
	;; [unrolled: 1-line block ×3, first 2 shown]
	v_mov_b32_e32 v39, v9
	s_waitcnt lgkmcnt(0)
	s_barrier
	s_branch .LBB31_4
.LBB31_3:                               ;   in Loop: Header=BB31_4 Depth=2
	s_andn2_b64 vcc, exec, s[26:27]
	s_cbranch_vccz .LBB31_1
.LBB31_4:                               ;   Parent Loop BB31_2 Depth=1
                                        ; =>  This Inner Loop Header: Depth=2
	v_mov_b32_e32 v49, v15
	v_mov_b32_e32 v43, v1
	v_lshrrev_b32_e32 v1, v39, v49
	v_mov_b32_e32 v42, v2
	v_and_b32_e32 v2, 1, v1
	v_mov_b32_e32 v37, v4
	v_add_co_u32_e32 v4, vcc, -1, v2
	v_mov_b32_e32 v36, v5
	v_addc_co_u32_e64 v5, s[26:27], 0, -1, vcc
	v_cmp_ne_u32_e32 vcc, 0, v2
	v_lshlrev_b32_e32 v10, 30, v1
	v_xor_b32_e32 v2, vcc_hi, v5
	v_xor_b32_e32 v4, vcc_lo, v4
	v_cmp_gt_i64_e32 vcc, 0, v[9:10]
	v_not_b32_e32 v5, v10
	v_ashrrev_i32_e32 v5, 31, v5
	v_mov_b32_e32 v35, v6
	v_and_b32_e32 v4, exec_lo, v4
	v_xor_b32_e32 v6, vcc_hi, v5
	v_xor_b32_e32 v5, vcc_lo, v5
	v_lshlrev_b32_e32 v10, 29, v1
	v_and_b32_e32 v4, v4, v5
	v_cmp_gt_i64_e32 vcc, 0, v[9:10]
	v_not_b32_e32 v5, v10
	v_and_b32_e32 v2, exec_hi, v2
	v_ashrrev_i32_e32 v5, 31, v5
	v_and_b32_e32 v2, v2, v6
	v_xor_b32_e32 v6, vcc_hi, v5
	v_xor_b32_e32 v5, vcc_lo, v5
	v_lshlrev_b32_e32 v10, 28, v1
	v_and_b32_e32 v4, v4, v5
	v_cmp_gt_i64_e32 vcc, 0, v[9:10]
	v_not_b32_e32 v5, v10
	v_ashrrev_i32_e32 v5, 31, v5
	v_and_b32_e32 v2, v2, v6
	v_xor_b32_e32 v6, vcc_hi, v5
	v_xor_b32_e32 v5, vcc_lo, v5
	v_lshlrev_b32_e32 v10, 27, v1
	v_and_b32_e32 v4, v4, v5
	v_cmp_gt_i64_e32 vcc, 0, v[9:10]
	v_not_b32_e32 v5, v10
	;; [unrolled: 8-line block ×4, first 2 shown]
	v_ashrrev_i32_e32 v5, 31, v5
	v_lshlrev_b32_e32 v10, 24, v1
	v_mov_b32_e32 v40, v3
	v_lshlrev_b32_sdwa v3, v23, v1 dst_sel:DWORD dst_unused:UNUSED_PAD src0_sel:DWORD src1_sel:BYTE_0
	v_and_b32_e32 v2, v2, v6
	v_xor_b32_e32 v6, vcc_hi, v5
	v_xor_b32_e32 v5, vcc_lo, v5
	v_cmp_gt_i64_e32 vcc, 0, v[9:10]
	v_not_b32_e32 v1, v10
	v_ashrrev_i32_e32 v1, 31, v1
	v_and_b32_e32 v4, v4, v5
	v_xor_b32_e32 v5, vcc_hi, v1
	v_xor_b32_e32 v1, vcc_lo, v1
	v_and_b32_e32 v2, v2, v6
	v_and_b32_e32 v1, v4, v1
	;; [unrolled: 1-line block ×3, first 2 shown]
	v_mbcnt_lo_u32_b32 v4, v1, 0
	v_mbcnt_hi_u32_b32 v5, v2, v4
	v_cmp_ne_u64_e32 vcc, 0, v[1:2]
	v_cmp_eq_u32_e64 s[26:27], 0, v5
	v_mov_b32_e32 v38, v22
	v_mov_b32_e32 v41, v21
	;; [unrolled: 1-line block ×9, first 2 shown]
	s_and_b64 s[28:29], vcc, s[26:27]
	v_add_u32_e32 v6, v32, v3
	ds_write2_b64 v24, v[11:12], v[13:14] offset0:2 offset1:3
	s_waitcnt lgkmcnt(0)
	s_barrier
	; wave barrier
	s_and_saveexec_b64 s[26:27], s[28:29]
; %bb.5:                                ;   in Loop: Header=BB31_4 Depth=2
	v_bcnt_u32_b32 v1, v1, 0
	v_bcnt_u32_b32 v1, v2, v1
	ds_write_b32 v6, v1 offset:16
; %bb.6:                                ;   in Loop: Header=BB31_4 Depth=2
	s_or_b64 exec, exec, s[26:27]
	v_lshrrev_b32_e32 v1, v39, v48
	v_lshlrev_b32_sdwa v2, v23, v1 dst_sel:DWORD dst_unused:UNUSED_PAD src0_sel:DWORD src1_sel:BYTE_0
	v_add_u32_e32 v8, v32, v2
	v_and_b32_e32 v2, 1, v1
	v_add_co_u32_e32 v3, vcc, -1, v2
	v_addc_co_u32_e64 v4, s[26:27], 0, -1, vcc
	v_cmp_ne_u32_e32 vcc, 0, v2
	v_lshlrev_b32_e32 v10, 30, v1
	v_xor_b32_e32 v2, vcc_hi, v4
	v_xor_b32_e32 v3, vcc_lo, v3
	v_cmp_gt_i64_e32 vcc, 0, v[9:10]
	v_not_b32_e32 v4, v10
	v_ashrrev_i32_e32 v4, 31, v4
	v_and_b32_e32 v2, exec_hi, v2
	v_xor_b32_e32 v10, vcc_hi, v4
	v_and_b32_e32 v3, exec_lo, v3
	v_xor_b32_e32 v4, vcc_lo, v4
	v_and_b32_e32 v2, v2, v10
	v_lshlrev_b32_e32 v10, 29, v1
	v_and_b32_e32 v3, v3, v4
	v_cmp_gt_i64_e32 vcc, 0, v[9:10]
	v_not_b32_e32 v4, v10
	v_ashrrev_i32_e32 v4, 31, v4
	v_xor_b32_e32 v10, vcc_hi, v4
	v_xor_b32_e32 v4, vcc_lo, v4
	v_and_b32_e32 v2, v2, v10
	v_lshlrev_b32_e32 v10, 28, v1
	v_and_b32_e32 v3, v3, v4
	v_cmp_gt_i64_e32 vcc, 0, v[9:10]
	v_not_b32_e32 v4, v10
	v_ashrrev_i32_e32 v4, 31, v4
	v_xor_b32_e32 v10, vcc_hi, v4
	;; [unrolled: 8-line block ×5, first 2 shown]
	v_and_b32_e32 v2, v2, v10
	v_lshlrev_b32_e32 v10, 24, v1
	v_xor_b32_e32 v4, vcc_lo, v4
	v_cmp_gt_i64_e32 vcc, 0, v[9:10]
	v_not_b32_e32 v1, v10
	v_ashrrev_i32_e32 v1, 31, v1
	v_and_b32_e32 v3, v3, v4
	v_xor_b32_e32 v4, vcc_hi, v1
	v_xor_b32_e32 v1, vcc_lo, v1
	; wave barrier
	ds_read_b32 v7, v8 offset:16
	v_and_b32_e32 v1, v3, v1
	v_and_b32_e32 v2, v2, v4
	v_mbcnt_lo_u32_b32 v3, v1, 0
	v_mbcnt_hi_u32_b32 v15, v2, v3
	v_cmp_ne_u64_e32 vcc, 0, v[1:2]
	v_cmp_eq_u32_e64 s[26:27], 0, v15
	s_and_b64 s[28:29], vcc, s[26:27]
	; wave barrier
	s_and_saveexec_b64 s[26:27], s[28:29]
	s_cbranch_execz .LBB31_8
; %bb.7:                                ;   in Loop: Header=BB31_4 Depth=2
	v_bcnt_u32_b32 v1, v1, 0
	v_bcnt_u32_b32 v1, v2, v1
	s_waitcnt lgkmcnt(0)
	v_add_u32_e32 v1, v7, v1
	ds_write_b32 v8, v1 offset:16
.LBB31_8:                               ;   in Loop: Header=BB31_4 Depth=2
	s_or_b64 exec, exec, s[26:27]
	v_lshrrev_b32_e32 v1, v39, v47
	v_lshlrev_b32_sdwa v2, v23, v1 dst_sel:DWORD dst_unused:UNUSED_PAD src0_sel:DWORD src1_sel:BYTE_0
	v_add_u32_e32 v17, v32, v2
	v_and_b32_e32 v2, 1, v1
	v_add_co_u32_e32 v3, vcc, -1, v2
	v_addc_co_u32_e64 v4, s[26:27], 0, -1, vcc
	v_cmp_ne_u32_e32 vcc, 0, v2
	v_lshlrev_b32_e32 v10, 30, v1
	v_xor_b32_e32 v2, vcc_hi, v4
	v_xor_b32_e32 v3, vcc_lo, v3
	v_cmp_gt_i64_e32 vcc, 0, v[9:10]
	v_not_b32_e32 v4, v10
	v_ashrrev_i32_e32 v4, 31, v4
	v_and_b32_e32 v2, exec_hi, v2
	v_xor_b32_e32 v10, vcc_hi, v4
	v_and_b32_e32 v3, exec_lo, v3
	v_xor_b32_e32 v4, vcc_lo, v4
	v_and_b32_e32 v2, v2, v10
	v_lshlrev_b32_e32 v10, 29, v1
	v_and_b32_e32 v3, v3, v4
	v_cmp_gt_i64_e32 vcc, 0, v[9:10]
	v_not_b32_e32 v4, v10
	v_ashrrev_i32_e32 v4, 31, v4
	v_xor_b32_e32 v10, vcc_hi, v4
	v_xor_b32_e32 v4, vcc_lo, v4
	v_and_b32_e32 v2, v2, v10
	v_lshlrev_b32_e32 v10, 28, v1
	v_and_b32_e32 v3, v3, v4
	v_cmp_gt_i64_e32 vcc, 0, v[9:10]
	v_not_b32_e32 v4, v10
	v_ashrrev_i32_e32 v4, 31, v4
	v_xor_b32_e32 v10, vcc_hi, v4
	;; [unrolled: 8-line block ×5, first 2 shown]
	v_and_b32_e32 v2, v2, v10
	v_lshlrev_b32_e32 v10, 24, v1
	v_xor_b32_e32 v4, vcc_lo, v4
	v_cmp_gt_i64_e32 vcc, 0, v[9:10]
	v_not_b32_e32 v1, v10
	v_ashrrev_i32_e32 v1, 31, v1
	v_and_b32_e32 v3, v3, v4
	v_xor_b32_e32 v4, vcc_hi, v1
	v_xor_b32_e32 v1, vcc_lo, v1
	; wave barrier
	ds_read_b32 v16, v17 offset:16
	v_and_b32_e32 v1, v3, v1
	v_and_b32_e32 v2, v2, v4
	v_mbcnt_lo_u32_b32 v3, v1, 0
	v_mbcnt_hi_u32_b32 v18, v2, v3
	v_cmp_ne_u64_e32 vcc, 0, v[1:2]
	v_cmp_eq_u32_e64 s[26:27], 0, v18
	s_and_b64 s[28:29], vcc, s[26:27]
	; wave barrier
	s_and_saveexec_b64 s[26:27], s[28:29]
	s_cbranch_execz .LBB31_10
; %bb.9:                                ;   in Loop: Header=BB31_4 Depth=2
	v_bcnt_u32_b32 v1, v1, 0
	v_bcnt_u32_b32 v1, v2, v1
	s_waitcnt lgkmcnt(0)
	v_add_u32_e32 v1, v16, v1
	ds_write_b32 v17, v1 offset:16
.LBB31_10:                              ;   in Loop: Header=BB31_4 Depth=2
	s_or_b64 exec, exec, s[26:27]
	v_lshrrev_b32_e32 v1, v39, v46
	v_lshlrev_b32_sdwa v2, v23, v1 dst_sel:DWORD dst_unused:UNUSED_PAD src0_sel:DWORD src1_sel:BYTE_0
	v_add_u32_e32 v20, v32, v2
	v_and_b32_e32 v2, 1, v1
	v_add_co_u32_e32 v3, vcc, -1, v2
	v_addc_co_u32_e64 v4, s[26:27], 0, -1, vcc
	v_cmp_ne_u32_e32 vcc, 0, v2
	v_lshlrev_b32_e32 v10, 30, v1
	v_xor_b32_e32 v2, vcc_hi, v4
	v_xor_b32_e32 v3, vcc_lo, v3
	v_cmp_gt_i64_e32 vcc, 0, v[9:10]
	v_not_b32_e32 v4, v10
	v_ashrrev_i32_e32 v4, 31, v4
	v_and_b32_e32 v2, exec_hi, v2
	v_xor_b32_e32 v10, vcc_hi, v4
	v_and_b32_e32 v3, exec_lo, v3
	v_xor_b32_e32 v4, vcc_lo, v4
	v_and_b32_e32 v2, v2, v10
	v_lshlrev_b32_e32 v10, 29, v1
	v_and_b32_e32 v3, v3, v4
	v_cmp_gt_i64_e32 vcc, 0, v[9:10]
	v_not_b32_e32 v4, v10
	v_ashrrev_i32_e32 v4, 31, v4
	v_xor_b32_e32 v10, vcc_hi, v4
	v_xor_b32_e32 v4, vcc_lo, v4
	v_and_b32_e32 v2, v2, v10
	v_lshlrev_b32_e32 v10, 28, v1
	v_and_b32_e32 v3, v3, v4
	v_cmp_gt_i64_e32 vcc, 0, v[9:10]
	v_not_b32_e32 v4, v10
	v_ashrrev_i32_e32 v4, 31, v4
	v_xor_b32_e32 v10, vcc_hi, v4
	;; [unrolled: 8-line block ×5, first 2 shown]
	v_and_b32_e32 v2, v2, v10
	v_lshlrev_b32_e32 v10, 24, v1
	v_xor_b32_e32 v4, vcc_lo, v4
	v_cmp_gt_i64_e32 vcc, 0, v[9:10]
	v_not_b32_e32 v1, v10
	v_ashrrev_i32_e32 v1, 31, v1
	v_and_b32_e32 v3, v3, v4
	v_xor_b32_e32 v4, vcc_hi, v1
	v_xor_b32_e32 v1, vcc_lo, v1
	; wave barrier
	ds_read_b32 v19, v20 offset:16
	v_and_b32_e32 v1, v3, v1
	v_and_b32_e32 v2, v2, v4
	v_mbcnt_lo_u32_b32 v3, v1, 0
	v_mbcnt_hi_u32_b32 v21, v2, v3
	v_cmp_ne_u64_e32 vcc, 0, v[1:2]
	v_cmp_eq_u32_e64 s[26:27], 0, v21
	s_and_b64 s[28:29], vcc, s[26:27]
	; wave barrier
	s_and_saveexec_b64 s[26:27], s[28:29]
	s_cbranch_execz .LBB31_12
; %bb.11:                               ;   in Loop: Header=BB31_4 Depth=2
	v_bcnt_u32_b32 v1, v1, 0
	v_bcnt_u32_b32 v1, v2, v1
	s_waitcnt lgkmcnt(0)
	v_add_u32_e32 v1, v19, v1
	ds_write_b32 v20, v1 offset:16
.LBB31_12:                              ;   in Loop: Header=BB31_4 Depth=2
	s_or_b64 exec, exec, s[26:27]
	v_lshrrev_b32_e32 v1, v39, v45
	v_lshlrev_b32_sdwa v2, v23, v1 dst_sel:DWORD dst_unused:UNUSED_PAD src0_sel:DWORD src1_sel:BYTE_0
	v_add_u32_e32 v50, v32, v2
	v_and_b32_e32 v2, 1, v1
	v_add_co_u32_e32 v3, vcc, -1, v2
	v_addc_co_u32_e64 v4, s[26:27], 0, -1, vcc
	v_cmp_ne_u32_e32 vcc, 0, v2
	v_lshlrev_b32_e32 v10, 30, v1
	v_xor_b32_e32 v2, vcc_hi, v4
	v_xor_b32_e32 v3, vcc_lo, v3
	v_cmp_gt_i64_e32 vcc, 0, v[9:10]
	v_not_b32_e32 v4, v10
	v_ashrrev_i32_e32 v4, 31, v4
	v_and_b32_e32 v2, exec_hi, v2
	v_xor_b32_e32 v10, vcc_hi, v4
	v_and_b32_e32 v3, exec_lo, v3
	v_xor_b32_e32 v4, vcc_lo, v4
	v_and_b32_e32 v2, v2, v10
	v_lshlrev_b32_e32 v10, 29, v1
	v_and_b32_e32 v3, v3, v4
	v_cmp_gt_i64_e32 vcc, 0, v[9:10]
	v_not_b32_e32 v4, v10
	v_ashrrev_i32_e32 v4, 31, v4
	v_xor_b32_e32 v10, vcc_hi, v4
	v_xor_b32_e32 v4, vcc_lo, v4
	v_and_b32_e32 v2, v2, v10
	v_lshlrev_b32_e32 v10, 28, v1
	v_and_b32_e32 v3, v3, v4
	v_cmp_gt_i64_e32 vcc, 0, v[9:10]
	v_not_b32_e32 v4, v10
	v_ashrrev_i32_e32 v4, 31, v4
	v_xor_b32_e32 v10, vcc_hi, v4
	;; [unrolled: 8-line block ×5, first 2 shown]
	v_and_b32_e32 v2, v2, v10
	v_lshlrev_b32_e32 v10, 24, v1
	v_xor_b32_e32 v4, vcc_lo, v4
	v_cmp_gt_i64_e32 vcc, 0, v[9:10]
	v_not_b32_e32 v1, v10
	v_ashrrev_i32_e32 v1, 31, v1
	v_and_b32_e32 v3, v3, v4
	v_xor_b32_e32 v4, vcc_hi, v1
	v_xor_b32_e32 v1, vcc_lo, v1
	; wave barrier
	ds_read_b32 v22, v50 offset:16
	v_and_b32_e32 v1, v3, v1
	v_and_b32_e32 v2, v2, v4
	v_mbcnt_lo_u32_b32 v3, v1, 0
	v_mbcnt_hi_u32_b32 v51, v2, v3
	v_cmp_ne_u64_e32 vcc, 0, v[1:2]
	v_cmp_eq_u32_e64 s[26:27], 0, v51
	s_and_b64 s[28:29], vcc, s[26:27]
	; wave barrier
	s_and_saveexec_b64 s[26:27], s[28:29]
	s_cbranch_execz .LBB31_14
; %bb.13:                               ;   in Loop: Header=BB31_4 Depth=2
	v_bcnt_u32_b32 v1, v1, 0
	v_bcnt_u32_b32 v1, v2, v1
	s_waitcnt lgkmcnt(0)
	v_add_u32_e32 v1, v22, v1
	ds_write_b32 v50, v1 offset:16
.LBB31_14:                              ;   in Loop: Header=BB31_4 Depth=2
	s_or_b64 exec, exec, s[26:27]
	v_lshrrev_b32_e32 v1, v39, v44
	v_lshlrev_b32_sdwa v2, v23, v1 dst_sel:DWORD dst_unused:UNUSED_PAD src0_sel:DWORD src1_sel:BYTE_0
	v_add_u32_e32 v53, v32, v2
	v_and_b32_e32 v2, 1, v1
	v_add_co_u32_e32 v3, vcc, -1, v2
	v_addc_co_u32_e64 v4, s[26:27], 0, -1, vcc
	v_cmp_ne_u32_e32 vcc, 0, v2
	v_lshlrev_b32_e32 v10, 30, v1
	v_xor_b32_e32 v2, vcc_hi, v4
	v_xor_b32_e32 v3, vcc_lo, v3
	v_cmp_gt_i64_e32 vcc, 0, v[9:10]
	v_not_b32_e32 v4, v10
	v_ashrrev_i32_e32 v4, 31, v4
	v_and_b32_e32 v2, exec_hi, v2
	v_xor_b32_e32 v10, vcc_hi, v4
	v_and_b32_e32 v3, exec_lo, v3
	v_xor_b32_e32 v4, vcc_lo, v4
	v_and_b32_e32 v2, v2, v10
	v_lshlrev_b32_e32 v10, 29, v1
	v_and_b32_e32 v3, v3, v4
	v_cmp_gt_i64_e32 vcc, 0, v[9:10]
	v_not_b32_e32 v4, v10
	v_ashrrev_i32_e32 v4, 31, v4
	v_xor_b32_e32 v10, vcc_hi, v4
	v_xor_b32_e32 v4, vcc_lo, v4
	v_and_b32_e32 v2, v2, v10
	v_lshlrev_b32_e32 v10, 28, v1
	v_and_b32_e32 v3, v3, v4
	v_cmp_gt_i64_e32 vcc, 0, v[9:10]
	v_not_b32_e32 v4, v10
	v_ashrrev_i32_e32 v4, 31, v4
	v_xor_b32_e32 v10, vcc_hi, v4
	;; [unrolled: 8-line block ×5, first 2 shown]
	v_and_b32_e32 v2, v2, v10
	v_lshlrev_b32_e32 v10, 24, v1
	v_xor_b32_e32 v4, vcc_lo, v4
	v_cmp_gt_i64_e32 vcc, 0, v[9:10]
	v_not_b32_e32 v1, v10
	v_ashrrev_i32_e32 v1, 31, v1
	v_and_b32_e32 v3, v3, v4
	v_xor_b32_e32 v4, vcc_hi, v1
	v_xor_b32_e32 v1, vcc_lo, v1
	; wave barrier
	ds_read_b32 v52, v53 offset:16
	v_and_b32_e32 v1, v3, v1
	v_and_b32_e32 v2, v2, v4
	v_mbcnt_lo_u32_b32 v3, v1, 0
	v_mbcnt_hi_u32_b32 v54, v2, v3
	v_cmp_ne_u64_e32 vcc, 0, v[1:2]
	v_cmp_eq_u32_e64 s[26:27], 0, v54
	s_and_b64 s[28:29], vcc, s[26:27]
	; wave barrier
	s_and_saveexec_b64 s[26:27], s[28:29]
	s_cbranch_execz .LBB31_16
; %bb.15:                               ;   in Loop: Header=BB31_4 Depth=2
	v_bcnt_u32_b32 v1, v1, 0
	v_bcnt_u32_b32 v1, v2, v1
	s_waitcnt lgkmcnt(0)
	v_add_u32_e32 v1, v52, v1
	ds_write_b32 v53, v1 offset:16
.LBB31_16:                              ;   in Loop: Header=BB31_4 Depth=2
	s_or_b64 exec, exec, s[26:27]
	v_lshrrev_b32_e32 v1, v39, v41
	v_lshlrev_b32_sdwa v2, v23, v1 dst_sel:DWORD dst_unused:UNUSED_PAD src0_sel:DWORD src1_sel:BYTE_0
	v_add_u32_e32 v56, v32, v2
	v_and_b32_e32 v2, 1, v1
	v_add_co_u32_e32 v3, vcc, -1, v2
	v_addc_co_u32_e64 v4, s[26:27], 0, -1, vcc
	v_cmp_ne_u32_e32 vcc, 0, v2
	v_lshlrev_b32_e32 v10, 30, v1
	v_xor_b32_e32 v2, vcc_hi, v4
	v_xor_b32_e32 v3, vcc_lo, v3
	v_cmp_gt_i64_e32 vcc, 0, v[9:10]
	v_not_b32_e32 v4, v10
	v_ashrrev_i32_e32 v4, 31, v4
	v_and_b32_e32 v2, exec_hi, v2
	v_xor_b32_e32 v10, vcc_hi, v4
	v_and_b32_e32 v3, exec_lo, v3
	v_xor_b32_e32 v4, vcc_lo, v4
	v_and_b32_e32 v2, v2, v10
	v_lshlrev_b32_e32 v10, 29, v1
	v_and_b32_e32 v3, v3, v4
	v_cmp_gt_i64_e32 vcc, 0, v[9:10]
	v_not_b32_e32 v4, v10
	v_ashrrev_i32_e32 v4, 31, v4
	v_xor_b32_e32 v10, vcc_hi, v4
	v_xor_b32_e32 v4, vcc_lo, v4
	v_and_b32_e32 v2, v2, v10
	v_lshlrev_b32_e32 v10, 28, v1
	v_and_b32_e32 v3, v3, v4
	v_cmp_gt_i64_e32 vcc, 0, v[9:10]
	v_not_b32_e32 v4, v10
	v_ashrrev_i32_e32 v4, 31, v4
	v_xor_b32_e32 v10, vcc_hi, v4
	;; [unrolled: 8-line block ×5, first 2 shown]
	v_and_b32_e32 v2, v2, v10
	v_lshlrev_b32_e32 v10, 24, v1
	v_xor_b32_e32 v4, vcc_lo, v4
	v_cmp_gt_i64_e32 vcc, 0, v[9:10]
	v_not_b32_e32 v1, v10
	v_ashrrev_i32_e32 v1, 31, v1
	v_and_b32_e32 v3, v3, v4
	v_xor_b32_e32 v4, vcc_hi, v1
	v_xor_b32_e32 v1, vcc_lo, v1
	; wave barrier
	ds_read_b32 v55, v56 offset:16
	v_and_b32_e32 v1, v3, v1
	v_and_b32_e32 v2, v2, v4
	v_mbcnt_lo_u32_b32 v3, v1, 0
	v_mbcnt_hi_u32_b32 v57, v2, v3
	v_cmp_ne_u64_e32 vcc, 0, v[1:2]
	v_cmp_eq_u32_e64 s[26:27], 0, v57
	s_and_b64 s[28:29], vcc, s[26:27]
	; wave barrier
	s_and_saveexec_b64 s[26:27], s[28:29]
	s_cbranch_execz .LBB31_18
; %bb.17:                               ;   in Loop: Header=BB31_4 Depth=2
	v_bcnt_u32_b32 v1, v1, 0
	v_bcnt_u32_b32 v1, v2, v1
	s_waitcnt lgkmcnt(0)
	v_add_u32_e32 v1, v55, v1
	ds_write_b32 v56, v1 offset:16
.LBB31_18:                              ;   in Loop: Header=BB31_4 Depth=2
	s_or_b64 exec, exec, s[26:27]
	v_lshrrev_b32_e32 v1, v39, v38
	v_lshlrev_b32_sdwa v2, v23, v1 dst_sel:DWORD dst_unused:UNUSED_PAD src0_sel:DWORD src1_sel:BYTE_0
	v_add_u32_e32 v59, v32, v2
	v_and_b32_e32 v2, 1, v1
	v_add_co_u32_e32 v3, vcc, -1, v2
	v_addc_co_u32_e64 v4, s[26:27], 0, -1, vcc
	v_cmp_ne_u32_e32 vcc, 0, v2
	v_lshlrev_b32_e32 v10, 30, v1
	v_xor_b32_e32 v2, vcc_hi, v4
	v_xor_b32_e32 v3, vcc_lo, v3
	v_cmp_gt_i64_e32 vcc, 0, v[9:10]
	v_not_b32_e32 v4, v10
	v_ashrrev_i32_e32 v4, 31, v4
	v_and_b32_e32 v2, exec_hi, v2
	v_xor_b32_e32 v10, vcc_hi, v4
	v_and_b32_e32 v3, exec_lo, v3
	v_xor_b32_e32 v4, vcc_lo, v4
	v_and_b32_e32 v2, v2, v10
	v_lshlrev_b32_e32 v10, 29, v1
	v_and_b32_e32 v3, v3, v4
	v_cmp_gt_i64_e32 vcc, 0, v[9:10]
	v_not_b32_e32 v4, v10
	v_ashrrev_i32_e32 v4, 31, v4
	v_xor_b32_e32 v10, vcc_hi, v4
	v_xor_b32_e32 v4, vcc_lo, v4
	v_and_b32_e32 v2, v2, v10
	v_lshlrev_b32_e32 v10, 28, v1
	v_and_b32_e32 v3, v3, v4
	v_cmp_gt_i64_e32 vcc, 0, v[9:10]
	v_not_b32_e32 v4, v10
	v_ashrrev_i32_e32 v4, 31, v4
	v_xor_b32_e32 v10, vcc_hi, v4
	;; [unrolled: 8-line block ×5, first 2 shown]
	v_and_b32_e32 v2, v2, v10
	v_lshlrev_b32_e32 v10, 24, v1
	v_xor_b32_e32 v4, vcc_lo, v4
	v_cmp_gt_i64_e32 vcc, 0, v[9:10]
	v_not_b32_e32 v1, v10
	v_ashrrev_i32_e32 v1, 31, v1
	v_and_b32_e32 v3, v3, v4
	v_xor_b32_e32 v4, vcc_hi, v1
	v_xor_b32_e32 v1, vcc_lo, v1
	; wave barrier
	ds_read_b32 v58, v59 offset:16
	v_and_b32_e32 v1, v3, v1
	v_and_b32_e32 v2, v2, v4
	v_mbcnt_lo_u32_b32 v3, v1, 0
	v_mbcnt_hi_u32_b32 v10, v2, v3
	v_cmp_ne_u64_e32 vcc, 0, v[1:2]
	v_cmp_eq_u32_e64 s[26:27], 0, v10
	s_and_b64 s[28:29], vcc, s[26:27]
	; wave barrier
	s_and_saveexec_b64 s[26:27], s[28:29]
	s_cbranch_execz .LBB31_20
; %bb.19:                               ;   in Loop: Header=BB31_4 Depth=2
	v_bcnt_u32_b32 v1, v1, 0
	v_bcnt_u32_b32 v1, v2, v1
	s_waitcnt lgkmcnt(0)
	v_add_u32_e32 v1, v58, v1
	ds_write_b32 v59, v1 offset:16
.LBB31_20:                              ;   in Loop: Header=BB31_4 Depth=2
	s_or_b64 exec, exec, s[26:27]
	; wave barrier
	s_waitcnt lgkmcnt(0)
	s_barrier
	ds_read2_b64 v[1:4], v24 offset0:2 offset1:3
	s_waitcnt lgkmcnt(0)
	v_add_u32_e32 v60, v2, v1
	v_add3_u32 v4, v60, v3, v4
	s_nop 1
	v_mov_b32_dpp v60, v4 row_shr:1 row_mask:0xf bank_mask:0xf
	v_cndmask_b32_e64 v60, v60, 0, s[10:11]
	v_add_u32_e32 v4, v60, v4
	s_nop 1
	v_mov_b32_dpp v60, v4 row_shr:2 row_mask:0xf bank_mask:0xf
	v_cndmask_b32_e64 v60, 0, v60, s[12:13]
	v_add_u32_e32 v4, v4, v60
	;; [unrolled: 4-line block ×4, first 2 shown]
	s_nop 1
	v_mov_b32_dpp v60, v4 row_bcast:15 row_mask:0xf bank_mask:0xf
	v_cndmask_b32_e64 v60, v60, 0, s[18:19]
	v_add_u32_e32 v4, v4, v60
	s_nop 1
	v_mov_b32_dpp v60, v4 row_bcast:31 row_mask:0xf bank_mask:0xf
	v_cndmask_b32_e64 v60, 0, v60, s[6:7]
	v_add_u32_e32 v4, v4, v60
	s_and_saveexec_b64 s[26:27], s[20:21]
; %bb.21:                               ;   in Loop: Header=BB31_4 Depth=2
	ds_write_b32 v26, v4
; %bb.22:                               ;   in Loop: Header=BB31_4 Depth=2
	s_or_b64 exec, exec, s[26:27]
	s_waitcnt lgkmcnt(0)
	s_barrier
	s_and_saveexec_b64 s[26:27], s[0:1]
	s_cbranch_execz .LBB31_24
; %bb.23:                               ;   in Loop: Header=BB31_4 Depth=2
	ds_read_b32 v60, v27
	s_waitcnt lgkmcnt(0)
	s_nop 0
	v_mov_b32_dpp v61, v60 row_shr:1 row_mask:0xf bank_mask:0xf
	v_cndmask_b32_e64 v61, v61, 0, s[22:23]
	v_add_u32_e32 v60, v61, v60
	s_nop 1
	v_mov_b32_dpp v61, v60 row_shr:2 row_mask:0xf bank_mask:0xf
	v_cndmask_b32_e64 v61, 0, v61, s[24:25]
	v_add_u32_e32 v60, v60, v61
	ds_write_b32 v27, v60
.LBB31_24:                              ;   in Loop: Header=BB31_4 Depth=2
	s_or_b64 exec, exec, s[26:27]
	v_mov_b32_e32 v60, 0
	s_waitcnt lgkmcnt(0)
	s_barrier
	s_and_saveexec_b64 s[26:27], s[2:3]
; %bb.25:                               ;   in Loop: Header=BB31_4 Depth=2
	ds_read_b32 v60, v29
; %bb.26:                               ;   in Loop: Header=BB31_4 Depth=2
	s_or_b64 exec, exec, s[26:27]
	s_waitcnt lgkmcnt(0)
	v_add_u32_e32 v4, v60, v4
	ds_bpermute_b32 v4, v31, v4
	v_cmp_lt_u32_e32 vcc, 23, v39
	s_and_b64 vcc, exec, vcc
	s_mov_b64 s[26:27], -1
	s_waitcnt lgkmcnt(0)
	v_cndmask_b32_e64 v4, v4, v60, s[8:9]
	v_cndmask_b32_e64 v60, v4, 0, s[4:5]
	v_add_u32_e32 v61, v60, v1
	v_add_u32_e32 v1, v61, v2
	;; [unrolled: 1-line block ×3, first 2 shown]
	ds_write2_b64 v24, v[60:61], v[1:2] offset0:2 offset1:3
	s_waitcnt lgkmcnt(0)
	s_barrier
	ds_read_b32 v1, v6 offset:16
	ds_read_b32 v2, v8 offset:16
	;; [unrolled: 1-line block ×8, first 2 shown]
	s_waitcnt lgkmcnt(7)
	v_add_u32_e32 v61, v1, v5
	s_waitcnt lgkmcnt(6)
	v_add3_u32 v60, v15, v7, v2
	s_waitcnt lgkmcnt(5)
	v_add3_u32 v59, v18, v16, v3
	;; [unrolled: 2-line block ×7, first 2 shown]
                                        ; implicit-def: $vgpr22
                                        ; implicit-def: $vgpr20
                                        ; implicit-def: $vgpr18
                                        ; implicit-def: $vgpr16
                                        ; implicit-def: $vgpr8
                                        ; implicit-def: $vgpr6
                                        ; implicit-def: $vgpr4
                                        ; implicit-def: $vgpr2
	s_cbranch_vccnz .LBB31_3
; %bb.27:                               ;   in Loop: Header=BB31_4 Depth=2
	v_lshlrev_b32_e32 v1, 2, v61
	v_lshlrev_b32_e32 v2, 2, v60
	;; [unrolled: 1-line block ×8, first 2 shown]
	s_barrier
	ds_write_b32 v1, v49
	ds_write_b32 v2, v48
	;; [unrolled: 1-line block ×8, first 2 shown]
	s_waitcnt lgkmcnt(0)
	s_barrier
	ds_read2st64_b32 v[15:16], v28 offset1:1
	ds_read2st64_b32 v[17:18], v28 offset0:2 offset1:3
	ds_read2st64_b32 v[19:20], v28 offset0:4 offset1:5
	;; [unrolled: 1-line block ×3, first 2 shown]
	s_waitcnt lgkmcnt(0)
	s_barrier
	ds_write_b32 v1, v43
	ds_write_b32 v2, v42
	;; [unrolled: 1-line block ×8, first 2 shown]
	s_waitcnt lgkmcnt(0)
	s_barrier
	ds_read2st64_b32 v[1:2], v28 offset1:1
	ds_read2st64_b32 v[3:4], v28 offset0:2 offset1:3
	ds_read2st64_b32 v[5:6], v28 offset0:4 offset1:5
	;; [unrolled: 1-line block ×3, first 2 shown]
	v_add_u32_e32 v39, 8, v39
	s_mov_b64 s[26:27], 0
	s_waitcnt lgkmcnt(0)
	s_barrier
	s_branch .LBB31_3
.LBB31_28:
	s_add_u32 s0, s30, s34
	s_addc_u32 s1, s31, s35
	v_lshlrev_b32_e32 v0, 2, v0
	s_waitcnt lgkmcnt(1)
	v_add_u32_e32 v5, v10, v5
	s_waitcnt lgkmcnt(0)
	v_add_u32_e32 v9, v18, v1
	v_mov_b32_e32 v1, s1
	v_add_co_u32_e32 v10, vcc, s0, v0
	v_addc_co_u32_e32 v1, vcc, 0, v1, vcc
	v_add_u32_e32 v6, v15, v6
	v_add_u32_e32 v7, v16, v7
	;; [unrolled: 1-line block ×3, first 2 shown]
	global_store_dword v0, v5, s[0:1]
	global_store_dword v0, v6, s[0:1] offset:1024
	global_store_dword v0, v7, s[0:1] offset:2048
	;; [unrolled: 1-line block ×3, first 2 shown]
	v_add_co_u32_e32 v0, vcc, 0x1000, v10
	v_addc_co_u32_e32 v1, vcc, 0, v1, vcc
	v_add_u32_e32 v2, v19, v2
	v_add_u32_e32 v3, v20, v3
	v_add_u32_e32 v4, v21, v4
	global_store_dword v[0:1], v9, off
	global_store_dword v[0:1], v2, off offset:1024
	global_store_dword v[0:1], v3, off offset:2048
	;; [unrolled: 1-line block ×3, first 2 shown]
	s_endpgm
	.section	.rodata,"a",@progbits
	.p2align	6, 0x0
	.amdhsa_kernel _Z17sort_pairs_kernelI22helper_blocked_blockediLj256ELj8ELj10EEvPKT0_PS1_
		.amdhsa_group_segment_fixed_size 8192
		.amdhsa_private_segment_fixed_size 0
		.amdhsa_kernarg_size 272
		.amdhsa_user_sgpr_count 6
		.amdhsa_user_sgpr_private_segment_buffer 1
		.amdhsa_user_sgpr_dispatch_ptr 0
		.amdhsa_user_sgpr_queue_ptr 0
		.amdhsa_user_sgpr_kernarg_segment_ptr 1
		.amdhsa_user_sgpr_dispatch_id 0
		.amdhsa_user_sgpr_flat_scratch_init 0
		.amdhsa_user_sgpr_private_segment_size 0
		.amdhsa_uses_dynamic_stack 0
		.amdhsa_system_sgpr_private_segment_wavefront_offset 0
		.amdhsa_system_sgpr_workgroup_id_x 1
		.amdhsa_system_sgpr_workgroup_id_y 0
		.amdhsa_system_sgpr_workgroup_id_z 0
		.amdhsa_system_sgpr_workgroup_info 0
		.amdhsa_system_vgpr_workitem_id 2
		.amdhsa_next_free_vgpr 62
		.amdhsa_next_free_sgpr 61
		.amdhsa_reserve_vcc 1
		.amdhsa_reserve_flat_scratch 0
		.amdhsa_float_round_mode_32 0
		.amdhsa_float_round_mode_16_64 0
		.amdhsa_float_denorm_mode_32 3
		.amdhsa_float_denorm_mode_16_64 3
		.amdhsa_dx10_clamp 1
		.amdhsa_ieee_mode 1
		.amdhsa_fp16_overflow 0
		.amdhsa_exception_fp_ieee_invalid_op 0
		.amdhsa_exception_fp_denorm_src 0
		.amdhsa_exception_fp_ieee_div_zero 0
		.amdhsa_exception_fp_ieee_overflow 0
		.amdhsa_exception_fp_ieee_underflow 0
		.amdhsa_exception_fp_ieee_inexact 0
		.amdhsa_exception_int_div_zero 0
	.end_amdhsa_kernel
	.section	.text._Z17sort_pairs_kernelI22helper_blocked_blockediLj256ELj8ELj10EEvPKT0_PS1_,"axG",@progbits,_Z17sort_pairs_kernelI22helper_blocked_blockediLj256ELj8ELj10EEvPKT0_PS1_,comdat
.Lfunc_end31:
	.size	_Z17sort_pairs_kernelI22helper_blocked_blockediLj256ELj8ELj10EEvPKT0_PS1_, .Lfunc_end31-_Z17sort_pairs_kernelI22helper_blocked_blockediLj256ELj8ELj10EEvPKT0_PS1_
                                        ; -- End function
	.set _Z17sort_pairs_kernelI22helper_blocked_blockediLj256ELj8ELj10EEvPKT0_PS1_.num_vgpr, 62
	.set _Z17sort_pairs_kernelI22helper_blocked_blockediLj256ELj8ELj10EEvPKT0_PS1_.num_agpr, 0
	.set _Z17sort_pairs_kernelI22helper_blocked_blockediLj256ELj8ELj10EEvPKT0_PS1_.numbered_sgpr, 38
	.set _Z17sort_pairs_kernelI22helper_blocked_blockediLj256ELj8ELj10EEvPKT0_PS1_.num_named_barrier, 0
	.set _Z17sort_pairs_kernelI22helper_blocked_blockediLj256ELj8ELj10EEvPKT0_PS1_.private_seg_size, 0
	.set _Z17sort_pairs_kernelI22helper_blocked_blockediLj256ELj8ELj10EEvPKT0_PS1_.uses_vcc, 1
	.set _Z17sort_pairs_kernelI22helper_blocked_blockediLj256ELj8ELj10EEvPKT0_PS1_.uses_flat_scratch, 0
	.set _Z17sort_pairs_kernelI22helper_blocked_blockediLj256ELj8ELj10EEvPKT0_PS1_.has_dyn_sized_stack, 0
	.set _Z17sort_pairs_kernelI22helper_blocked_blockediLj256ELj8ELj10EEvPKT0_PS1_.has_recursion, 0
	.set _Z17sort_pairs_kernelI22helper_blocked_blockediLj256ELj8ELj10EEvPKT0_PS1_.has_indirect_call, 0
	.section	.AMDGPU.csdata,"",@progbits
; Kernel info:
; codeLenInByte = 4884
; TotalNumSgprs: 42
; NumVgprs: 62
; ScratchSize: 0
; MemoryBound: 0
; FloatMode: 240
; IeeeMode: 1
; LDSByteSize: 8192 bytes/workgroup (compile time only)
; SGPRBlocks: 8
; VGPRBlocks: 15
; NumSGPRsForWavesPerEU: 65
; NumVGPRsForWavesPerEU: 62
; Occupancy: 4
; WaveLimiterHint : 1
; COMPUTE_PGM_RSRC2:SCRATCH_EN: 0
; COMPUTE_PGM_RSRC2:USER_SGPR: 6
; COMPUTE_PGM_RSRC2:TRAP_HANDLER: 0
; COMPUTE_PGM_RSRC2:TGID_X_EN: 1
; COMPUTE_PGM_RSRC2:TGID_Y_EN: 0
; COMPUTE_PGM_RSRC2:TGID_Z_EN: 0
; COMPUTE_PGM_RSRC2:TIDIG_COMP_CNT: 2
	.section	.text._Z16sort_keys_kernelI22helper_blocked_blockediLj320ELj1ELj10EEvPKT0_PS1_,"axG",@progbits,_Z16sort_keys_kernelI22helper_blocked_blockediLj320ELj1ELj10EEvPKT0_PS1_,comdat
	.protected	_Z16sort_keys_kernelI22helper_blocked_blockediLj320ELj1ELj10EEvPKT0_PS1_ ; -- Begin function _Z16sort_keys_kernelI22helper_blocked_blockediLj320ELj1ELj10EEvPKT0_PS1_
	.globl	_Z16sort_keys_kernelI22helper_blocked_blockediLj320ELj1ELj10EEvPKT0_PS1_
	.p2align	8
	.type	_Z16sort_keys_kernelI22helper_blocked_blockediLj320ELj1ELj10EEvPKT0_PS1_,@function
_Z16sort_keys_kernelI22helper_blocked_blockediLj320ELj1ELj10EEvPKT0_PS1_: ; @_Z16sort_keys_kernelI22helper_blocked_blockediLj320ELj1ELj10EEvPKT0_PS1_
; %bb.0:
	s_load_dwordx4 s[28:31], s[4:5], 0x0
	s_load_dword s26, s[4:5], 0x1c
	s_mul_i32 s0, s6, 0x140
	s_mov_b32 s1, 0
	s_lshl_b64 s[34:35], s[0:1], 2
	s_waitcnt lgkmcnt(0)
	s_add_u32 s0, s28, s34
	s_addc_u32 s1, s29, s35
	v_lshlrev_b32_e32 v3, 2, v0
	global_load_dword v4, v3, s[0:1]
	v_mbcnt_lo_u32_b32 v5, -1, 0
	v_mbcnt_hi_u32_b32 v5, -1, v5
	v_subrev_co_u32_e64 v20, s[6:7], 1, v5
	v_and_b32_e32 v21, 64, v5
	v_cmp_lt_i32_e64 s[24:25], v20, v21
	v_cndmask_b32_e64 v20, v20, v5, s[24:25]
	s_lshr_b32 s24, s26, 16
	s_and_b32 s25, s26, 0xffff
	v_mad_u32_u24 v1, v2, s24, v1
	v_mad_u64_u32 v[1:2], s[24:25], v1, s25, v[0:1]
	v_and_b32_e32 v15, 0x1c0, v0
	v_and_b32_e32 v19, 16, v5
	v_lshlrev_b32_e32 v14, 4, v0
	v_lshrrev_b32_e32 v16, 4, v0
	v_mul_i32_i24_e32 v17, -12, v0
	v_and_b32_e32 v18, 15, v5
	v_cmp_eq_u32_e64 s[16:17], 0, v19
	v_lshlrev_b32_e32 v19, 2, v15
	v_min_u32_e32 v22, 0x100, v15
	v_cmp_lt_u32_e64 s[4:5], 31, v5
	v_cmp_eq_u32_e64 s[8:9], 0, v18
	v_cmp_lt_u32_e64 s[10:11], 1, v18
	v_cmp_lt_u32_e64 s[12:13], 3, v18
	;; [unrolled: 1-line block ×3, first 2 shown]
	v_and_b32_e32 v18, 7, v5
	v_and_b32_e32 v15, 28, v16
	v_add_u32_e32 v16, v14, v17
	v_lshl_add_u32 v17, v5, 2, v19
	v_or_b32_e32 v5, 63, v22
	v_lshrrev_b32_e32 v1, 4, v1
	v_mov_b32_e32 v3, 0
	s_mov_b32 s33, 10
	s_movk_i32 s36, 0xff
	v_mov_b32_e32 v6, 20
	v_mov_b32_e32 v7, 1
	;; [unrolled: 1-line block ×8, first 2 shown]
	v_cmp_gt_u32_e32 vcc, 5, v0
	v_cmp_lt_u32_e64 s[0:1], 63, v0
	v_cmp_eq_u32_e64 s[2:3], 0, v0
	v_cmp_eq_u32_e64 s[18:19], 0, v18
	v_cmp_lt_u32_e64 s[20:21], 1, v18
	v_cmp_lt_u32_e64 s[22:23], 3, v18
	v_add_u32_e32 v18, -4, v15
	v_cmp_eq_u32_e64 s[24:25], v0, v5
	v_lshlrev_b32_e32 v19, 2, v20
	v_and_b32_e32 v20, 0xffffffc, v1
	v_mov_b32_e32 v21, 24
	s_waitcnt vmcnt(0)
	v_xor_b32_e32 v22, 0x80000000, v4
	s_branch .LBB32_2
.LBB32_1:                               ;   in Loop: Header=BB32_2 Depth=1
	s_or_b64 exec, exec, s[26:27]
	s_waitcnt lgkmcnt(0)
	v_add_u32_e32 v2, v25, v2
	ds_bpermute_b32 v2, v19, v2
	s_add_i32 s33, s33, -1
	s_cmp_eq_u32 s33, 0
	s_waitcnt lgkmcnt(0)
	v_cndmask_b32_e64 v2, v2, v25, s[6:7]
	v_cndmask_b32_e64 v2, v2, 0, s[2:3]
	v_add_u32_e32 v4, v2, v4
	v_add_u32_e32 v5, v4, v5
	;; [unrolled: 1-line block ×3, first 2 shown]
	ds_write2_b32 v14, v2, v4 offset0:5 offset1:6
	ds_write2_b32 v14, v5, v1 offset0:7 offset1:8
	s_waitcnt lgkmcnt(0)
	s_barrier
	ds_read_b32 v1, v24 offset:20
	v_lshlrev_b32_e32 v2, 2, v23
	s_waitcnt lgkmcnt(0)
	s_barrier
	v_lshl_add_u32 v1, v1, 2, v2
	ds_write_b32 v1, v22
	s_waitcnt lgkmcnt(0)
	s_barrier
	ds_read_b32 v22, v16
	s_cbranch_scc1 .LBB32_34
.LBB32_2:                               ; =>This Inner Loop Header: Depth=1
	s_waitcnt lgkmcnt(0)
	v_and_b32_e32 v1, 1, v22
	v_add_co_u32_e64 v2, s[26:27], -1, v1
	v_addc_co_u32_e64 v4, s[26:27], 0, -1, s[26:27]
	v_cmp_ne_u32_e64 s[26:27], 0, v1
	v_xor_b32_e32 v1, s27, v4
	v_lshlrev_b32_e32 v4, 30, v22
	v_xor_b32_e32 v2, s26, v2
	v_cmp_gt_i64_e64 s[26:27], 0, v[3:4]
	v_not_b32_e32 v4, v4
	v_ashrrev_i32_e32 v4, 31, v4
	v_and_b32_e32 v2, exec_lo, v2
	v_xor_b32_e32 v23, s27, v4
	v_xor_b32_e32 v4, s26, v4
	v_and_b32_e32 v2, v2, v4
	v_lshlrev_b32_e32 v4, 29, v22
	v_cmp_gt_i64_e64 s[26:27], 0, v[3:4]
	v_not_b32_e32 v4, v4
	v_and_b32_e32 v1, exec_hi, v1
	v_ashrrev_i32_e32 v4, 31, v4
	v_and_b32_e32 v1, v1, v23
	v_xor_b32_e32 v23, s27, v4
	v_xor_b32_e32 v4, s26, v4
	v_and_b32_e32 v2, v2, v4
	v_lshlrev_b32_e32 v4, 28, v22
	v_cmp_gt_i64_e64 s[26:27], 0, v[3:4]
	v_not_b32_e32 v4, v4
	v_ashrrev_i32_e32 v4, 31, v4
	v_and_b32_e32 v1, v1, v23
	v_xor_b32_e32 v23, s27, v4
	v_xor_b32_e32 v4, s26, v4
	v_and_b32_e32 v2, v2, v4
	v_lshlrev_b32_e32 v4, 27, v22
	v_cmp_gt_i64_e64 s[26:27], 0, v[3:4]
	v_not_b32_e32 v4, v4
	;; [unrolled: 8-line block ×4, first 2 shown]
	v_ashrrev_i32_e32 v4, 31, v4
	v_and_b32_e32 v1, v1, v23
	v_xor_b32_e32 v23, s27, v4
	v_xor_b32_e32 v4, s26, v4
	v_and_b32_e32 v1, v1, v23
	v_and_b32_e32 v23, v2, v4
	v_lshlrev_b32_e32 v4, 24, v22
	v_cmp_gt_i64_e64 s[26:27], 0, v[3:4]
	v_not_b32_e32 v2, v4
	v_ashrrev_i32_e32 v2, 31, v2
	v_xor_b32_e32 v4, s27, v2
	v_xor_b32_e32 v24, s26, v2
	v_and_b32_e32 v2, v1, v4
	v_and_b32_e32 v1, v23, v24
	v_mbcnt_lo_u32_b32 v4, v1, 0
	v_mbcnt_hi_u32_b32 v23, v2, v4
	v_cmp_ne_u64_e64 s[26:27], 0, v[1:2]
	v_mul_u32_u24_sdwa v5, v22, v6 dst_sel:DWORD dst_unused:UNUSED_PAD src0_sel:BYTE_0 src1_sel:DWORD
	v_cmp_eq_u32_e64 s[28:29], 0, v23
	s_and_b64 s[28:29], s[26:27], s[28:29]
	v_add_u32_e32 v24, v20, v5
	ds_write2_b32 v14, v3, v3 offset0:5 offset1:6
	ds_write2_b32 v14, v3, v3 offset0:7 offset1:8
	s_waitcnt lgkmcnt(0)
	s_barrier
	; wave barrier
	s_and_saveexec_b64 s[26:27], s[28:29]
; %bb.3:                                ;   in Loop: Header=BB32_2 Depth=1
	v_bcnt_u32_b32 v1, v1, 0
	v_bcnt_u32_b32 v1, v2, v1
	ds_write_b32 v24, v1 offset:20
; %bb.4:                                ;   in Loop: Header=BB32_2 Depth=1
	s_or_b64 exec, exec, s[26:27]
	; wave barrier
	s_waitcnt lgkmcnt(0)
	s_barrier
	ds_read2_b32 v[4:5], v14 offset0:5 offset1:6
	ds_read2_b32 v[1:2], v14 offset0:7 offset1:8
	s_waitcnt lgkmcnt(1)
	v_add_u32_e32 v25, v5, v4
	s_waitcnt lgkmcnt(0)
	v_add3_u32 v2, v25, v1, v2
	s_nop 1
	v_mov_b32_dpp v25, v2 row_shr:1 row_mask:0xf bank_mask:0xf
	v_cndmask_b32_e64 v25, v25, 0, s[8:9]
	v_add_u32_e32 v2, v25, v2
	s_nop 1
	v_mov_b32_dpp v25, v2 row_shr:2 row_mask:0xf bank_mask:0xf
	v_cndmask_b32_e64 v25, 0, v25, s[10:11]
	v_add_u32_e32 v2, v2, v25
	;; [unrolled: 4-line block ×4, first 2 shown]
	s_nop 1
	v_mov_b32_dpp v25, v2 row_bcast:15 row_mask:0xf bank_mask:0xf
	v_cndmask_b32_e64 v25, v25, 0, s[16:17]
	v_add_u32_e32 v2, v2, v25
	s_nop 1
	v_mov_b32_dpp v25, v2 row_bcast:31 row_mask:0xf bank_mask:0xf
	v_cndmask_b32_e64 v25, 0, v25, s[4:5]
	v_add_u32_e32 v2, v2, v25
	s_and_saveexec_b64 s[26:27], s[24:25]
; %bb.5:                                ;   in Loop: Header=BB32_2 Depth=1
	ds_write_b32 v15, v2
; %bb.6:                                ;   in Loop: Header=BB32_2 Depth=1
	s_or_b64 exec, exec, s[26:27]
	s_waitcnt lgkmcnt(0)
	s_barrier
	s_and_saveexec_b64 s[26:27], vcc
	s_cbranch_execz .LBB32_8
; %bb.7:                                ;   in Loop: Header=BB32_2 Depth=1
	ds_read_b32 v25, v16
	s_waitcnt lgkmcnt(0)
	s_nop 0
	v_mov_b32_dpp v26, v25 row_shr:1 row_mask:0xf bank_mask:0xf
	v_cndmask_b32_e64 v26, v26, 0, s[18:19]
	v_add_u32_e32 v25, v26, v25
	s_nop 1
	v_mov_b32_dpp v26, v25 row_shr:2 row_mask:0xf bank_mask:0xf
	v_cndmask_b32_e64 v26, 0, v26, s[20:21]
	v_add_u32_e32 v25, v25, v26
	;; [unrolled: 4-line block ×3, first 2 shown]
	ds_write_b32 v16, v25
.LBB32_8:                               ;   in Loop: Header=BB32_2 Depth=1
	s_or_b64 exec, exec, s[26:27]
	v_mov_b32_e32 v25, 0
	s_waitcnt lgkmcnt(0)
	s_barrier
	s_and_saveexec_b64 s[26:27], s[0:1]
; %bb.9:                                ;   in Loop: Header=BB32_2 Depth=1
	ds_read_b32 v25, v18
; %bb.10:                               ;   in Loop: Header=BB32_2 Depth=1
	s_or_b64 exec, exec, s[26:27]
	s_waitcnt lgkmcnt(0)
	v_add_u32_e32 v2, v25, v2
	ds_bpermute_b32 v2, v19, v2
	s_waitcnt lgkmcnt(0)
	v_cndmask_b32_e64 v2, v2, v25, s[6:7]
	v_cndmask_b32_e64 v2, v2, 0, s[2:3]
	v_add_u32_e32 v4, v2, v4
	v_add_u32_e32 v5, v4, v5
	;; [unrolled: 1-line block ×3, first 2 shown]
	ds_write2_b32 v14, v2, v4 offset0:5 offset1:6
	ds_write2_b32 v14, v5, v1 offset0:7 offset1:8
	s_waitcnt lgkmcnt(0)
	s_barrier
	ds_read_b32 v1, v24 offset:20
	v_lshlrev_b32_e32 v2, 2, v23
	s_waitcnt lgkmcnt(0)
	s_barrier
	v_lshl_add_u32 v1, v1, 2, v2
	ds_write_b32 v1, v22
	s_waitcnt lgkmcnt(0)
	s_barrier
	ds_read_b32 v22, v17
	s_waitcnt lgkmcnt(0)
	s_barrier
	ds_write2_b32 v14, v3, v3 offset0:5 offset1:6
	ds_write2_b32 v14, v3, v3 offset0:7 offset1:8
	v_lshrrev_b32_e32 v1, 8, v22
	v_and_b32_e32 v2, 1, v1
	v_add_co_u32_e64 v4, s[26:27], -1, v2
	v_addc_co_u32_e64 v23, s[26:27], 0, -1, s[26:27]
	v_cmp_ne_u32_e64 s[26:27], 0, v2
	v_xor_b32_e32 v4, s26, v4
	v_xor_b32_e32 v2, s27, v23
	v_and_b32_e32 v23, exec_lo, v4
	v_lshlrev_b32_e32 v4, 30, v1
	v_cmp_gt_i64_e64 s[26:27], 0, v[3:4]
	v_not_b32_e32 v4, v4
	v_ashrrev_i32_e32 v4, 31, v4
	v_xor_b32_e32 v24, s27, v4
	v_xor_b32_e32 v4, s26, v4
	v_and_b32_e32 v23, v23, v4
	v_lshlrev_b32_e32 v4, 29, v1
	v_cmp_gt_i64_e64 s[26:27], 0, v[3:4]
	v_not_b32_e32 v4, v4
	v_and_b32_e32 v2, exec_hi, v2
	v_ashrrev_i32_e32 v4, 31, v4
	v_and_b32_e32 v2, v2, v24
	v_xor_b32_e32 v24, s27, v4
	v_xor_b32_e32 v4, s26, v4
	v_and_b32_e32 v23, v23, v4
	v_lshlrev_b32_e32 v4, 28, v1
	v_cmp_gt_i64_e64 s[26:27], 0, v[3:4]
	v_not_b32_e32 v4, v4
	v_ashrrev_i32_e32 v4, 31, v4
	v_and_b32_e32 v2, v2, v24
	v_xor_b32_e32 v24, s27, v4
	v_xor_b32_e32 v4, s26, v4
	v_and_b32_e32 v23, v23, v4
	v_lshlrev_b32_e32 v4, 27, v1
	v_cmp_gt_i64_e64 s[26:27], 0, v[3:4]
	v_not_b32_e32 v4, v4
	;; [unrolled: 8-line block ×4, first 2 shown]
	v_ashrrev_i32_e32 v4, 31, v4
	v_and_b32_e32 v2, v2, v24
	v_xor_b32_e32 v24, s27, v4
	v_xor_b32_e32 v4, s26, v4
	v_and_b32_e32 v23, v23, v4
	v_lshlrev_b32_e32 v4, 24, v1
	v_mul_u32_u24_sdwa v5, v1, v6 dst_sel:DWORD dst_unused:UNUSED_PAD src0_sel:BYTE_0 src1_sel:DWORD
	v_cmp_gt_i64_e64 s[26:27], 0, v[3:4]
	v_not_b32_e32 v1, v4
	v_ashrrev_i32_e32 v1, 31, v1
	v_xor_b32_e32 v4, s27, v1
	v_xor_b32_e32 v1, s26, v1
	v_and_b32_e32 v2, v2, v24
	v_and_b32_e32 v1, v23, v1
	;; [unrolled: 1-line block ×3, first 2 shown]
	v_mbcnt_lo_u32_b32 v4, v1, 0
	v_mbcnt_hi_u32_b32 v23, v2, v4
	v_cmp_ne_u64_e64 s[26:27], 0, v[1:2]
	v_cmp_eq_u32_e64 s[28:29], 0, v23
	s_and_b64 s[28:29], s[26:27], s[28:29]
	v_add_u32_e32 v24, v20, v5
	s_waitcnt lgkmcnt(0)
	s_barrier
	; wave barrier
	s_and_saveexec_b64 s[26:27], s[28:29]
; %bb.11:                               ;   in Loop: Header=BB32_2 Depth=1
	v_bcnt_u32_b32 v1, v1, 0
	v_bcnt_u32_b32 v1, v2, v1
	ds_write_b32 v24, v1 offset:20
; %bb.12:                               ;   in Loop: Header=BB32_2 Depth=1
	s_or_b64 exec, exec, s[26:27]
	; wave barrier
	s_waitcnt lgkmcnt(0)
	s_barrier
	ds_read2_b32 v[4:5], v14 offset0:5 offset1:6
	ds_read2_b32 v[1:2], v14 offset0:7 offset1:8
	s_waitcnt lgkmcnt(1)
	v_add_u32_e32 v25, v5, v4
	s_waitcnt lgkmcnt(0)
	v_add3_u32 v2, v25, v1, v2
	s_nop 1
	v_mov_b32_dpp v25, v2 row_shr:1 row_mask:0xf bank_mask:0xf
	v_cndmask_b32_e64 v25, v25, 0, s[8:9]
	v_add_u32_e32 v2, v25, v2
	s_nop 1
	v_mov_b32_dpp v25, v2 row_shr:2 row_mask:0xf bank_mask:0xf
	v_cndmask_b32_e64 v25, 0, v25, s[10:11]
	v_add_u32_e32 v2, v2, v25
	;; [unrolled: 4-line block ×4, first 2 shown]
	s_nop 1
	v_mov_b32_dpp v25, v2 row_bcast:15 row_mask:0xf bank_mask:0xf
	v_cndmask_b32_e64 v25, v25, 0, s[16:17]
	v_add_u32_e32 v2, v2, v25
	s_nop 1
	v_mov_b32_dpp v25, v2 row_bcast:31 row_mask:0xf bank_mask:0xf
	v_cndmask_b32_e64 v25, 0, v25, s[4:5]
	v_add_u32_e32 v2, v2, v25
	s_and_saveexec_b64 s[26:27], s[24:25]
; %bb.13:                               ;   in Loop: Header=BB32_2 Depth=1
	ds_write_b32 v15, v2
; %bb.14:                               ;   in Loop: Header=BB32_2 Depth=1
	s_or_b64 exec, exec, s[26:27]
	s_waitcnt lgkmcnt(0)
	s_barrier
	s_and_saveexec_b64 s[26:27], vcc
	s_cbranch_execz .LBB32_16
; %bb.15:                               ;   in Loop: Header=BB32_2 Depth=1
	ds_read_b32 v25, v16
	s_waitcnt lgkmcnt(0)
	s_nop 0
	v_mov_b32_dpp v26, v25 row_shr:1 row_mask:0xf bank_mask:0xf
	v_cndmask_b32_e64 v26, v26, 0, s[18:19]
	v_add_u32_e32 v25, v26, v25
	s_nop 1
	v_mov_b32_dpp v26, v25 row_shr:2 row_mask:0xf bank_mask:0xf
	v_cndmask_b32_e64 v26, 0, v26, s[20:21]
	v_add_u32_e32 v25, v25, v26
	;; [unrolled: 4-line block ×3, first 2 shown]
	ds_write_b32 v16, v25
.LBB32_16:                              ;   in Loop: Header=BB32_2 Depth=1
	s_or_b64 exec, exec, s[26:27]
	v_mov_b32_e32 v25, 0
	s_waitcnt lgkmcnt(0)
	s_barrier
	s_and_saveexec_b64 s[26:27], s[0:1]
; %bb.17:                               ;   in Loop: Header=BB32_2 Depth=1
	ds_read_b32 v25, v18
; %bb.18:                               ;   in Loop: Header=BB32_2 Depth=1
	s_or_b64 exec, exec, s[26:27]
	s_waitcnt lgkmcnt(0)
	v_add_u32_e32 v2, v25, v2
	ds_bpermute_b32 v2, v19, v2
	s_waitcnt lgkmcnt(0)
	v_cndmask_b32_e64 v2, v2, v25, s[6:7]
	v_cndmask_b32_e64 v2, v2, 0, s[2:3]
	v_add_u32_e32 v4, v2, v4
	v_add_u32_e32 v5, v4, v5
	;; [unrolled: 1-line block ×3, first 2 shown]
	ds_write2_b32 v14, v2, v4 offset0:5 offset1:6
	ds_write2_b32 v14, v5, v1 offset0:7 offset1:8
	s_waitcnt lgkmcnt(0)
	s_barrier
	ds_read_b32 v1, v24 offset:20
	v_lshlrev_b32_e32 v2, 2, v23
	s_waitcnt lgkmcnt(0)
	s_barrier
	v_lshl_add_u32 v1, v1, 2, v2
	ds_write_b32 v1, v22
	s_waitcnt lgkmcnt(0)
	s_barrier
	ds_read_b32 v22, v17
	s_waitcnt lgkmcnt(0)
	s_barrier
	ds_write2_b32 v14, v3, v3 offset0:5 offset1:6
	ds_write2_b32 v14, v3, v3 offset0:7 offset1:8
	v_and_b32_sdwa v1, v22, s36 dst_sel:DWORD dst_unused:UNUSED_PAD src0_sel:WORD_1 src1_sel:DWORD
	v_mul_u32_u24_e32 v5, 20, v1
	v_and_b32_sdwa v1, v22, v7 dst_sel:DWORD dst_unused:UNUSED_PAD src0_sel:WORD_1 src1_sel:DWORD
	v_add_co_u32_e64 v2, s[26:27], -1, v1
	v_addc_co_u32_e64 v4, s[26:27], 0, -1, s[26:27]
	v_cmp_ne_u32_e64 s[26:27], 0, v1
	v_xor_b32_e32 v1, s27, v4
	v_lshlrev_b32_sdwa v4, v8, v22 dst_sel:DWORD dst_unused:UNUSED_PAD src0_sel:DWORD src1_sel:WORD_1
	v_xor_b32_e32 v2, s26, v2
	v_cmp_gt_i64_e64 s[26:27], 0, v[3:4]
	v_not_b32_e32 v4, v4
	v_ashrrev_i32_e32 v4, 31, v4
	v_and_b32_e32 v2, exec_lo, v2
	v_xor_b32_e32 v23, s27, v4
	v_xor_b32_e32 v4, s26, v4
	v_and_b32_e32 v2, v2, v4
	v_lshlrev_b32_sdwa v4, v9, v22 dst_sel:DWORD dst_unused:UNUSED_PAD src0_sel:DWORD src1_sel:WORD_1
	v_cmp_gt_i64_e64 s[26:27], 0, v[3:4]
	v_not_b32_e32 v4, v4
	v_and_b32_e32 v1, exec_hi, v1
	v_ashrrev_i32_e32 v4, 31, v4
	v_and_b32_e32 v1, v1, v23
	v_xor_b32_e32 v23, s27, v4
	v_xor_b32_e32 v4, s26, v4
	v_and_b32_e32 v2, v2, v4
	v_lshlrev_b32_sdwa v4, v10, v22 dst_sel:DWORD dst_unused:UNUSED_PAD src0_sel:DWORD src1_sel:WORD_1
	v_cmp_gt_i64_e64 s[26:27], 0, v[3:4]
	v_not_b32_e32 v4, v4
	v_ashrrev_i32_e32 v4, 31, v4
	v_and_b32_e32 v1, v1, v23
	v_xor_b32_e32 v23, s27, v4
	v_xor_b32_e32 v4, s26, v4
	v_and_b32_e32 v2, v2, v4
	v_lshlrev_b32_sdwa v4, v11, v22 dst_sel:DWORD dst_unused:UNUSED_PAD src0_sel:DWORD src1_sel:WORD_1
	v_cmp_gt_i64_e64 s[26:27], 0, v[3:4]
	v_not_b32_e32 v4, v4
	;; [unrolled: 8-line block ×4, first 2 shown]
	v_ashrrev_i32_e32 v4, 31, v4
	v_and_b32_e32 v1, v1, v23
	v_xor_b32_e32 v23, s27, v4
	v_xor_b32_e32 v4, s26, v4
	v_and_b32_e32 v1, v1, v23
	v_and_b32_e32 v23, v2, v4
	v_lshlrev_b32_sdwa v4, v21, v22 dst_sel:DWORD dst_unused:UNUSED_PAD src0_sel:DWORD src1_sel:WORD_1
	v_cmp_gt_i64_e64 s[26:27], 0, v[3:4]
	v_not_b32_e32 v2, v4
	v_ashrrev_i32_e32 v2, 31, v2
	v_xor_b32_e32 v4, s27, v2
	v_xor_b32_e32 v24, s26, v2
	v_and_b32_e32 v2, v1, v4
	v_and_b32_e32 v1, v23, v24
	v_mbcnt_lo_u32_b32 v4, v1, 0
	v_mbcnt_hi_u32_b32 v23, v2, v4
	v_cmp_ne_u64_e64 s[26:27], 0, v[1:2]
	v_cmp_eq_u32_e64 s[28:29], 0, v23
	s_and_b64 s[28:29], s[26:27], s[28:29]
	v_add_u32_e32 v24, v20, v5
	s_waitcnt lgkmcnt(0)
	s_barrier
	; wave barrier
	s_and_saveexec_b64 s[26:27], s[28:29]
; %bb.19:                               ;   in Loop: Header=BB32_2 Depth=1
	v_bcnt_u32_b32 v1, v1, 0
	v_bcnt_u32_b32 v1, v2, v1
	ds_write_b32 v24, v1 offset:20
; %bb.20:                               ;   in Loop: Header=BB32_2 Depth=1
	s_or_b64 exec, exec, s[26:27]
	; wave barrier
	s_waitcnt lgkmcnt(0)
	s_barrier
	ds_read2_b32 v[4:5], v14 offset0:5 offset1:6
	ds_read2_b32 v[1:2], v14 offset0:7 offset1:8
	s_waitcnt lgkmcnt(1)
	v_add_u32_e32 v25, v5, v4
	s_waitcnt lgkmcnt(0)
	v_add3_u32 v2, v25, v1, v2
	s_nop 1
	v_mov_b32_dpp v25, v2 row_shr:1 row_mask:0xf bank_mask:0xf
	v_cndmask_b32_e64 v25, v25, 0, s[8:9]
	v_add_u32_e32 v2, v25, v2
	s_nop 1
	v_mov_b32_dpp v25, v2 row_shr:2 row_mask:0xf bank_mask:0xf
	v_cndmask_b32_e64 v25, 0, v25, s[10:11]
	v_add_u32_e32 v2, v2, v25
	;; [unrolled: 4-line block ×4, first 2 shown]
	s_nop 1
	v_mov_b32_dpp v25, v2 row_bcast:15 row_mask:0xf bank_mask:0xf
	v_cndmask_b32_e64 v25, v25, 0, s[16:17]
	v_add_u32_e32 v2, v2, v25
	s_nop 1
	v_mov_b32_dpp v25, v2 row_bcast:31 row_mask:0xf bank_mask:0xf
	v_cndmask_b32_e64 v25, 0, v25, s[4:5]
	v_add_u32_e32 v2, v2, v25
	s_and_saveexec_b64 s[26:27], s[24:25]
; %bb.21:                               ;   in Loop: Header=BB32_2 Depth=1
	ds_write_b32 v15, v2
; %bb.22:                               ;   in Loop: Header=BB32_2 Depth=1
	s_or_b64 exec, exec, s[26:27]
	s_waitcnt lgkmcnt(0)
	s_barrier
	s_and_saveexec_b64 s[26:27], vcc
	s_cbranch_execz .LBB32_24
; %bb.23:                               ;   in Loop: Header=BB32_2 Depth=1
	ds_read_b32 v25, v16
	s_waitcnt lgkmcnt(0)
	s_nop 0
	v_mov_b32_dpp v26, v25 row_shr:1 row_mask:0xf bank_mask:0xf
	v_cndmask_b32_e64 v26, v26, 0, s[18:19]
	v_add_u32_e32 v25, v26, v25
	s_nop 1
	v_mov_b32_dpp v26, v25 row_shr:2 row_mask:0xf bank_mask:0xf
	v_cndmask_b32_e64 v26, 0, v26, s[20:21]
	v_add_u32_e32 v25, v25, v26
	;; [unrolled: 4-line block ×3, first 2 shown]
	ds_write_b32 v16, v25
.LBB32_24:                              ;   in Loop: Header=BB32_2 Depth=1
	s_or_b64 exec, exec, s[26:27]
	v_mov_b32_e32 v25, 0
	s_waitcnt lgkmcnt(0)
	s_barrier
	s_and_saveexec_b64 s[26:27], s[0:1]
; %bb.25:                               ;   in Loop: Header=BB32_2 Depth=1
	ds_read_b32 v25, v18
; %bb.26:                               ;   in Loop: Header=BB32_2 Depth=1
	s_or_b64 exec, exec, s[26:27]
	s_waitcnt lgkmcnt(0)
	v_add_u32_e32 v2, v25, v2
	ds_bpermute_b32 v2, v19, v2
	s_waitcnt lgkmcnt(0)
	v_cndmask_b32_e64 v2, v2, v25, s[6:7]
	v_cndmask_b32_e64 v2, v2, 0, s[2:3]
	v_add_u32_e32 v4, v2, v4
	v_add_u32_e32 v5, v4, v5
	;; [unrolled: 1-line block ×3, first 2 shown]
	ds_write2_b32 v14, v2, v4 offset0:5 offset1:6
	ds_write2_b32 v14, v5, v1 offset0:7 offset1:8
	s_waitcnt lgkmcnt(0)
	s_barrier
	ds_read_b32 v1, v24 offset:20
	v_lshlrev_b32_e32 v2, 2, v23
	s_waitcnt lgkmcnt(0)
	s_barrier
	v_lshl_add_u32 v1, v1, 2, v2
	ds_write_b32 v1, v22
	s_waitcnt lgkmcnt(0)
	s_barrier
	ds_read_b32 v22, v17
	s_waitcnt lgkmcnt(0)
	s_barrier
	ds_write2_b32 v14, v3, v3 offset0:5 offset1:6
	ds_write2_b32 v14, v3, v3 offset0:7 offset1:8
	v_and_b32_sdwa v1, v22, v7 dst_sel:DWORD dst_unused:UNUSED_PAD src0_sel:BYTE_3 src1_sel:DWORD
	v_add_co_u32_e64 v2, s[26:27], -1, v1
	v_addc_co_u32_e64 v4, s[26:27], 0, -1, s[26:27]
	v_cmp_ne_u32_e64 s[26:27], 0, v1
	v_xor_b32_e32 v1, s27, v4
	v_lshlrev_b32_sdwa v4, v8, v22 dst_sel:DWORD dst_unused:UNUSED_PAD src0_sel:DWORD src1_sel:BYTE_3
	v_xor_b32_e32 v2, s26, v2
	v_cmp_gt_i64_e64 s[26:27], 0, v[3:4]
	v_not_b32_e32 v4, v4
	v_ashrrev_i32_e32 v4, 31, v4
	v_and_b32_e32 v2, exec_lo, v2
	v_xor_b32_e32 v23, s27, v4
	v_xor_b32_e32 v4, s26, v4
	v_and_b32_e32 v2, v2, v4
	v_lshlrev_b32_sdwa v4, v9, v22 dst_sel:DWORD dst_unused:UNUSED_PAD src0_sel:DWORD src1_sel:BYTE_3
	v_cmp_gt_i64_e64 s[26:27], 0, v[3:4]
	v_not_b32_e32 v4, v4
	v_and_b32_e32 v1, exec_hi, v1
	v_ashrrev_i32_e32 v4, 31, v4
	v_and_b32_e32 v1, v1, v23
	v_xor_b32_e32 v23, s27, v4
	v_xor_b32_e32 v4, s26, v4
	v_and_b32_e32 v2, v2, v4
	v_lshlrev_b32_sdwa v4, v10, v22 dst_sel:DWORD dst_unused:UNUSED_PAD src0_sel:DWORD src1_sel:BYTE_3
	v_cmp_gt_i64_e64 s[26:27], 0, v[3:4]
	v_not_b32_e32 v4, v4
	v_ashrrev_i32_e32 v4, 31, v4
	v_and_b32_e32 v1, v1, v23
	v_xor_b32_e32 v23, s27, v4
	v_xor_b32_e32 v4, s26, v4
	v_and_b32_e32 v2, v2, v4
	v_lshlrev_b32_sdwa v4, v11, v22 dst_sel:DWORD dst_unused:UNUSED_PAD src0_sel:DWORD src1_sel:BYTE_3
	v_cmp_gt_i64_e64 s[26:27], 0, v[3:4]
	v_not_b32_e32 v4, v4
	;; [unrolled: 8-line block ×4, first 2 shown]
	v_ashrrev_i32_e32 v4, 31, v4
	v_and_b32_e32 v1, v1, v23
	v_xor_b32_e32 v23, s27, v4
	v_xor_b32_e32 v4, s26, v4
	v_and_b32_e32 v1, v1, v23
	v_and_b32_e32 v23, v2, v4
	v_lshlrev_b32_sdwa v4, v21, v22 dst_sel:DWORD dst_unused:UNUSED_PAD src0_sel:DWORD src1_sel:BYTE_3
	v_cmp_gt_i64_e64 s[26:27], 0, v[3:4]
	v_not_b32_e32 v2, v4
	v_ashrrev_i32_e32 v2, 31, v2
	v_xor_b32_e32 v4, s27, v2
	v_xor_b32_e32 v24, s26, v2
	v_and_b32_e32 v2, v1, v4
	v_and_b32_e32 v1, v23, v24
	v_mbcnt_lo_u32_b32 v4, v1, 0
	v_mbcnt_hi_u32_b32 v23, v2, v4
	v_cmp_ne_u64_e64 s[26:27], 0, v[1:2]
	v_mul_u32_u24_sdwa v5, v22, v6 dst_sel:DWORD dst_unused:UNUSED_PAD src0_sel:BYTE_3 src1_sel:DWORD
	v_cmp_eq_u32_e64 s[28:29], 0, v23
	s_and_b64 s[28:29], s[26:27], s[28:29]
	v_add_u32_e32 v24, v20, v5
	s_waitcnt lgkmcnt(0)
	s_barrier
	; wave barrier
	s_and_saveexec_b64 s[26:27], s[28:29]
; %bb.27:                               ;   in Loop: Header=BB32_2 Depth=1
	v_bcnt_u32_b32 v1, v1, 0
	v_bcnt_u32_b32 v1, v2, v1
	ds_write_b32 v24, v1 offset:20
; %bb.28:                               ;   in Loop: Header=BB32_2 Depth=1
	s_or_b64 exec, exec, s[26:27]
	; wave barrier
	s_waitcnt lgkmcnt(0)
	s_barrier
	ds_read2_b32 v[4:5], v14 offset0:5 offset1:6
	ds_read2_b32 v[1:2], v14 offset0:7 offset1:8
	s_waitcnt lgkmcnt(1)
	v_add_u32_e32 v25, v5, v4
	s_waitcnt lgkmcnt(0)
	v_add3_u32 v2, v25, v1, v2
	s_nop 1
	v_mov_b32_dpp v25, v2 row_shr:1 row_mask:0xf bank_mask:0xf
	v_cndmask_b32_e64 v25, v25, 0, s[8:9]
	v_add_u32_e32 v2, v25, v2
	s_nop 1
	v_mov_b32_dpp v25, v2 row_shr:2 row_mask:0xf bank_mask:0xf
	v_cndmask_b32_e64 v25, 0, v25, s[10:11]
	v_add_u32_e32 v2, v2, v25
	;; [unrolled: 4-line block ×4, first 2 shown]
	s_nop 1
	v_mov_b32_dpp v25, v2 row_bcast:15 row_mask:0xf bank_mask:0xf
	v_cndmask_b32_e64 v25, v25, 0, s[16:17]
	v_add_u32_e32 v2, v2, v25
	s_nop 1
	v_mov_b32_dpp v25, v2 row_bcast:31 row_mask:0xf bank_mask:0xf
	v_cndmask_b32_e64 v25, 0, v25, s[4:5]
	v_add_u32_e32 v2, v2, v25
	s_and_saveexec_b64 s[26:27], s[24:25]
; %bb.29:                               ;   in Loop: Header=BB32_2 Depth=1
	ds_write_b32 v15, v2
; %bb.30:                               ;   in Loop: Header=BB32_2 Depth=1
	s_or_b64 exec, exec, s[26:27]
	s_waitcnt lgkmcnt(0)
	s_barrier
	s_and_saveexec_b64 s[26:27], vcc
	s_cbranch_execz .LBB32_32
; %bb.31:                               ;   in Loop: Header=BB32_2 Depth=1
	ds_read_b32 v25, v16
	s_waitcnt lgkmcnt(0)
	s_nop 0
	v_mov_b32_dpp v26, v25 row_shr:1 row_mask:0xf bank_mask:0xf
	v_cndmask_b32_e64 v26, v26, 0, s[18:19]
	v_add_u32_e32 v25, v26, v25
	s_nop 1
	v_mov_b32_dpp v26, v25 row_shr:2 row_mask:0xf bank_mask:0xf
	v_cndmask_b32_e64 v26, 0, v26, s[20:21]
	v_add_u32_e32 v25, v25, v26
	;; [unrolled: 4-line block ×3, first 2 shown]
	ds_write_b32 v16, v25
.LBB32_32:                              ;   in Loop: Header=BB32_2 Depth=1
	s_or_b64 exec, exec, s[26:27]
	v_mov_b32_e32 v25, 0
	s_waitcnt lgkmcnt(0)
	s_barrier
	s_and_saveexec_b64 s[26:27], s[0:1]
	s_cbranch_execz .LBB32_1
; %bb.33:                               ;   in Loop: Header=BB32_2 Depth=1
	ds_read_b32 v25, v18
	s_branch .LBB32_1
.LBB32_34:
	s_add_u32 s0, s30, s34
	s_waitcnt lgkmcnt(0)
	v_xor_b32_e32 v1, 0x80000000, v22
	s_addc_u32 s1, s31, s35
	v_lshlrev_b32_e32 v0, 2, v0
	global_store_dword v0, v1, s[0:1]
	s_endpgm
	.section	.rodata,"a",@progbits
	.p2align	6, 0x0
	.amdhsa_kernel _Z16sort_keys_kernelI22helper_blocked_blockediLj320ELj1ELj10EEvPKT0_PS1_
		.amdhsa_group_segment_fixed_size 5152
		.amdhsa_private_segment_fixed_size 0
		.amdhsa_kernarg_size 272
		.amdhsa_user_sgpr_count 6
		.amdhsa_user_sgpr_private_segment_buffer 1
		.amdhsa_user_sgpr_dispatch_ptr 0
		.amdhsa_user_sgpr_queue_ptr 0
		.amdhsa_user_sgpr_kernarg_segment_ptr 1
		.amdhsa_user_sgpr_dispatch_id 0
		.amdhsa_user_sgpr_flat_scratch_init 0
		.amdhsa_user_sgpr_private_segment_size 0
		.amdhsa_uses_dynamic_stack 0
		.amdhsa_system_sgpr_private_segment_wavefront_offset 0
		.amdhsa_system_sgpr_workgroup_id_x 1
		.amdhsa_system_sgpr_workgroup_id_y 0
		.amdhsa_system_sgpr_workgroup_id_z 0
		.amdhsa_system_sgpr_workgroup_info 0
		.amdhsa_system_vgpr_workitem_id 2
		.amdhsa_next_free_vgpr 27
		.amdhsa_next_free_sgpr 37
		.amdhsa_reserve_vcc 1
		.amdhsa_reserve_flat_scratch 0
		.amdhsa_float_round_mode_32 0
		.amdhsa_float_round_mode_16_64 0
		.amdhsa_float_denorm_mode_32 3
		.amdhsa_float_denorm_mode_16_64 3
		.amdhsa_dx10_clamp 1
		.amdhsa_ieee_mode 1
		.amdhsa_fp16_overflow 0
		.amdhsa_exception_fp_ieee_invalid_op 0
		.amdhsa_exception_fp_denorm_src 0
		.amdhsa_exception_fp_ieee_div_zero 0
		.amdhsa_exception_fp_ieee_overflow 0
		.amdhsa_exception_fp_ieee_underflow 0
		.amdhsa_exception_fp_ieee_inexact 0
		.amdhsa_exception_int_div_zero 0
	.end_amdhsa_kernel
	.section	.text._Z16sort_keys_kernelI22helper_blocked_blockediLj320ELj1ELj10EEvPKT0_PS1_,"axG",@progbits,_Z16sort_keys_kernelI22helper_blocked_blockediLj320ELj1ELj10EEvPKT0_PS1_,comdat
.Lfunc_end32:
	.size	_Z16sort_keys_kernelI22helper_blocked_blockediLj320ELj1ELj10EEvPKT0_PS1_, .Lfunc_end32-_Z16sort_keys_kernelI22helper_blocked_blockediLj320ELj1ELj10EEvPKT0_PS1_
                                        ; -- End function
	.set _Z16sort_keys_kernelI22helper_blocked_blockediLj320ELj1ELj10EEvPKT0_PS1_.num_vgpr, 27
	.set _Z16sort_keys_kernelI22helper_blocked_blockediLj320ELj1ELj10EEvPKT0_PS1_.num_agpr, 0
	.set _Z16sort_keys_kernelI22helper_blocked_blockediLj320ELj1ELj10EEvPKT0_PS1_.numbered_sgpr, 37
	.set _Z16sort_keys_kernelI22helper_blocked_blockediLj320ELj1ELj10EEvPKT0_PS1_.num_named_barrier, 0
	.set _Z16sort_keys_kernelI22helper_blocked_blockediLj320ELj1ELj10EEvPKT0_PS1_.private_seg_size, 0
	.set _Z16sort_keys_kernelI22helper_blocked_blockediLj320ELj1ELj10EEvPKT0_PS1_.uses_vcc, 1
	.set _Z16sort_keys_kernelI22helper_blocked_blockediLj320ELj1ELj10EEvPKT0_PS1_.uses_flat_scratch, 0
	.set _Z16sort_keys_kernelI22helper_blocked_blockediLj320ELj1ELj10EEvPKT0_PS1_.has_dyn_sized_stack, 0
	.set _Z16sort_keys_kernelI22helper_blocked_blockediLj320ELj1ELj10EEvPKT0_PS1_.has_recursion, 0
	.set _Z16sort_keys_kernelI22helper_blocked_blockediLj320ELj1ELj10EEvPKT0_PS1_.has_indirect_call, 0
	.section	.AMDGPU.csdata,"",@progbits
; Kernel info:
; codeLenInByte = 4004
; TotalNumSgprs: 41
; NumVgprs: 27
; ScratchSize: 0
; MemoryBound: 0
; FloatMode: 240
; IeeeMode: 1
; LDSByteSize: 5152 bytes/workgroup (compile time only)
; SGPRBlocks: 5
; VGPRBlocks: 6
; NumSGPRsForWavesPerEU: 41
; NumVGPRsForWavesPerEU: 27
; Occupancy: 9
; WaveLimiterHint : 0
; COMPUTE_PGM_RSRC2:SCRATCH_EN: 0
; COMPUTE_PGM_RSRC2:USER_SGPR: 6
; COMPUTE_PGM_RSRC2:TRAP_HANDLER: 0
; COMPUTE_PGM_RSRC2:TGID_X_EN: 1
; COMPUTE_PGM_RSRC2:TGID_Y_EN: 0
; COMPUTE_PGM_RSRC2:TGID_Z_EN: 0
; COMPUTE_PGM_RSRC2:TIDIG_COMP_CNT: 2
	.section	.text._Z17sort_pairs_kernelI22helper_blocked_blockediLj320ELj1ELj10EEvPKT0_PS1_,"axG",@progbits,_Z17sort_pairs_kernelI22helper_blocked_blockediLj320ELj1ELj10EEvPKT0_PS1_,comdat
	.protected	_Z17sort_pairs_kernelI22helper_blocked_blockediLj320ELj1ELj10EEvPKT0_PS1_ ; -- Begin function _Z17sort_pairs_kernelI22helper_blocked_blockediLj320ELj1ELj10EEvPKT0_PS1_
	.globl	_Z17sort_pairs_kernelI22helper_blocked_blockediLj320ELj1ELj10EEvPKT0_PS1_
	.p2align	8
	.type	_Z17sort_pairs_kernelI22helper_blocked_blockediLj320ELj1ELj10EEvPKT0_PS1_,@function
_Z17sort_pairs_kernelI22helper_blocked_blockediLj320ELj1ELj10EEvPKT0_PS1_: ; @_Z17sort_pairs_kernelI22helper_blocked_blockediLj320ELj1ELj10EEvPKT0_PS1_
; %bb.0:
	s_load_dwordx4 s[28:31], s[4:5], 0x0
	s_load_dword s26, s[4:5], 0x1c
	s_mul_i32 s0, s6, 0x140
	s_mov_b32 s1, 0
	s_lshl_b64 s[34:35], s[0:1], 2
	s_waitcnt lgkmcnt(0)
	s_add_u32 s0, s28, s34
	s_addc_u32 s1, s29, s35
	v_lshlrev_b32_e32 v3, 2, v0
	global_load_dword v3, v3, s[0:1]
	v_mbcnt_lo_u32_b32 v4, -1, 0
	v_mbcnt_hi_u32_b32 v4, -1, v4
	v_subrev_co_u32_e64 v20, s[6:7], 1, v4
	v_and_b32_e32 v21, 64, v4
	v_cmp_lt_i32_e64 s[24:25], v20, v21
	v_cndmask_b32_e64 v20, v20, v4, s[24:25]
	s_lshr_b32 s24, s26, 16
	s_and_b32 s25, s26, 0xffff
	v_mad_u32_u24 v1, v2, s24, v1
	v_mad_u64_u32 v[1:2], s[24:25], v1, s25, v[0:1]
	v_and_b32_e32 v5, 0x1c0, v0
	v_lshrrev_b32_e32 v16, 4, v0
	v_and_b32_e32 v18, 15, v4
	v_lshlrev_b32_e32 v23, 2, v5
	v_min_u32_e32 v5, 0x100, v5
	v_lshlrev_b32_e32 v15, 4, v0
	v_mul_i32_i24_e32 v17, -12, v0
	v_and_b32_e32 v19, 16, v4
	v_cmp_lt_u32_e64 s[4:5], 31, v4
	v_and_b32_e32 v22, 7, v4
	v_and_b32_e32 v16, 28, v16
	v_cmp_eq_u32_e64 s[8:9], 0, v18
	v_cmp_lt_u32_e64 s[10:11], 1, v18
	v_cmp_lt_u32_e64 s[12:13], 3, v18
	;; [unrolled: 1-line block ×3, first 2 shown]
	v_lshl_add_u32 v18, v4, 2, v23
	v_or_b32_e32 v4, 63, v5
	v_lshrrev_b32_e32 v1, 4, v1
	s_mov_b32 s33, 10
	s_movk_i32 s36, 0xff
	v_mov_b32_e32 v6, 20
	v_mov_b32_e32 v7, 1
	;; [unrolled: 1-line block ×9, first 2 shown]
	v_cmp_gt_u32_e32 vcc, 5, v0
	v_cmp_lt_u32_e64 s[0:1], 63, v0
	v_cmp_eq_u32_e64 s[2:3], 0, v0
	v_add_u32_e32 v17, v15, v17
	v_cmp_eq_u32_e64 s[16:17], 0, v19
	v_cmp_eq_u32_e64 s[18:19], 0, v22
	v_cmp_lt_u32_e64 s[20:21], 1, v22
	v_cmp_lt_u32_e64 s[22:23], 3, v22
	v_add_u32_e32 v19, -4, v16
	v_cmp_eq_u32_e64 s[24:25], v0, v4
	v_lshlrev_b32_e32 v20, 2, v20
	v_and_b32_e32 v21, 0xffffffc, v1
	v_mov_b32_e32 v1, 0
	s_waitcnt vmcnt(0)
	v_add_u32_e32 v22, 1, v3
	v_xor_b32_e32 v23, 0x80000000, v3
	s_branch .LBB33_2
.LBB33_1:                               ;   in Loop: Header=BB33_2 Depth=1
	s_or_b64 exec, exec, s[26:27]
	s_waitcnt lgkmcnt(0)
	v_add_u32_e32 v3, v26, v3
	ds_bpermute_b32 v3, v20, v3
	s_add_i32 s33, s33, -1
	s_cmp_eq_u32 s33, 0
	s_waitcnt lgkmcnt(0)
	v_cndmask_b32_e64 v3, v3, v26, s[6:7]
	v_cndmask_b32_e64 v3, v3, 0, s[2:3]
	v_add_u32_e32 v4, v3, v4
	v_add_u32_e32 v5, v4, v5
	v_add_u32_e32 v2, v5, v2
	ds_write2_b32 v15, v3, v4 offset0:5 offset1:6
	ds_write2_b32 v15, v5, v2 offset0:7 offset1:8
	s_waitcnt lgkmcnt(0)
	s_barrier
	ds_read_b32 v2, v25 offset:20
	v_lshlrev_b32_e32 v3, 2, v24
	s_waitcnt lgkmcnt(0)
	s_barrier
	v_lshl_add_u32 v2, v2, 2, v3
	ds_write_b32 v2, v23
	s_waitcnt lgkmcnt(0)
	s_barrier
	ds_read_b32 v23, v17
	s_waitcnt lgkmcnt(0)
	s_barrier
	ds_write_b32 v2, v22
	s_waitcnt lgkmcnt(0)
	s_barrier
	ds_read_b32 v22, v17
	s_cbranch_scc1 .LBB33_34
.LBB33_2:                               ; =>This Inner Loop Header: Depth=1
	v_and_b32_e32 v2, 1, v23
	v_add_co_u32_e64 v3, s[26:27], -1, v2
	v_addc_co_u32_e64 v5, s[26:27], 0, -1, s[26:27]
	v_cmp_ne_u32_e64 s[26:27], 0, v2
	v_xor_b32_e32 v2, s27, v5
	v_and_b32_e32 v5, exec_hi, v2
	v_lshlrev_b32_e32 v2, 30, v23
	v_xor_b32_e32 v3, s26, v3
	v_cmp_gt_i64_e64 s[26:27], 0, v[1:2]
	v_not_b32_e32 v2, v2
	v_ashrrev_i32_e32 v2, 31, v2
	v_and_b32_e32 v3, exec_lo, v3
	v_xor_b32_e32 v24, s27, v2
	v_xor_b32_e32 v2, s26, v2
	v_and_b32_e32 v3, v3, v2
	v_lshlrev_b32_e32 v2, 29, v23
	v_cmp_gt_i64_e64 s[26:27], 0, v[1:2]
	v_not_b32_e32 v2, v2
	v_ashrrev_i32_e32 v2, 31, v2
	v_and_b32_e32 v5, v5, v24
	v_xor_b32_e32 v24, s27, v2
	v_xor_b32_e32 v2, s26, v2
	v_and_b32_e32 v3, v3, v2
	v_lshlrev_b32_e32 v2, 28, v23
	v_cmp_gt_i64_e64 s[26:27], 0, v[1:2]
	v_not_b32_e32 v2, v2
	v_ashrrev_i32_e32 v2, 31, v2
	v_and_b32_e32 v5, v5, v24
	;; [unrolled: 8-line block ×5, first 2 shown]
	v_xor_b32_e32 v24, s27, v2
	v_xor_b32_e32 v2, s26, v2
	v_and_b32_e32 v5, v5, v24
	v_and_b32_e32 v24, v3, v2
	v_lshlrev_b32_e32 v2, 24, v23
	v_cmp_gt_i64_e64 s[26:27], 0, v[1:2]
	v_not_b32_e32 v2, v2
	v_ashrrev_i32_e32 v2, 31, v2
	v_xor_b32_e32 v3, s27, v2
	v_xor_b32_e32 v2, s26, v2
	v_and_b32_e32 v2, v24, v2
	v_and_b32_e32 v3, v5, v3
	v_mbcnt_lo_u32_b32 v5, v2, 0
	v_mbcnt_hi_u32_b32 v24, v3, v5
	v_cmp_ne_u64_e64 s[26:27], 0, v[2:3]
	v_mul_u32_u24_sdwa v4, v23, v6 dst_sel:DWORD dst_unused:UNUSED_PAD src0_sel:BYTE_0 src1_sel:DWORD
	v_cmp_eq_u32_e64 s[28:29], 0, v24
	s_and_b64 s[28:29], s[26:27], s[28:29]
	v_add_u32_e32 v25, v21, v4
	ds_write2_b32 v15, v1, v1 offset0:5 offset1:6
	ds_write2_b32 v15, v1, v1 offset0:7 offset1:8
	s_waitcnt lgkmcnt(0)
	s_barrier
	; wave barrier
	s_and_saveexec_b64 s[26:27], s[28:29]
; %bb.3:                                ;   in Loop: Header=BB33_2 Depth=1
	v_bcnt_u32_b32 v2, v2, 0
	v_bcnt_u32_b32 v2, v3, v2
	ds_write_b32 v25, v2 offset:20
; %bb.4:                                ;   in Loop: Header=BB33_2 Depth=1
	s_or_b64 exec, exec, s[26:27]
	; wave barrier
	s_waitcnt lgkmcnt(0)
	s_barrier
	ds_read2_b32 v[4:5], v15 offset0:5 offset1:6
	ds_read2_b32 v[2:3], v15 offset0:7 offset1:8
	s_waitcnt lgkmcnt(1)
	v_add_u32_e32 v26, v5, v4
	s_waitcnt lgkmcnt(0)
	v_add3_u32 v3, v26, v2, v3
	s_nop 1
	v_mov_b32_dpp v26, v3 row_shr:1 row_mask:0xf bank_mask:0xf
	v_cndmask_b32_e64 v26, v26, 0, s[8:9]
	v_add_u32_e32 v3, v26, v3
	s_nop 1
	v_mov_b32_dpp v26, v3 row_shr:2 row_mask:0xf bank_mask:0xf
	v_cndmask_b32_e64 v26, 0, v26, s[10:11]
	v_add_u32_e32 v3, v3, v26
	;; [unrolled: 4-line block ×4, first 2 shown]
	s_nop 1
	v_mov_b32_dpp v26, v3 row_bcast:15 row_mask:0xf bank_mask:0xf
	v_cndmask_b32_e64 v26, v26, 0, s[16:17]
	v_add_u32_e32 v3, v3, v26
	s_nop 1
	v_mov_b32_dpp v26, v3 row_bcast:31 row_mask:0xf bank_mask:0xf
	v_cndmask_b32_e64 v26, 0, v26, s[4:5]
	v_add_u32_e32 v3, v3, v26
	s_and_saveexec_b64 s[26:27], s[24:25]
; %bb.5:                                ;   in Loop: Header=BB33_2 Depth=1
	ds_write_b32 v16, v3
; %bb.6:                                ;   in Loop: Header=BB33_2 Depth=1
	s_or_b64 exec, exec, s[26:27]
	s_waitcnt lgkmcnt(0)
	s_barrier
	s_and_saveexec_b64 s[26:27], vcc
	s_cbranch_execz .LBB33_8
; %bb.7:                                ;   in Loop: Header=BB33_2 Depth=1
	ds_read_b32 v26, v17
	s_waitcnt lgkmcnt(0)
	s_nop 0
	v_mov_b32_dpp v27, v26 row_shr:1 row_mask:0xf bank_mask:0xf
	v_cndmask_b32_e64 v27, v27, 0, s[18:19]
	v_add_u32_e32 v26, v27, v26
	s_nop 1
	v_mov_b32_dpp v27, v26 row_shr:2 row_mask:0xf bank_mask:0xf
	v_cndmask_b32_e64 v27, 0, v27, s[20:21]
	v_add_u32_e32 v26, v26, v27
	;; [unrolled: 4-line block ×3, first 2 shown]
	ds_write_b32 v17, v26
.LBB33_8:                               ;   in Loop: Header=BB33_2 Depth=1
	s_or_b64 exec, exec, s[26:27]
	v_mov_b32_e32 v26, 0
	s_waitcnt lgkmcnt(0)
	s_barrier
	s_and_saveexec_b64 s[26:27], s[0:1]
; %bb.9:                                ;   in Loop: Header=BB33_2 Depth=1
	ds_read_b32 v26, v19
; %bb.10:                               ;   in Loop: Header=BB33_2 Depth=1
	s_or_b64 exec, exec, s[26:27]
	s_waitcnt lgkmcnt(0)
	v_add_u32_e32 v3, v26, v3
	ds_bpermute_b32 v3, v20, v3
	s_waitcnt lgkmcnt(0)
	v_cndmask_b32_e64 v3, v3, v26, s[6:7]
	v_cndmask_b32_e64 v3, v3, 0, s[2:3]
	v_add_u32_e32 v4, v3, v4
	v_add_u32_e32 v5, v4, v5
	;; [unrolled: 1-line block ×3, first 2 shown]
	ds_write2_b32 v15, v3, v4 offset0:5 offset1:6
	ds_write2_b32 v15, v5, v2 offset0:7 offset1:8
	s_waitcnt lgkmcnt(0)
	s_barrier
	ds_read_b32 v2, v25 offset:20
	v_lshlrev_b32_e32 v3, 2, v24
	s_waitcnt lgkmcnt(0)
	s_barrier
	v_lshl_add_u32 v2, v2, 2, v3
	ds_write_b32 v2, v23
	s_waitcnt lgkmcnt(0)
	s_barrier
	ds_read_b32 v23, v18
	s_waitcnt lgkmcnt(0)
	s_barrier
	ds_write_b32 v2, v22
	v_lshrrev_b32_e32 v3, 8, v23
	v_and_b32_e32 v2, 1, v3
	v_add_co_u32_e64 v5, s[26:27], -1, v2
	v_addc_co_u32_e64 v24, s[26:27], 0, -1, s[26:27]
	v_cmp_ne_u32_e64 s[26:27], 0, v2
	v_xor_b32_e32 v2, s27, v24
	v_and_b32_e32 v24, exec_hi, v2
	v_lshlrev_b32_e32 v2, 30, v3
	v_xor_b32_e32 v5, s26, v5
	v_cmp_gt_i64_e64 s[26:27], 0, v[1:2]
	v_not_b32_e32 v2, v2
	v_ashrrev_i32_e32 v2, 31, v2
	v_and_b32_e32 v5, exec_lo, v5
	v_xor_b32_e32 v25, s27, v2
	v_xor_b32_e32 v2, s26, v2
	v_and_b32_e32 v5, v5, v2
	v_lshlrev_b32_e32 v2, 29, v3
	v_cmp_gt_i64_e64 s[26:27], 0, v[1:2]
	v_not_b32_e32 v2, v2
	v_ashrrev_i32_e32 v2, 31, v2
	v_and_b32_e32 v24, v24, v25
	v_xor_b32_e32 v25, s27, v2
	v_xor_b32_e32 v2, s26, v2
	v_and_b32_e32 v5, v5, v2
	v_lshlrev_b32_e32 v2, 28, v3
	v_cmp_gt_i64_e64 s[26:27], 0, v[1:2]
	v_not_b32_e32 v2, v2
	v_ashrrev_i32_e32 v2, 31, v2
	v_and_b32_e32 v24, v24, v25
	;; [unrolled: 8-line block ×5, first 2 shown]
	v_xor_b32_e32 v25, s27, v2
	v_xor_b32_e32 v2, s26, v2
	v_and_b32_e32 v5, v5, v2
	v_lshlrev_b32_e32 v2, 24, v3
	v_cmp_gt_i64_e64 s[26:27], 0, v[1:2]
	v_not_b32_e32 v2, v2
	v_ashrrev_i32_e32 v2, 31, v2
	v_mul_u32_u24_sdwa v4, v3, v6 dst_sel:DWORD dst_unused:UNUSED_PAD src0_sel:BYTE_0 src1_sel:DWORD
	v_xor_b32_e32 v3, s27, v2
	v_xor_b32_e32 v2, s26, v2
	s_waitcnt lgkmcnt(0)
	s_barrier
	ds_read_b32 v22, v18
	v_and_b32_e32 v24, v24, v25
	v_and_b32_e32 v2, v5, v2
	;; [unrolled: 1-line block ×3, first 2 shown]
	v_mbcnt_lo_u32_b32 v5, v2, 0
	v_mbcnt_hi_u32_b32 v24, v3, v5
	v_cmp_ne_u64_e64 s[26:27], 0, v[2:3]
	v_cmp_eq_u32_e64 s[28:29], 0, v24
	s_and_b64 s[28:29], s[26:27], s[28:29]
	v_add_u32_e32 v25, v21, v4
	s_waitcnt lgkmcnt(0)
	s_barrier
	ds_write2_b32 v15, v1, v1 offset0:5 offset1:6
	ds_write2_b32 v15, v1, v1 offset0:7 offset1:8
	s_waitcnt lgkmcnt(0)
	s_barrier
	; wave barrier
	s_and_saveexec_b64 s[26:27], s[28:29]
; %bb.11:                               ;   in Loop: Header=BB33_2 Depth=1
	v_bcnt_u32_b32 v2, v2, 0
	v_bcnt_u32_b32 v2, v3, v2
	ds_write_b32 v25, v2 offset:20
; %bb.12:                               ;   in Loop: Header=BB33_2 Depth=1
	s_or_b64 exec, exec, s[26:27]
	; wave barrier
	s_waitcnt lgkmcnt(0)
	s_barrier
	ds_read2_b32 v[4:5], v15 offset0:5 offset1:6
	ds_read2_b32 v[2:3], v15 offset0:7 offset1:8
	s_waitcnt lgkmcnt(1)
	v_add_u32_e32 v26, v5, v4
	s_waitcnt lgkmcnt(0)
	v_add3_u32 v3, v26, v2, v3
	s_nop 1
	v_mov_b32_dpp v26, v3 row_shr:1 row_mask:0xf bank_mask:0xf
	v_cndmask_b32_e64 v26, v26, 0, s[8:9]
	v_add_u32_e32 v3, v26, v3
	s_nop 1
	v_mov_b32_dpp v26, v3 row_shr:2 row_mask:0xf bank_mask:0xf
	v_cndmask_b32_e64 v26, 0, v26, s[10:11]
	v_add_u32_e32 v3, v3, v26
	;; [unrolled: 4-line block ×4, first 2 shown]
	s_nop 1
	v_mov_b32_dpp v26, v3 row_bcast:15 row_mask:0xf bank_mask:0xf
	v_cndmask_b32_e64 v26, v26, 0, s[16:17]
	v_add_u32_e32 v3, v3, v26
	s_nop 1
	v_mov_b32_dpp v26, v3 row_bcast:31 row_mask:0xf bank_mask:0xf
	v_cndmask_b32_e64 v26, 0, v26, s[4:5]
	v_add_u32_e32 v3, v3, v26
	s_and_saveexec_b64 s[26:27], s[24:25]
; %bb.13:                               ;   in Loop: Header=BB33_2 Depth=1
	ds_write_b32 v16, v3
; %bb.14:                               ;   in Loop: Header=BB33_2 Depth=1
	s_or_b64 exec, exec, s[26:27]
	s_waitcnt lgkmcnt(0)
	s_barrier
	s_and_saveexec_b64 s[26:27], vcc
	s_cbranch_execz .LBB33_16
; %bb.15:                               ;   in Loop: Header=BB33_2 Depth=1
	ds_read_b32 v26, v17
	s_waitcnt lgkmcnt(0)
	s_nop 0
	v_mov_b32_dpp v27, v26 row_shr:1 row_mask:0xf bank_mask:0xf
	v_cndmask_b32_e64 v27, v27, 0, s[18:19]
	v_add_u32_e32 v26, v27, v26
	s_nop 1
	v_mov_b32_dpp v27, v26 row_shr:2 row_mask:0xf bank_mask:0xf
	v_cndmask_b32_e64 v27, 0, v27, s[20:21]
	v_add_u32_e32 v26, v26, v27
	;; [unrolled: 4-line block ×3, first 2 shown]
	ds_write_b32 v17, v26
.LBB33_16:                              ;   in Loop: Header=BB33_2 Depth=1
	s_or_b64 exec, exec, s[26:27]
	v_mov_b32_e32 v26, 0
	s_waitcnt lgkmcnt(0)
	s_barrier
	s_and_saveexec_b64 s[26:27], s[0:1]
; %bb.17:                               ;   in Loop: Header=BB33_2 Depth=1
	ds_read_b32 v26, v19
; %bb.18:                               ;   in Loop: Header=BB33_2 Depth=1
	s_or_b64 exec, exec, s[26:27]
	s_waitcnt lgkmcnt(0)
	v_add_u32_e32 v3, v26, v3
	ds_bpermute_b32 v3, v20, v3
	s_waitcnt lgkmcnt(0)
	v_cndmask_b32_e64 v3, v3, v26, s[6:7]
	v_cndmask_b32_e64 v3, v3, 0, s[2:3]
	v_add_u32_e32 v4, v3, v4
	v_add_u32_e32 v5, v4, v5
	;; [unrolled: 1-line block ×3, first 2 shown]
	ds_write2_b32 v15, v3, v4 offset0:5 offset1:6
	ds_write2_b32 v15, v5, v2 offset0:7 offset1:8
	s_waitcnt lgkmcnt(0)
	s_barrier
	ds_read_b32 v2, v25 offset:20
	v_lshlrev_b32_e32 v3, 2, v24
	s_waitcnt lgkmcnt(0)
	s_barrier
	v_lshl_add_u32 v2, v2, 2, v3
	ds_write_b32 v2, v23
	s_waitcnt lgkmcnt(0)
	s_barrier
	ds_read_b32 v23, v18
	s_waitcnt lgkmcnt(0)
	s_barrier
	ds_write_b32 v2, v22
	v_and_b32_sdwa v2, v23, s36 dst_sel:DWORD dst_unused:UNUSED_PAD src0_sel:WORD_1 src1_sel:DWORD
	v_mul_u32_u24_e32 v4, 20, v2
	v_and_b32_sdwa v2, v23, v7 dst_sel:DWORD dst_unused:UNUSED_PAD src0_sel:WORD_1 src1_sel:DWORD
	v_add_co_u32_e64 v3, s[26:27], -1, v2
	v_addc_co_u32_e64 v5, s[26:27], 0, -1, s[26:27]
	v_cmp_ne_u32_e64 s[26:27], 0, v2
	v_xor_b32_e32 v2, s27, v5
	v_and_b32_e32 v5, exec_hi, v2
	v_lshlrev_b32_sdwa v2, v8, v23 dst_sel:DWORD dst_unused:UNUSED_PAD src0_sel:DWORD src1_sel:WORD_1
	v_xor_b32_e32 v3, s26, v3
	v_cmp_gt_i64_e64 s[26:27], 0, v[1:2]
	v_not_b32_e32 v2, v2
	v_ashrrev_i32_e32 v2, 31, v2
	v_and_b32_e32 v3, exec_lo, v3
	v_xor_b32_e32 v24, s27, v2
	v_xor_b32_e32 v2, s26, v2
	v_and_b32_e32 v3, v3, v2
	v_lshlrev_b32_sdwa v2, v9, v23 dst_sel:DWORD dst_unused:UNUSED_PAD src0_sel:DWORD src1_sel:WORD_1
	v_cmp_gt_i64_e64 s[26:27], 0, v[1:2]
	v_not_b32_e32 v2, v2
	v_ashrrev_i32_e32 v2, 31, v2
	v_and_b32_e32 v5, v5, v24
	v_xor_b32_e32 v24, s27, v2
	v_xor_b32_e32 v2, s26, v2
	v_and_b32_e32 v3, v3, v2
	v_lshlrev_b32_sdwa v2, v10, v23 dst_sel:DWORD dst_unused:UNUSED_PAD src0_sel:DWORD src1_sel:WORD_1
	v_cmp_gt_i64_e64 s[26:27], 0, v[1:2]
	v_not_b32_e32 v2, v2
	v_ashrrev_i32_e32 v2, 31, v2
	v_and_b32_e32 v5, v5, v24
	;; [unrolled: 8-line block ×5, first 2 shown]
	v_xor_b32_e32 v24, s27, v2
	v_xor_b32_e32 v2, s26, v2
	v_and_b32_e32 v5, v5, v24
	v_and_b32_e32 v24, v3, v2
	v_lshlrev_b32_sdwa v2, v14, v23 dst_sel:DWORD dst_unused:UNUSED_PAD src0_sel:DWORD src1_sel:WORD_1
	v_cmp_gt_i64_e64 s[26:27], 0, v[1:2]
	v_not_b32_e32 v2, v2
	v_ashrrev_i32_e32 v2, 31, v2
	v_xor_b32_e32 v3, s27, v2
	v_xor_b32_e32 v2, s26, v2
	s_waitcnt lgkmcnt(0)
	s_barrier
	ds_read_b32 v22, v18
	v_and_b32_e32 v2, v24, v2
	v_and_b32_e32 v3, v5, v3
	v_mbcnt_lo_u32_b32 v5, v2, 0
	v_mbcnt_hi_u32_b32 v24, v3, v5
	v_cmp_ne_u64_e64 s[26:27], 0, v[2:3]
	v_cmp_eq_u32_e64 s[28:29], 0, v24
	s_and_b64 s[28:29], s[26:27], s[28:29]
	v_add_u32_e32 v25, v21, v4
	s_waitcnt lgkmcnt(0)
	s_barrier
	ds_write2_b32 v15, v1, v1 offset0:5 offset1:6
	ds_write2_b32 v15, v1, v1 offset0:7 offset1:8
	s_waitcnt lgkmcnt(0)
	s_barrier
	; wave barrier
	s_and_saveexec_b64 s[26:27], s[28:29]
; %bb.19:                               ;   in Loop: Header=BB33_2 Depth=1
	v_bcnt_u32_b32 v2, v2, 0
	v_bcnt_u32_b32 v2, v3, v2
	ds_write_b32 v25, v2 offset:20
; %bb.20:                               ;   in Loop: Header=BB33_2 Depth=1
	s_or_b64 exec, exec, s[26:27]
	; wave barrier
	s_waitcnt lgkmcnt(0)
	s_barrier
	ds_read2_b32 v[4:5], v15 offset0:5 offset1:6
	ds_read2_b32 v[2:3], v15 offset0:7 offset1:8
	s_waitcnt lgkmcnt(1)
	v_add_u32_e32 v26, v5, v4
	s_waitcnt lgkmcnt(0)
	v_add3_u32 v3, v26, v2, v3
	s_nop 1
	v_mov_b32_dpp v26, v3 row_shr:1 row_mask:0xf bank_mask:0xf
	v_cndmask_b32_e64 v26, v26, 0, s[8:9]
	v_add_u32_e32 v3, v26, v3
	s_nop 1
	v_mov_b32_dpp v26, v3 row_shr:2 row_mask:0xf bank_mask:0xf
	v_cndmask_b32_e64 v26, 0, v26, s[10:11]
	v_add_u32_e32 v3, v3, v26
	;; [unrolled: 4-line block ×4, first 2 shown]
	s_nop 1
	v_mov_b32_dpp v26, v3 row_bcast:15 row_mask:0xf bank_mask:0xf
	v_cndmask_b32_e64 v26, v26, 0, s[16:17]
	v_add_u32_e32 v3, v3, v26
	s_nop 1
	v_mov_b32_dpp v26, v3 row_bcast:31 row_mask:0xf bank_mask:0xf
	v_cndmask_b32_e64 v26, 0, v26, s[4:5]
	v_add_u32_e32 v3, v3, v26
	s_and_saveexec_b64 s[26:27], s[24:25]
; %bb.21:                               ;   in Loop: Header=BB33_2 Depth=1
	ds_write_b32 v16, v3
; %bb.22:                               ;   in Loop: Header=BB33_2 Depth=1
	s_or_b64 exec, exec, s[26:27]
	s_waitcnt lgkmcnt(0)
	s_barrier
	s_and_saveexec_b64 s[26:27], vcc
	s_cbranch_execz .LBB33_24
; %bb.23:                               ;   in Loop: Header=BB33_2 Depth=1
	ds_read_b32 v26, v17
	s_waitcnt lgkmcnt(0)
	s_nop 0
	v_mov_b32_dpp v27, v26 row_shr:1 row_mask:0xf bank_mask:0xf
	v_cndmask_b32_e64 v27, v27, 0, s[18:19]
	v_add_u32_e32 v26, v27, v26
	s_nop 1
	v_mov_b32_dpp v27, v26 row_shr:2 row_mask:0xf bank_mask:0xf
	v_cndmask_b32_e64 v27, 0, v27, s[20:21]
	v_add_u32_e32 v26, v26, v27
	s_nop 1
	v_mov_b32_dpp v27, v26 row_shr:4 row_mask:0xf bank_mask:0xf
	v_cndmask_b32_e64 v27, 0, v27, s[22:23]
	v_add_u32_e32 v26, v26, v27
	ds_write_b32 v17, v26
.LBB33_24:                              ;   in Loop: Header=BB33_2 Depth=1
	s_or_b64 exec, exec, s[26:27]
	v_mov_b32_e32 v26, 0
	s_waitcnt lgkmcnt(0)
	s_barrier
	s_and_saveexec_b64 s[26:27], s[0:1]
; %bb.25:                               ;   in Loop: Header=BB33_2 Depth=1
	ds_read_b32 v26, v19
; %bb.26:                               ;   in Loop: Header=BB33_2 Depth=1
	s_or_b64 exec, exec, s[26:27]
	s_waitcnt lgkmcnt(0)
	v_add_u32_e32 v3, v26, v3
	ds_bpermute_b32 v3, v20, v3
	s_waitcnt lgkmcnt(0)
	v_cndmask_b32_e64 v3, v3, v26, s[6:7]
	v_cndmask_b32_e64 v3, v3, 0, s[2:3]
	v_add_u32_e32 v4, v3, v4
	v_add_u32_e32 v5, v4, v5
	;; [unrolled: 1-line block ×3, first 2 shown]
	ds_write2_b32 v15, v3, v4 offset0:5 offset1:6
	ds_write2_b32 v15, v5, v2 offset0:7 offset1:8
	s_waitcnt lgkmcnt(0)
	s_barrier
	ds_read_b32 v2, v25 offset:20
	v_lshlrev_b32_e32 v3, 2, v24
	s_waitcnt lgkmcnt(0)
	s_barrier
	v_lshl_add_u32 v2, v2, 2, v3
	ds_write_b32 v2, v23
	s_waitcnt lgkmcnt(0)
	s_barrier
	ds_read_b32 v23, v18
	s_waitcnt lgkmcnt(0)
	s_barrier
	ds_write_b32 v2, v22
	v_and_b32_sdwa v2, v23, v7 dst_sel:DWORD dst_unused:UNUSED_PAD src0_sel:BYTE_3 src1_sel:DWORD
	v_add_co_u32_e64 v3, s[26:27], -1, v2
	v_addc_co_u32_e64 v5, s[26:27], 0, -1, s[26:27]
	v_cmp_ne_u32_e64 s[26:27], 0, v2
	v_xor_b32_e32 v2, s27, v5
	v_and_b32_e32 v5, exec_hi, v2
	v_lshlrev_b32_sdwa v2, v8, v23 dst_sel:DWORD dst_unused:UNUSED_PAD src0_sel:DWORD src1_sel:BYTE_3
	v_xor_b32_e32 v3, s26, v3
	v_cmp_gt_i64_e64 s[26:27], 0, v[1:2]
	v_not_b32_e32 v2, v2
	v_ashrrev_i32_e32 v2, 31, v2
	v_and_b32_e32 v3, exec_lo, v3
	v_xor_b32_e32 v24, s27, v2
	v_xor_b32_e32 v2, s26, v2
	v_and_b32_e32 v3, v3, v2
	v_lshlrev_b32_sdwa v2, v9, v23 dst_sel:DWORD dst_unused:UNUSED_PAD src0_sel:DWORD src1_sel:BYTE_3
	v_cmp_gt_i64_e64 s[26:27], 0, v[1:2]
	v_not_b32_e32 v2, v2
	v_ashrrev_i32_e32 v2, 31, v2
	v_and_b32_e32 v5, v5, v24
	v_xor_b32_e32 v24, s27, v2
	v_xor_b32_e32 v2, s26, v2
	v_and_b32_e32 v3, v3, v2
	v_lshlrev_b32_sdwa v2, v10, v23 dst_sel:DWORD dst_unused:UNUSED_PAD src0_sel:DWORD src1_sel:BYTE_3
	v_cmp_gt_i64_e64 s[26:27], 0, v[1:2]
	v_not_b32_e32 v2, v2
	v_ashrrev_i32_e32 v2, 31, v2
	v_and_b32_e32 v5, v5, v24
	;; [unrolled: 8-line block ×5, first 2 shown]
	v_xor_b32_e32 v24, s27, v2
	v_xor_b32_e32 v2, s26, v2
	v_and_b32_e32 v5, v5, v24
	v_and_b32_e32 v24, v3, v2
	v_lshlrev_b32_sdwa v2, v14, v23 dst_sel:DWORD dst_unused:UNUSED_PAD src0_sel:DWORD src1_sel:BYTE_3
	v_cmp_gt_i64_e64 s[26:27], 0, v[1:2]
	v_not_b32_e32 v2, v2
	v_ashrrev_i32_e32 v2, 31, v2
	v_xor_b32_e32 v3, s27, v2
	v_xor_b32_e32 v2, s26, v2
	s_waitcnt lgkmcnt(0)
	s_barrier
	ds_read_b32 v22, v18
	v_and_b32_e32 v2, v24, v2
	v_and_b32_e32 v3, v5, v3
	v_mbcnt_lo_u32_b32 v5, v2, 0
	v_mbcnt_hi_u32_b32 v24, v3, v5
	v_cmp_ne_u64_e64 s[26:27], 0, v[2:3]
	v_mul_u32_u24_sdwa v4, v23, v6 dst_sel:DWORD dst_unused:UNUSED_PAD src0_sel:BYTE_3 src1_sel:DWORD
	v_cmp_eq_u32_e64 s[28:29], 0, v24
	s_and_b64 s[28:29], s[26:27], s[28:29]
	v_add_u32_e32 v25, v21, v4
	s_waitcnt lgkmcnt(0)
	s_barrier
	ds_write2_b32 v15, v1, v1 offset0:5 offset1:6
	ds_write2_b32 v15, v1, v1 offset0:7 offset1:8
	s_waitcnt lgkmcnt(0)
	s_barrier
	; wave barrier
	s_and_saveexec_b64 s[26:27], s[28:29]
; %bb.27:                               ;   in Loop: Header=BB33_2 Depth=1
	v_bcnt_u32_b32 v2, v2, 0
	v_bcnt_u32_b32 v2, v3, v2
	ds_write_b32 v25, v2 offset:20
; %bb.28:                               ;   in Loop: Header=BB33_2 Depth=1
	s_or_b64 exec, exec, s[26:27]
	; wave barrier
	s_waitcnt lgkmcnt(0)
	s_barrier
	ds_read2_b32 v[4:5], v15 offset0:5 offset1:6
	ds_read2_b32 v[2:3], v15 offset0:7 offset1:8
	s_waitcnt lgkmcnt(1)
	v_add_u32_e32 v26, v5, v4
	s_waitcnt lgkmcnt(0)
	v_add3_u32 v3, v26, v2, v3
	s_nop 1
	v_mov_b32_dpp v26, v3 row_shr:1 row_mask:0xf bank_mask:0xf
	v_cndmask_b32_e64 v26, v26, 0, s[8:9]
	v_add_u32_e32 v3, v26, v3
	s_nop 1
	v_mov_b32_dpp v26, v3 row_shr:2 row_mask:0xf bank_mask:0xf
	v_cndmask_b32_e64 v26, 0, v26, s[10:11]
	v_add_u32_e32 v3, v3, v26
	;; [unrolled: 4-line block ×4, first 2 shown]
	s_nop 1
	v_mov_b32_dpp v26, v3 row_bcast:15 row_mask:0xf bank_mask:0xf
	v_cndmask_b32_e64 v26, v26, 0, s[16:17]
	v_add_u32_e32 v3, v3, v26
	s_nop 1
	v_mov_b32_dpp v26, v3 row_bcast:31 row_mask:0xf bank_mask:0xf
	v_cndmask_b32_e64 v26, 0, v26, s[4:5]
	v_add_u32_e32 v3, v3, v26
	s_and_saveexec_b64 s[26:27], s[24:25]
; %bb.29:                               ;   in Loop: Header=BB33_2 Depth=1
	ds_write_b32 v16, v3
; %bb.30:                               ;   in Loop: Header=BB33_2 Depth=1
	s_or_b64 exec, exec, s[26:27]
	s_waitcnt lgkmcnt(0)
	s_barrier
	s_and_saveexec_b64 s[26:27], vcc
	s_cbranch_execz .LBB33_32
; %bb.31:                               ;   in Loop: Header=BB33_2 Depth=1
	ds_read_b32 v26, v17
	s_waitcnt lgkmcnt(0)
	s_nop 0
	v_mov_b32_dpp v27, v26 row_shr:1 row_mask:0xf bank_mask:0xf
	v_cndmask_b32_e64 v27, v27, 0, s[18:19]
	v_add_u32_e32 v26, v27, v26
	s_nop 1
	v_mov_b32_dpp v27, v26 row_shr:2 row_mask:0xf bank_mask:0xf
	v_cndmask_b32_e64 v27, 0, v27, s[20:21]
	v_add_u32_e32 v26, v26, v27
	;; [unrolled: 4-line block ×3, first 2 shown]
	ds_write_b32 v17, v26
.LBB33_32:                              ;   in Loop: Header=BB33_2 Depth=1
	s_or_b64 exec, exec, s[26:27]
	v_mov_b32_e32 v26, 0
	s_waitcnt lgkmcnt(0)
	s_barrier
	s_and_saveexec_b64 s[26:27], s[0:1]
	s_cbranch_execz .LBB33_1
; %bb.33:                               ;   in Loop: Header=BB33_2 Depth=1
	ds_read_b32 v26, v19
	s_branch .LBB33_1
.LBB33_34:
	s_brev_b32 s0, 1
	s_waitcnt lgkmcnt(0)
	v_add3_u32 v1, v22, v23, s0
	s_add_u32 s0, s30, s34
	s_addc_u32 s1, s31, s35
	v_lshlrev_b32_e32 v0, 2, v0
	global_store_dword v0, v1, s[0:1]
	s_endpgm
	.section	.rodata,"a",@progbits
	.p2align	6, 0x0
	.amdhsa_kernel _Z17sort_pairs_kernelI22helper_blocked_blockediLj320ELj1ELj10EEvPKT0_PS1_
		.amdhsa_group_segment_fixed_size 5152
		.amdhsa_private_segment_fixed_size 0
		.amdhsa_kernarg_size 272
		.amdhsa_user_sgpr_count 6
		.amdhsa_user_sgpr_private_segment_buffer 1
		.amdhsa_user_sgpr_dispatch_ptr 0
		.amdhsa_user_sgpr_queue_ptr 0
		.amdhsa_user_sgpr_kernarg_segment_ptr 1
		.amdhsa_user_sgpr_dispatch_id 0
		.amdhsa_user_sgpr_flat_scratch_init 0
		.amdhsa_user_sgpr_private_segment_size 0
		.amdhsa_uses_dynamic_stack 0
		.amdhsa_system_sgpr_private_segment_wavefront_offset 0
		.amdhsa_system_sgpr_workgroup_id_x 1
		.amdhsa_system_sgpr_workgroup_id_y 0
		.amdhsa_system_sgpr_workgroup_id_z 0
		.amdhsa_system_sgpr_workgroup_info 0
		.amdhsa_system_vgpr_workitem_id 2
		.amdhsa_next_free_vgpr 28
		.amdhsa_next_free_sgpr 37
		.amdhsa_reserve_vcc 1
		.amdhsa_reserve_flat_scratch 0
		.amdhsa_float_round_mode_32 0
		.amdhsa_float_round_mode_16_64 0
		.amdhsa_float_denorm_mode_32 3
		.amdhsa_float_denorm_mode_16_64 3
		.amdhsa_dx10_clamp 1
		.amdhsa_ieee_mode 1
		.amdhsa_fp16_overflow 0
		.amdhsa_exception_fp_ieee_invalid_op 0
		.amdhsa_exception_fp_denorm_src 0
		.amdhsa_exception_fp_ieee_div_zero 0
		.amdhsa_exception_fp_ieee_overflow 0
		.amdhsa_exception_fp_ieee_underflow 0
		.amdhsa_exception_fp_ieee_inexact 0
		.amdhsa_exception_int_div_zero 0
	.end_amdhsa_kernel
	.section	.text._Z17sort_pairs_kernelI22helper_blocked_blockediLj320ELj1ELj10EEvPKT0_PS1_,"axG",@progbits,_Z17sort_pairs_kernelI22helper_blocked_blockediLj320ELj1ELj10EEvPKT0_PS1_,comdat
.Lfunc_end33:
	.size	_Z17sort_pairs_kernelI22helper_blocked_blockediLj320ELj1ELj10EEvPKT0_PS1_, .Lfunc_end33-_Z17sort_pairs_kernelI22helper_blocked_blockediLj320ELj1ELj10EEvPKT0_PS1_
                                        ; -- End function
	.set _Z17sort_pairs_kernelI22helper_blocked_blockediLj320ELj1ELj10EEvPKT0_PS1_.num_vgpr, 28
	.set _Z17sort_pairs_kernelI22helper_blocked_blockediLj320ELj1ELj10EEvPKT0_PS1_.num_agpr, 0
	.set _Z17sort_pairs_kernelI22helper_blocked_blockediLj320ELj1ELj10EEvPKT0_PS1_.numbered_sgpr, 37
	.set _Z17sort_pairs_kernelI22helper_blocked_blockediLj320ELj1ELj10EEvPKT0_PS1_.num_named_barrier, 0
	.set _Z17sort_pairs_kernelI22helper_blocked_blockediLj320ELj1ELj10EEvPKT0_PS1_.private_seg_size, 0
	.set _Z17sort_pairs_kernelI22helper_blocked_blockediLj320ELj1ELj10EEvPKT0_PS1_.uses_vcc, 1
	.set _Z17sort_pairs_kernelI22helper_blocked_blockediLj320ELj1ELj10EEvPKT0_PS1_.uses_flat_scratch, 0
	.set _Z17sort_pairs_kernelI22helper_blocked_blockediLj320ELj1ELj10EEvPKT0_PS1_.has_dyn_sized_stack, 0
	.set _Z17sort_pairs_kernelI22helper_blocked_blockediLj320ELj1ELj10EEvPKT0_PS1_.has_recursion, 0
	.set _Z17sort_pairs_kernelI22helper_blocked_blockediLj320ELj1ELj10EEvPKT0_PS1_.has_indirect_call, 0
	.section	.AMDGPU.csdata,"",@progbits
; Kernel info:
; codeLenInByte = 4136
; TotalNumSgprs: 41
; NumVgprs: 28
; ScratchSize: 0
; MemoryBound: 0
; FloatMode: 240
; IeeeMode: 1
; LDSByteSize: 5152 bytes/workgroup (compile time only)
; SGPRBlocks: 5
; VGPRBlocks: 6
; NumSGPRsForWavesPerEU: 41
; NumVGPRsForWavesPerEU: 28
; Occupancy: 9
; WaveLimiterHint : 0
; COMPUTE_PGM_RSRC2:SCRATCH_EN: 0
; COMPUTE_PGM_RSRC2:USER_SGPR: 6
; COMPUTE_PGM_RSRC2:TRAP_HANDLER: 0
; COMPUTE_PGM_RSRC2:TGID_X_EN: 1
; COMPUTE_PGM_RSRC2:TGID_Y_EN: 0
; COMPUTE_PGM_RSRC2:TGID_Z_EN: 0
; COMPUTE_PGM_RSRC2:TIDIG_COMP_CNT: 2
	.section	.text._Z16sort_keys_kernelI22helper_blocked_blockediLj320ELj3ELj10EEvPKT0_PS1_,"axG",@progbits,_Z16sort_keys_kernelI22helper_blocked_blockediLj320ELj3ELj10EEvPKT0_PS1_,comdat
	.protected	_Z16sort_keys_kernelI22helper_blocked_blockediLj320ELj3ELj10EEvPKT0_PS1_ ; -- Begin function _Z16sort_keys_kernelI22helper_blocked_blockediLj320ELj3ELj10EEvPKT0_PS1_
	.globl	_Z16sort_keys_kernelI22helper_blocked_blockediLj320ELj3ELj10EEvPKT0_PS1_
	.p2align	8
	.type	_Z16sort_keys_kernelI22helper_blocked_blockediLj320ELj3ELj10EEvPKT0_PS1_,@function
_Z16sort_keys_kernelI22helper_blocked_blockediLj320ELj3ELj10EEvPKT0_PS1_: ; @_Z16sort_keys_kernelI22helper_blocked_blockediLj320ELj3ELj10EEvPKT0_PS1_
; %bb.0:
	s_load_dwordx4 s[28:31], s[4:5], 0x0
	s_load_dword s2, s[4:5], 0x1c
	s_mul_i32 s34, s6, 0x3c0
	s_mov_b32 s35, 0
	s_lshl_b64 s[36:37], s[34:35], 2
	s_waitcnt lgkmcnt(0)
	s_add_u32 s0, s28, s36
	s_addc_u32 s1, s29, s37
	v_lshlrev_b32_e32 v3, 2, v0
	global_load_dword v4, v3, s[0:1]
	global_load_dword v5, v3, s[0:1] offset:1280
	global_load_dword v17, v3, s[0:1] offset:2560
	s_lshr_b32 s0, s2, 16
	v_mbcnt_lo_u32_b32 v6, -1, 0
	s_and_b32 s1, s2, 0xffff
	v_mad_u32_u24 v1, v2, s0, v1
	v_mbcnt_hi_u32_b32 v12, -1, v6
	v_mad_u64_u32 v[1:2], s[0:1], v1, s1, v[0:1]
	v_and_b32_e32 v2, 15, v12
	v_cmp_eq_u32_e64 s[0:1], 0, v2
	v_cmp_lt_u32_e64 s[2:3], 1, v2
	v_cmp_lt_u32_e64 s[4:5], 3, v2
	;; [unrolled: 1-line block ×3, first 2 shown]
	v_and_b32_e32 v2, 16, v12
	v_cmp_eq_u32_e64 s[8:9], 0, v2
	v_and_b32_e32 v2, 0x1c0, v0
	v_min_u32_e32 v9, 0x100, v2
	v_lshrrev_b32_e32 v10, 6, v0
	v_or_b32_e32 v9, 63, v9
	v_mul_u32_u24_e32 v6, 0xc0, v10
	v_cmp_eq_u32_e64 s[12:13], v0, v9
	v_subrev_co_u32_e64 v9, s[18:19], 1, v12
	v_and_b32_e32 v11, 64, v12
	v_lshlrev_b32_e32 v7, 2, v6
	v_lshlrev_b32_e32 v8, 4, v0
	v_cmp_lt_i32_e32 vcc, v9, v11
	v_lshrrev_b32_e32 v1, 4, v1
	v_mad_u32_u24 v6, v12, 12, v7
	v_lshlrev_b32_e32 v14, 2, v12
	v_cmp_lt_u32_e64 s[10:11], 31, v12
	v_cndmask_b32_e32 v9, v9, v12, vcc
	v_lshlrev_b32_e32 v10, 2, v10
	v_mad_i32_i24 v11, v0, -12, v8
	v_and_b32_e32 v12, 7, v12
	v_mul_u32_u24_e32 v2, 12, v2
	v_and_b32_e32 v13, 0xffffffc, v1
	v_lshlrev_b32_e32 v1, 3, v0
	v_mov_b32_e32 v3, 0
	v_add_u32_e32 v7, v14, v7
	v_cmp_gt_u32_e64 s[14:15], 5, v0
	v_cmp_lt_u32_e64 s[16:17], 63, v0
	v_lshlrev_b32_e32 v9, 2, v9
	v_cmp_eq_u32_e64 s[20:21], 0, v0
	v_cmp_eq_u32_e64 s[22:23], 0, v12
	v_cmp_lt_u32_e64 s[24:25], 1, v12
	v_cmp_lt_u32_e64 s[26:27], 3, v12
	v_add_u32_e32 v12, -4, v10
	v_add_u32_e32 v14, v14, v2
	v_add_u32_e32 v15, v11, v1
	v_mov_b32_e32 v16, 20
	s_branch .LBB34_2
.LBB34_1:                               ;   in Loop: Header=BB34_2 Depth=1
	v_lshlrev_b32_e32 v1, 2, v21
	s_barrier
	ds_write_b32 v1, v20
	v_lshlrev_b32_e32 v1, 2, v5
	ds_write_b32 v1, v18
	v_lshlrev_b32_e32 v1, 2, v4
	ds_write_b32 v1, v17
	s_waitcnt lgkmcnt(0)
	s_barrier
	ds_read2_b32 v[1:2], v15 offset1:1
	ds_read_b32 v17, v15 offset:8
	s_add_i32 s35, s35, 1
	s_cmp_eq_u32 s35, 10
	s_waitcnt lgkmcnt(1)
	v_xor_b32_e32 v4, 0x80000000, v1
	v_xor_b32_e32 v5, 0x80000000, v2
	s_waitcnt lgkmcnt(0)
	v_xor_b32_e32 v17, 0x80000000, v17
	s_cbranch_scc1 .LBB34_18
.LBB34_2:                               ; =>This Loop Header: Depth=1
                                        ;     Child Loop BB34_4 Depth 2
	s_waitcnt vmcnt(2)
	v_xor_b32_e32 v1, 0x80000000, v4
	s_waitcnt vmcnt(1)
	v_xor_b32_e32 v2, 0x80000000, v5
	;; [unrolled: 2-line block ×3, first 2 shown]
	ds_write2_b32 v6, v1, v2 offset1:1
	ds_write_b32 v6, v4 offset:8
	; wave barrier
	ds_read2st64_b32 v[1:2], v7 offset1:1
	ds_read_b32 v22, v7 offset:512
	v_mov_b32_e32 v19, v3
	s_waitcnt lgkmcnt(0)
	s_barrier
	; wave barrier
	s_barrier
	s_branch .LBB34_4
.LBB34_3:                               ;   in Loop: Header=BB34_4 Depth=2
	s_andn2_b64 vcc, exec, s[28:29]
	s_cbranch_vccz .LBB34_1
.LBB34_4:                               ;   Parent Loop BB34_2 Depth=1
                                        ; =>  This Inner Loop Header: Depth=2
	v_mov_b32_e32 v20, v1
	v_lshrrev_b32_e32 v1, v19, v20
	v_mov_b32_e32 v18, v2
	v_and_b32_e32 v2, 1, v1
	v_add_co_u32_e32 v4, vcc, -1, v2
	v_addc_co_u32_e64 v21, s[28:29], 0, -1, vcc
	v_cmp_ne_u32_e32 vcc, 0, v2
	v_xor_b32_e32 v4, vcc_lo, v4
	v_xor_b32_e32 v2, vcc_hi, v21
	v_and_b32_e32 v21, exec_lo, v4
	v_lshlrev_b32_e32 v4, 30, v1
	v_cmp_gt_i64_e32 vcc, 0, v[3:4]
	v_not_b32_e32 v4, v4
	v_ashrrev_i32_e32 v4, 31, v4
	v_mov_b32_e32 v17, v22
	v_xor_b32_e32 v22, vcc_hi, v4
	v_xor_b32_e32 v4, vcc_lo, v4
	v_and_b32_e32 v21, v21, v4
	v_lshlrev_b32_e32 v4, 29, v1
	v_cmp_gt_i64_e32 vcc, 0, v[3:4]
	v_not_b32_e32 v4, v4
	v_and_b32_e32 v2, exec_hi, v2
	v_ashrrev_i32_e32 v4, 31, v4
	v_and_b32_e32 v2, v2, v22
	v_xor_b32_e32 v22, vcc_hi, v4
	v_xor_b32_e32 v4, vcc_lo, v4
	v_and_b32_e32 v21, v21, v4
	v_lshlrev_b32_e32 v4, 28, v1
	v_cmp_gt_i64_e32 vcc, 0, v[3:4]
	v_not_b32_e32 v4, v4
	v_ashrrev_i32_e32 v4, 31, v4
	v_and_b32_e32 v2, v2, v22
	v_xor_b32_e32 v22, vcc_hi, v4
	v_xor_b32_e32 v4, vcc_lo, v4
	v_and_b32_e32 v21, v21, v4
	v_lshlrev_b32_e32 v4, 27, v1
	v_cmp_gt_i64_e32 vcc, 0, v[3:4]
	v_not_b32_e32 v4, v4
	;; [unrolled: 8-line block ×4, first 2 shown]
	v_ashrrev_i32_e32 v4, 31, v4
	v_and_b32_e32 v2, v2, v22
	v_xor_b32_e32 v22, vcc_hi, v4
	v_xor_b32_e32 v4, vcc_lo, v4
	v_and_b32_e32 v21, v21, v4
	v_lshlrev_b32_e32 v4, 24, v1
	v_mul_u32_u24_sdwa v5, v1, v16 dst_sel:DWORD dst_unused:UNUSED_PAD src0_sel:BYTE_0 src1_sel:DWORD
	v_cmp_gt_i64_e32 vcc, 0, v[3:4]
	v_not_b32_e32 v1, v4
	v_ashrrev_i32_e32 v1, 31, v1
	v_xor_b32_e32 v4, vcc_hi, v1
	v_xor_b32_e32 v1, vcc_lo, v1
	v_and_b32_e32 v2, v2, v22
	v_and_b32_e32 v1, v21, v1
	v_and_b32_e32 v2, v2, v4
	v_mbcnt_lo_u32_b32 v4, v1, 0
	v_mbcnt_hi_u32_b32 v21, v2, v4
	v_cmp_ne_u64_e32 vcc, 0, v[1:2]
	v_cmp_eq_u32_e64 s[28:29], 0, v21
	s_and_b64 s[38:39], vcc, s[28:29]
	v_add_u32_e32 v22, v13, v5
	ds_write2_b32 v8, v3, v3 offset0:5 offset1:6
	ds_write2_b32 v8, v3, v3 offset0:7 offset1:8
	s_waitcnt lgkmcnt(0)
	s_barrier
	; wave barrier
	s_and_saveexec_b64 s[28:29], s[38:39]
; %bb.5:                                ;   in Loop: Header=BB34_4 Depth=2
	v_bcnt_u32_b32 v1, v1, 0
	v_bcnt_u32_b32 v1, v2, v1
	ds_write_b32 v22, v1 offset:20
; %bb.6:                                ;   in Loop: Header=BB34_4 Depth=2
	s_or_b64 exec, exec, s[28:29]
	v_lshrrev_b32_e32 v1, v19, v18
	v_and_b32_e32 v2, 0xff, v1
	v_mul_u32_u24_e32 v5, 20, v2
	v_mad_u32_u24 v2, v2, 20, v13
	; wave barrier
	ds_read_b32 v23, v2 offset:20
	v_and_b32_e32 v2, 1, v1
	v_add_co_u32_e32 v4, vcc, -1, v2
	v_addc_co_u32_e64 v24, s[28:29], 0, -1, vcc
	v_cmp_ne_u32_e32 vcc, 0, v2
	v_xor_b32_e32 v4, vcc_lo, v4
	v_xor_b32_e32 v2, vcc_hi, v24
	v_and_b32_e32 v24, exec_lo, v4
	v_lshlrev_b32_e32 v4, 30, v1
	v_cmp_gt_i64_e32 vcc, 0, v[3:4]
	v_not_b32_e32 v4, v4
	v_ashrrev_i32_e32 v4, 31, v4
	v_xor_b32_e32 v25, vcc_hi, v4
	v_xor_b32_e32 v4, vcc_lo, v4
	v_and_b32_e32 v24, v24, v4
	v_lshlrev_b32_e32 v4, 29, v1
	v_cmp_gt_i64_e32 vcc, 0, v[3:4]
	v_not_b32_e32 v4, v4
	v_and_b32_e32 v2, exec_hi, v2
	v_ashrrev_i32_e32 v4, 31, v4
	v_and_b32_e32 v2, v2, v25
	v_xor_b32_e32 v25, vcc_hi, v4
	v_xor_b32_e32 v4, vcc_lo, v4
	v_and_b32_e32 v24, v24, v4
	v_lshlrev_b32_e32 v4, 28, v1
	v_cmp_gt_i64_e32 vcc, 0, v[3:4]
	v_not_b32_e32 v4, v4
	v_ashrrev_i32_e32 v4, 31, v4
	v_and_b32_e32 v2, v2, v25
	v_xor_b32_e32 v25, vcc_hi, v4
	v_xor_b32_e32 v4, vcc_lo, v4
	v_and_b32_e32 v24, v24, v4
	v_lshlrev_b32_e32 v4, 27, v1
	v_cmp_gt_i64_e32 vcc, 0, v[3:4]
	v_not_b32_e32 v4, v4
	v_ashrrev_i32_e32 v4, 31, v4
	v_and_b32_e32 v2, v2, v25
	v_xor_b32_e32 v25, vcc_hi, v4
	v_xor_b32_e32 v4, vcc_lo, v4
	v_and_b32_e32 v24, v24, v4
	v_lshlrev_b32_e32 v4, 26, v1
	v_cmp_gt_i64_e32 vcc, 0, v[3:4]
	v_not_b32_e32 v4, v4
	v_ashrrev_i32_e32 v4, 31, v4
	v_and_b32_e32 v2, v2, v25
	v_xor_b32_e32 v25, vcc_hi, v4
	v_xor_b32_e32 v4, vcc_lo, v4
	v_and_b32_e32 v24, v24, v4
	v_lshlrev_b32_e32 v4, 25, v1
	v_cmp_gt_i64_e32 vcc, 0, v[3:4]
	v_not_b32_e32 v4, v4
	v_ashrrev_i32_e32 v4, 31, v4
	v_and_b32_e32 v2, v2, v25
	v_xor_b32_e32 v25, vcc_hi, v4
	v_xor_b32_e32 v4, vcc_lo, v4
	v_and_b32_e32 v24, v24, v4
	v_lshlrev_b32_e32 v4, 24, v1
	v_cmp_gt_i64_e32 vcc, 0, v[3:4]
	v_not_b32_e32 v1, v4
	v_ashrrev_i32_e32 v1, 31, v1
	v_xor_b32_e32 v4, vcc_hi, v1
	v_xor_b32_e32 v1, vcc_lo, v1
	v_and_b32_e32 v2, v2, v25
	v_and_b32_e32 v1, v24, v1
	;; [unrolled: 1-line block ×3, first 2 shown]
	v_mbcnt_lo_u32_b32 v4, v1, 0
	v_mbcnt_hi_u32_b32 v24, v2, v4
	v_cmp_ne_u64_e32 vcc, 0, v[1:2]
	v_cmp_eq_u32_e64 s[28:29], 0, v24
	s_and_b64 s[38:39], vcc, s[28:29]
	v_add_u32_e32 v25, v13, v5
	; wave barrier
	s_and_saveexec_b64 s[28:29], s[38:39]
	s_cbranch_execz .LBB34_8
; %bb.7:                                ;   in Loop: Header=BB34_4 Depth=2
	v_bcnt_u32_b32 v1, v1, 0
	v_bcnt_u32_b32 v1, v2, v1
	s_waitcnt lgkmcnt(0)
	v_add_u32_e32 v1, v23, v1
	ds_write_b32 v25, v1 offset:20
.LBB34_8:                               ;   in Loop: Header=BB34_4 Depth=2
	s_or_b64 exec, exec, s[28:29]
	v_lshrrev_b32_e32 v1, v19, v17
	v_and_b32_e32 v2, 0xff, v1
	v_mul_u32_u24_e32 v5, 20, v2
	v_mad_u32_u24 v2, v2, 20, v13
	; wave barrier
	ds_read_b32 v26, v2 offset:20
	v_and_b32_e32 v2, 1, v1
	v_add_co_u32_e32 v4, vcc, -1, v2
	v_addc_co_u32_e64 v27, s[28:29], 0, -1, vcc
	v_cmp_ne_u32_e32 vcc, 0, v2
	v_xor_b32_e32 v4, vcc_lo, v4
	v_xor_b32_e32 v2, vcc_hi, v27
	v_and_b32_e32 v27, exec_lo, v4
	v_lshlrev_b32_e32 v4, 30, v1
	v_cmp_gt_i64_e32 vcc, 0, v[3:4]
	v_not_b32_e32 v4, v4
	v_ashrrev_i32_e32 v4, 31, v4
	v_xor_b32_e32 v28, vcc_hi, v4
	v_xor_b32_e32 v4, vcc_lo, v4
	v_and_b32_e32 v27, v27, v4
	v_lshlrev_b32_e32 v4, 29, v1
	v_cmp_gt_i64_e32 vcc, 0, v[3:4]
	v_not_b32_e32 v4, v4
	v_and_b32_e32 v2, exec_hi, v2
	v_ashrrev_i32_e32 v4, 31, v4
	v_and_b32_e32 v2, v2, v28
	v_xor_b32_e32 v28, vcc_hi, v4
	v_xor_b32_e32 v4, vcc_lo, v4
	v_and_b32_e32 v27, v27, v4
	v_lshlrev_b32_e32 v4, 28, v1
	v_cmp_gt_i64_e32 vcc, 0, v[3:4]
	v_not_b32_e32 v4, v4
	v_ashrrev_i32_e32 v4, 31, v4
	v_and_b32_e32 v2, v2, v28
	v_xor_b32_e32 v28, vcc_hi, v4
	v_xor_b32_e32 v4, vcc_lo, v4
	v_and_b32_e32 v27, v27, v4
	v_lshlrev_b32_e32 v4, 27, v1
	v_cmp_gt_i64_e32 vcc, 0, v[3:4]
	v_not_b32_e32 v4, v4
	;; [unrolled: 8-line block ×5, first 2 shown]
	v_ashrrev_i32_e32 v1, 31, v1
	v_xor_b32_e32 v4, vcc_hi, v1
	v_xor_b32_e32 v1, vcc_lo, v1
	v_and_b32_e32 v2, v2, v28
	v_and_b32_e32 v1, v27, v1
	;; [unrolled: 1-line block ×3, first 2 shown]
	v_mbcnt_lo_u32_b32 v4, v1, 0
	v_mbcnt_hi_u32_b32 v27, v2, v4
	v_cmp_ne_u64_e32 vcc, 0, v[1:2]
	v_cmp_eq_u32_e64 s[28:29], 0, v27
	s_and_b64 s[38:39], vcc, s[28:29]
	v_add_u32_e32 v28, v13, v5
	; wave barrier
	s_and_saveexec_b64 s[28:29], s[38:39]
	s_cbranch_execz .LBB34_10
; %bb.9:                                ;   in Loop: Header=BB34_4 Depth=2
	v_bcnt_u32_b32 v1, v1, 0
	v_bcnt_u32_b32 v1, v2, v1
	s_waitcnt lgkmcnt(0)
	v_add_u32_e32 v1, v26, v1
	ds_write_b32 v28, v1 offset:20
.LBB34_10:                              ;   in Loop: Header=BB34_4 Depth=2
	s_or_b64 exec, exec, s[28:29]
	; wave barrier
	s_waitcnt lgkmcnt(0)
	s_barrier
	ds_read2_b32 v[4:5], v8 offset0:5 offset1:6
	ds_read2_b32 v[1:2], v8 offset0:7 offset1:8
	s_waitcnt lgkmcnt(1)
	v_add_u32_e32 v29, v5, v4
	s_waitcnt lgkmcnt(0)
	v_add3_u32 v2, v29, v1, v2
	s_nop 1
	v_mov_b32_dpp v29, v2 row_shr:1 row_mask:0xf bank_mask:0xf
	v_cndmask_b32_e64 v29, v29, 0, s[0:1]
	v_add_u32_e32 v2, v29, v2
	s_nop 1
	v_mov_b32_dpp v29, v2 row_shr:2 row_mask:0xf bank_mask:0xf
	v_cndmask_b32_e64 v29, 0, v29, s[2:3]
	v_add_u32_e32 v2, v2, v29
	;; [unrolled: 4-line block ×4, first 2 shown]
	s_nop 1
	v_mov_b32_dpp v29, v2 row_bcast:15 row_mask:0xf bank_mask:0xf
	v_cndmask_b32_e64 v29, v29, 0, s[8:9]
	v_add_u32_e32 v2, v2, v29
	s_nop 1
	v_mov_b32_dpp v29, v2 row_bcast:31 row_mask:0xf bank_mask:0xf
	v_cndmask_b32_e64 v29, 0, v29, s[10:11]
	v_add_u32_e32 v2, v2, v29
	s_and_saveexec_b64 s[28:29], s[12:13]
; %bb.11:                               ;   in Loop: Header=BB34_4 Depth=2
	ds_write_b32 v10, v2
; %bb.12:                               ;   in Loop: Header=BB34_4 Depth=2
	s_or_b64 exec, exec, s[28:29]
	s_waitcnt lgkmcnt(0)
	s_barrier
	s_and_saveexec_b64 s[28:29], s[14:15]
	s_cbranch_execz .LBB34_14
; %bb.13:                               ;   in Loop: Header=BB34_4 Depth=2
	ds_read_b32 v29, v11
	s_waitcnt lgkmcnt(0)
	s_nop 0
	v_mov_b32_dpp v30, v29 row_shr:1 row_mask:0xf bank_mask:0xf
	v_cndmask_b32_e64 v30, v30, 0, s[22:23]
	v_add_u32_e32 v29, v30, v29
	s_nop 1
	v_mov_b32_dpp v30, v29 row_shr:2 row_mask:0xf bank_mask:0xf
	v_cndmask_b32_e64 v30, 0, v30, s[24:25]
	v_add_u32_e32 v29, v29, v30
	s_nop 1
	v_mov_b32_dpp v30, v29 row_shr:4 row_mask:0xf bank_mask:0xf
	v_cndmask_b32_e64 v30, 0, v30, s[26:27]
	v_add_u32_e32 v29, v29, v30
	ds_write_b32 v11, v29
.LBB34_14:                              ;   in Loop: Header=BB34_4 Depth=2
	s_or_b64 exec, exec, s[28:29]
	v_mov_b32_e32 v29, 0
	s_waitcnt lgkmcnt(0)
	s_barrier
	s_and_saveexec_b64 s[28:29], s[16:17]
; %bb.15:                               ;   in Loop: Header=BB34_4 Depth=2
	ds_read_b32 v29, v12
; %bb.16:                               ;   in Loop: Header=BB34_4 Depth=2
	s_or_b64 exec, exec, s[28:29]
	s_waitcnt lgkmcnt(0)
	v_add_u32_e32 v2, v29, v2
	ds_bpermute_b32 v2, v9, v2
	v_cmp_lt_u32_e32 vcc, 23, v19
	s_and_b64 vcc, exec, vcc
	s_mov_b64 s[28:29], -1
	s_waitcnt lgkmcnt(0)
	v_cndmask_b32_e64 v2, v2, v29, s[18:19]
	v_cndmask_b32_e64 v2, v2, 0, s[20:21]
	v_add_u32_e32 v4, v2, v4
	v_add_u32_e32 v5, v4, v5
	;; [unrolled: 1-line block ×3, first 2 shown]
	ds_write2_b32 v8, v2, v4 offset0:5 offset1:6
	ds_write2_b32 v8, v5, v1 offset0:7 offset1:8
	s_waitcnt lgkmcnt(0)
	s_barrier
	ds_read_b32 v1, v22 offset:20
	ds_read_b32 v2, v25 offset:20
	;; [unrolled: 1-line block ×3, first 2 shown]
                                        ; implicit-def: $vgpr22
	s_waitcnt lgkmcnt(2)
	v_add_u32_e32 v21, v1, v21
	s_waitcnt lgkmcnt(1)
	v_add3_u32 v5, v24, v23, v2
	s_waitcnt lgkmcnt(0)
	v_add3_u32 v4, v27, v26, v4
                                        ; implicit-def: $vgpr2
	s_cbranch_vccnz .LBB34_3
; %bb.17:                               ;   in Loop: Header=BB34_4 Depth=2
	v_lshlrev_b32_e32 v1, 2, v21
	s_barrier
	ds_write_b32 v1, v20
	v_lshlrev_b32_e32 v1, 2, v5
	ds_write_b32 v1, v18
	v_lshlrev_b32_e32 v1, 2, v4
	ds_write_b32 v1, v17
	s_waitcnt lgkmcnt(0)
	s_barrier
	ds_read2st64_b32 v[1:2], v14 offset1:1
	ds_read_b32 v22, v14 offset:512
	v_add_u32_e32 v19, 8, v19
	s_mov_b64 s[28:29], 0
	s_waitcnt lgkmcnt(0)
	s_barrier
	s_branch .LBB34_3
.LBB34_18:
	s_add_u32 s0, s30, s36
	s_addc_u32 s1, s31, s37
	v_lshlrev_b32_e32 v0, 2, v0
	global_store_dword v0, v4, s[0:1]
	global_store_dword v0, v5, s[0:1] offset:1280
	global_store_dword v0, v17, s[0:1] offset:2560
	s_endpgm
	.section	.rodata,"a",@progbits
	.p2align	6, 0x0
	.amdhsa_kernel _Z16sort_keys_kernelI22helper_blocked_blockediLj320ELj3ELj10EEvPKT0_PS1_
		.amdhsa_group_segment_fixed_size 5152
		.amdhsa_private_segment_fixed_size 0
		.amdhsa_kernarg_size 272
		.amdhsa_user_sgpr_count 6
		.amdhsa_user_sgpr_private_segment_buffer 1
		.amdhsa_user_sgpr_dispatch_ptr 0
		.amdhsa_user_sgpr_queue_ptr 0
		.amdhsa_user_sgpr_kernarg_segment_ptr 1
		.amdhsa_user_sgpr_dispatch_id 0
		.amdhsa_user_sgpr_flat_scratch_init 0
		.amdhsa_user_sgpr_private_segment_size 0
		.amdhsa_uses_dynamic_stack 0
		.amdhsa_system_sgpr_private_segment_wavefront_offset 0
		.amdhsa_system_sgpr_workgroup_id_x 1
		.amdhsa_system_sgpr_workgroup_id_y 0
		.amdhsa_system_sgpr_workgroup_id_z 0
		.amdhsa_system_sgpr_workgroup_info 0
		.amdhsa_system_vgpr_workitem_id 2
		.amdhsa_next_free_vgpr 31
		.amdhsa_next_free_sgpr 40
		.amdhsa_reserve_vcc 1
		.amdhsa_reserve_flat_scratch 0
		.amdhsa_float_round_mode_32 0
		.amdhsa_float_round_mode_16_64 0
		.amdhsa_float_denorm_mode_32 3
		.amdhsa_float_denorm_mode_16_64 3
		.amdhsa_dx10_clamp 1
		.amdhsa_ieee_mode 1
		.amdhsa_fp16_overflow 0
		.amdhsa_exception_fp_ieee_invalid_op 0
		.amdhsa_exception_fp_denorm_src 0
		.amdhsa_exception_fp_ieee_div_zero 0
		.amdhsa_exception_fp_ieee_overflow 0
		.amdhsa_exception_fp_ieee_underflow 0
		.amdhsa_exception_fp_ieee_inexact 0
		.amdhsa_exception_int_div_zero 0
	.end_amdhsa_kernel
	.section	.text._Z16sort_keys_kernelI22helper_blocked_blockediLj320ELj3ELj10EEvPKT0_PS1_,"axG",@progbits,_Z16sort_keys_kernelI22helper_blocked_blockediLj320ELj3ELj10EEvPKT0_PS1_,comdat
.Lfunc_end34:
	.size	_Z16sort_keys_kernelI22helper_blocked_blockediLj320ELj3ELj10EEvPKT0_PS1_, .Lfunc_end34-_Z16sort_keys_kernelI22helper_blocked_blockediLj320ELj3ELj10EEvPKT0_PS1_
                                        ; -- End function
	.set _Z16sort_keys_kernelI22helper_blocked_blockediLj320ELj3ELj10EEvPKT0_PS1_.num_vgpr, 31
	.set _Z16sort_keys_kernelI22helper_blocked_blockediLj320ELj3ELj10EEvPKT0_PS1_.num_agpr, 0
	.set _Z16sort_keys_kernelI22helper_blocked_blockediLj320ELj3ELj10EEvPKT0_PS1_.numbered_sgpr, 40
	.set _Z16sort_keys_kernelI22helper_blocked_blockediLj320ELj3ELj10EEvPKT0_PS1_.num_named_barrier, 0
	.set _Z16sort_keys_kernelI22helper_blocked_blockediLj320ELj3ELj10EEvPKT0_PS1_.private_seg_size, 0
	.set _Z16sort_keys_kernelI22helper_blocked_blockediLj320ELj3ELj10EEvPKT0_PS1_.uses_vcc, 1
	.set _Z16sort_keys_kernelI22helper_blocked_blockediLj320ELj3ELj10EEvPKT0_PS1_.uses_flat_scratch, 0
	.set _Z16sort_keys_kernelI22helper_blocked_blockediLj320ELj3ELj10EEvPKT0_PS1_.has_dyn_sized_stack, 0
	.set _Z16sort_keys_kernelI22helper_blocked_blockediLj320ELj3ELj10EEvPKT0_PS1_.has_recursion, 0
	.set _Z16sort_keys_kernelI22helper_blocked_blockediLj320ELj3ELj10EEvPKT0_PS1_.has_indirect_call, 0
	.section	.AMDGPU.csdata,"",@progbits
; Kernel info:
; codeLenInByte = 2304
; TotalNumSgprs: 44
; NumVgprs: 31
; ScratchSize: 0
; MemoryBound: 0
; FloatMode: 240
; IeeeMode: 1
; LDSByteSize: 5152 bytes/workgroup (compile time only)
; SGPRBlocks: 5
; VGPRBlocks: 7
; NumSGPRsForWavesPerEU: 44
; NumVGPRsForWavesPerEU: 31
; Occupancy: 8
; WaveLimiterHint : 1
; COMPUTE_PGM_RSRC2:SCRATCH_EN: 0
; COMPUTE_PGM_RSRC2:USER_SGPR: 6
; COMPUTE_PGM_RSRC2:TRAP_HANDLER: 0
; COMPUTE_PGM_RSRC2:TGID_X_EN: 1
; COMPUTE_PGM_RSRC2:TGID_Y_EN: 0
; COMPUTE_PGM_RSRC2:TGID_Z_EN: 0
; COMPUTE_PGM_RSRC2:TIDIG_COMP_CNT: 2
	.section	.text._Z17sort_pairs_kernelI22helper_blocked_blockediLj320ELj3ELj10EEvPKT0_PS1_,"axG",@progbits,_Z17sort_pairs_kernelI22helper_blocked_blockediLj320ELj3ELj10EEvPKT0_PS1_,comdat
	.protected	_Z17sort_pairs_kernelI22helper_blocked_blockediLj320ELj3ELj10EEvPKT0_PS1_ ; -- Begin function _Z17sort_pairs_kernelI22helper_blocked_blockediLj320ELj3ELj10EEvPKT0_PS1_
	.globl	_Z17sort_pairs_kernelI22helper_blocked_blockediLj320ELj3ELj10EEvPKT0_PS1_
	.p2align	8
	.type	_Z17sort_pairs_kernelI22helper_blocked_blockediLj320ELj3ELj10EEvPKT0_PS1_,@function
_Z17sort_pairs_kernelI22helper_blocked_blockediLj320ELj3ELj10EEvPKT0_PS1_: ; @_Z17sort_pairs_kernelI22helper_blocked_blockediLj320ELj3ELj10EEvPKT0_PS1_
; %bb.0:
	s_load_dwordx4 s[28:31], s[4:5], 0x0
	s_load_dword s26, s[4:5], 0x1c
	s_mul_i32 s36, s6, 0x3c0
	s_mov_b32 s37, 0
	s_lshl_b64 s[34:35], s[36:37], 2
	s_waitcnt lgkmcnt(0)
	s_add_u32 s0, s28, s34
	s_addc_u32 s1, s29, s35
	v_lshlrev_b32_e32 v3, 2, v0
	global_load_dword v17, v3, s[0:1]
	global_load_dword v18, v3, s[0:1] offset:1280
	global_load_dword v19, v3, s[0:1] offset:2560
	s_lshr_b32 s27, s26, 16
	s_and_b32 s26, s26, 0xffff
	v_mad_u32_u24 v1, v2, s27, v1
	v_mbcnt_lo_u32_b32 v4, -1, 0
	v_mad_u64_u32 v[1:2], s[26:27], v1, s26, v[0:1]
	v_mbcnt_hi_u32_b32 v4, -1, v4
	v_lshrrev_b32_e32 v5, 6, v0
	v_and_b32_e32 v9, 0x1c0, v0
	v_subrev_co_u32_e64 v16, s[8:9], 1, v4
	v_and_b32_e32 v20, 64, v4
	v_lshlrev_b32_e32 v6, 4, v0
	v_mul_u32_u24_e32 v10, 0xc0, v5
	v_and_b32_e32 v14, 16, v4
	v_min_u32_e32 v15, 0x100, v9
	v_cmp_lt_i32_e32 vcc, v16, v20
	v_lshlrev_b32_e32 v11, 3, v0
	v_lshlrev_b32_e32 v13, 2, v4
	v_and_b32_e32 v12, 15, v4
	v_lshlrev_b32_e32 v7, 2, v5
	v_mad_i32_i24 v8, v0, -12, v6
	v_and_b32_e32 v5, 7, v4
	v_mul_u32_u24_e32 v21, 12, v9
	v_cmp_eq_u32_e64 s[18:19], 0, v14
	v_lshlrev_b32_e32 v14, 2, v10
	v_or_b32_e32 v15, 63, v15
	v_cndmask_b32_e32 v16, v16, v4, vcc
	v_lshrrev_b32_e32 v1, 4, v1
	v_mov_b32_e32 v3, 0
	v_cmp_gt_u32_e64 s[0:1], 5, v0
	v_cmp_lt_u32_e64 s[2:3], 63, v0
	v_cmp_eq_u32_e64 s[4:5], 0, v0
	v_cmp_lt_u32_e64 s[6:7], 31, v4
	v_cmp_eq_u32_e64 s[10:11], 0, v12
	v_cmp_lt_u32_e64 s[12:13], 1, v12
	v_cmp_lt_u32_e64 s[14:15], 3, v12
	v_cmp_lt_u32_e64 s[16:17], 7, v12
	v_cmp_eq_u32_e64 s[20:21], 0, v5
	v_cmp_lt_u32_e64 s[22:23], 1, v5
	v_cmp_lt_u32_e64 s[24:25], 3, v5
	v_add_u32_e32 v9, -4, v7
	v_add_u32_e32 v10, v13, v21
	v_add_u32_e32 v11, v8, v11
	v_mad_u32_u24 v12, v4, 12, v14
	v_add_u32_e32 v13, v13, v14
	v_cmp_eq_u32_e64 s[26:27], v0, v15
	v_lshlrev_b32_e32 v14, 2, v16
	v_and_b32_e32 v15, 0xffffffc, v1
	v_mov_b32_e32 v16, 20
	s_waitcnt vmcnt(2)
	v_add_u32_e32 v4, 1, v17
	s_waitcnt vmcnt(1)
	v_add_u32_e32 v5, 1, v18
	;; [unrolled: 2-line block ×3, first 2 shown]
	s_branch .LBB35_2
.LBB35_1:                               ;   in Loop: Header=BB35_2 Depth=1
	v_lshlrev_b32_e32 v4, 2, v28
	v_lshlrev_b32_e32 v5, 2, v25
	;; [unrolled: 1-line block ×3, first 2 shown]
	s_barrier
	ds_write_b32 v4, v23
	ds_write_b32 v5, v22
	;; [unrolled: 1-line block ×3, first 2 shown]
	s_waitcnt lgkmcnt(0)
	s_barrier
	ds_read2_b32 v[1:2], v11 offset1:1
	ds_read_b32 v22, v11 offset:8
	s_waitcnt lgkmcnt(0)
	s_barrier
	ds_write_b32 v4, v19
	ds_write_b32 v5, v18
	;; [unrolled: 1-line block ×3, first 2 shown]
	s_waitcnt lgkmcnt(0)
	s_barrier
	ds_read2_b32 v[4:5], v11 offset1:1
	ds_read_b32 v20, v11 offset:8
	s_add_i32 s37, s37, 1
	v_xor_b32_e32 v17, 0x80000000, v1
	v_xor_b32_e32 v18, 0x80000000, v2
	s_cmp_eq_u32 s37, 10
	v_xor_b32_e32 v19, 0x80000000, v22
	s_cbranch_scc1 .LBB35_18
.LBB35_2:                               ; =>This Loop Header: Depth=1
                                        ;     Child Loop BB35_4 Depth 2
	v_xor_b32_e32 v1, 0x80000000, v17
	v_xor_b32_e32 v2, 0x80000000, v18
	;; [unrolled: 1-line block ×3, first 2 shown]
	ds_write2_b32 v12, v1, v2 offset1:1
	ds_write_b32 v12, v17 offset:8
	; wave barrier
	ds_read2st64_b32 v[1:2], v13 offset1:1
	ds_read_b32 v26, v13 offset:512
	; wave barrier
	s_waitcnt lgkmcnt(5)
	ds_write2_b32 v12, v4, v5 offset1:1
	s_waitcnt lgkmcnt(5)
	ds_write_b32 v12, v20 offset:8
	; wave barrier
	ds_read2st64_b32 v[4:5], v13 offset1:1
	ds_read_b32 v27, v13 offset:512
	v_mov_b32_e32 v21, v3
	s_waitcnt lgkmcnt(0)
	s_barrier
	s_branch .LBB35_4
.LBB35_3:                               ;   in Loop: Header=BB35_4 Depth=2
	s_andn2_b64 vcc, exec, s[28:29]
	s_cbranch_vccz .LBB35_1
.LBB35_4:                               ;   Parent Loop BB35_2 Depth=1
                                        ; =>  This Inner Loop Header: Depth=2
	v_mov_b32_e32 v23, v1
	v_lshrrev_b32_e32 v1, v21, v23
	v_mov_b32_e32 v22, v2
	v_and_b32_e32 v2, 1, v1
	v_mov_b32_e32 v19, v4
	v_add_co_u32_e32 v4, vcc, -1, v2
	v_addc_co_u32_e64 v24, s[28:29], 0, -1, vcc
	v_cmp_ne_u32_e32 vcc, 0, v2
	v_xor_b32_e32 v4, vcc_lo, v4
	v_xor_b32_e32 v2, vcc_hi, v24
	v_and_b32_e32 v24, exec_lo, v4
	v_lshlrev_b32_e32 v4, 30, v1
	v_cmp_gt_i64_e32 vcc, 0, v[3:4]
	v_not_b32_e32 v4, v4
	v_ashrrev_i32_e32 v4, 31, v4
	v_xor_b32_e32 v25, vcc_hi, v4
	v_xor_b32_e32 v4, vcc_lo, v4
	v_and_b32_e32 v24, v24, v4
	v_lshlrev_b32_e32 v4, 29, v1
	v_cmp_gt_i64_e32 vcc, 0, v[3:4]
	v_not_b32_e32 v4, v4
	v_and_b32_e32 v2, exec_hi, v2
	v_ashrrev_i32_e32 v4, 31, v4
	v_and_b32_e32 v2, v2, v25
	v_xor_b32_e32 v25, vcc_hi, v4
	v_xor_b32_e32 v4, vcc_lo, v4
	v_and_b32_e32 v24, v24, v4
	v_lshlrev_b32_e32 v4, 28, v1
	v_cmp_gt_i64_e32 vcc, 0, v[3:4]
	v_not_b32_e32 v4, v4
	v_ashrrev_i32_e32 v4, 31, v4
	v_and_b32_e32 v2, v2, v25
	v_xor_b32_e32 v25, vcc_hi, v4
	v_xor_b32_e32 v4, vcc_lo, v4
	v_and_b32_e32 v24, v24, v4
	v_lshlrev_b32_e32 v4, 27, v1
	v_cmp_gt_i64_e32 vcc, 0, v[3:4]
	v_not_b32_e32 v4, v4
	;; [unrolled: 8-line block ×4, first 2 shown]
	v_ashrrev_i32_e32 v4, 31, v4
	v_and_b32_e32 v2, v2, v25
	v_xor_b32_e32 v25, vcc_hi, v4
	v_xor_b32_e32 v4, vcc_lo, v4
	v_and_b32_e32 v24, v24, v4
	v_lshlrev_b32_e32 v4, 24, v1
	v_mov_b32_e32 v18, v5
	v_mul_u32_u24_sdwa v5, v1, v16 dst_sel:DWORD dst_unused:UNUSED_PAD src0_sel:BYTE_0 src1_sel:DWORD
	v_cmp_gt_i64_e32 vcc, 0, v[3:4]
	v_not_b32_e32 v1, v4
	v_ashrrev_i32_e32 v1, 31, v1
	v_xor_b32_e32 v4, vcc_hi, v1
	v_xor_b32_e32 v1, vcc_lo, v1
	v_and_b32_e32 v2, v2, v25
	v_and_b32_e32 v1, v24, v1
	;; [unrolled: 1-line block ×3, first 2 shown]
	v_mbcnt_lo_u32_b32 v4, v1, 0
	v_mbcnt_hi_u32_b32 v24, v2, v4
	v_cmp_ne_u64_e32 vcc, 0, v[1:2]
	v_cmp_eq_u32_e64 s[28:29], 0, v24
	v_mov_b32_e32 v20, v26
	v_mov_b32_e32 v17, v27
	s_and_b64 s[38:39], vcc, s[28:29]
	v_add_u32_e32 v25, v15, v5
	ds_write2_b32 v6, v3, v3 offset0:5 offset1:6
	ds_write2_b32 v6, v3, v3 offset0:7 offset1:8
	s_waitcnt lgkmcnt(0)
	s_barrier
	; wave barrier
	s_and_saveexec_b64 s[28:29], s[38:39]
; %bb.5:                                ;   in Loop: Header=BB35_4 Depth=2
	v_bcnt_u32_b32 v1, v1, 0
	v_bcnt_u32_b32 v1, v2, v1
	ds_write_b32 v25, v1 offset:20
; %bb.6:                                ;   in Loop: Header=BB35_4 Depth=2
	s_or_b64 exec, exec, s[28:29]
	v_lshrrev_b32_e32 v1, v21, v22
	v_and_b32_e32 v2, 0xff, v1
	v_mul_u32_u24_e32 v5, 20, v2
	v_mad_u32_u24 v2, v2, 20, v15
	; wave barrier
	ds_read_b32 v26, v2 offset:20
	v_and_b32_e32 v2, 1, v1
	v_add_co_u32_e32 v4, vcc, -1, v2
	v_addc_co_u32_e64 v27, s[28:29], 0, -1, vcc
	v_cmp_ne_u32_e32 vcc, 0, v2
	v_xor_b32_e32 v4, vcc_lo, v4
	v_xor_b32_e32 v2, vcc_hi, v27
	v_and_b32_e32 v27, exec_lo, v4
	v_lshlrev_b32_e32 v4, 30, v1
	v_cmp_gt_i64_e32 vcc, 0, v[3:4]
	v_not_b32_e32 v4, v4
	v_ashrrev_i32_e32 v4, 31, v4
	v_xor_b32_e32 v28, vcc_hi, v4
	v_xor_b32_e32 v4, vcc_lo, v4
	v_and_b32_e32 v27, v27, v4
	v_lshlrev_b32_e32 v4, 29, v1
	v_cmp_gt_i64_e32 vcc, 0, v[3:4]
	v_not_b32_e32 v4, v4
	v_and_b32_e32 v2, exec_hi, v2
	v_ashrrev_i32_e32 v4, 31, v4
	v_and_b32_e32 v2, v2, v28
	v_xor_b32_e32 v28, vcc_hi, v4
	v_xor_b32_e32 v4, vcc_lo, v4
	v_and_b32_e32 v27, v27, v4
	v_lshlrev_b32_e32 v4, 28, v1
	v_cmp_gt_i64_e32 vcc, 0, v[3:4]
	v_not_b32_e32 v4, v4
	v_ashrrev_i32_e32 v4, 31, v4
	v_and_b32_e32 v2, v2, v28
	v_xor_b32_e32 v28, vcc_hi, v4
	v_xor_b32_e32 v4, vcc_lo, v4
	v_and_b32_e32 v27, v27, v4
	v_lshlrev_b32_e32 v4, 27, v1
	v_cmp_gt_i64_e32 vcc, 0, v[3:4]
	v_not_b32_e32 v4, v4
	;; [unrolled: 8-line block ×5, first 2 shown]
	v_ashrrev_i32_e32 v1, 31, v1
	v_xor_b32_e32 v4, vcc_hi, v1
	v_xor_b32_e32 v1, vcc_lo, v1
	v_and_b32_e32 v2, v2, v28
	v_and_b32_e32 v1, v27, v1
	;; [unrolled: 1-line block ×3, first 2 shown]
	v_mbcnt_lo_u32_b32 v4, v1, 0
	v_mbcnt_hi_u32_b32 v27, v2, v4
	v_cmp_ne_u64_e32 vcc, 0, v[1:2]
	v_cmp_eq_u32_e64 s[28:29], 0, v27
	s_and_b64 s[38:39], vcc, s[28:29]
	v_add_u32_e32 v28, v15, v5
	; wave barrier
	s_and_saveexec_b64 s[28:29], s[38:39]
	s_cbranch_execz .LBB35_8
; %bb.7:                                ;   in Loop: Header=BB35_4 Depth=2
	v_bcnt_u32_b32 v1, v1, 0
	v_bcnt_u32_b32 v1, v2, v1
	s_waitcnt lgkmcnt(0)
	v_add_u32_e32 v1, v26, v1
	ds_write_b32 v28, v1 offset:20
.LBB35_8:                               ;   in Loop: Header=BB35_4 Depth=2
	s_or_b64 exec, exec, s[28:29]
	v_lshrrev_b32_e32 v1, v21, v20
	v_and_b32_e32 v2, 0xff, v1
	v_mul_u32_u24_e32 v5, 20, v2
	v_mad_u32_u24 v2, v2, 20, v15
	; wave barrier
	ds_read_b32 v29, v2 offset:20
	v_and_b32_e32 v2, 1, v1
	v_add_co_u32_e32 v4, vcc, -1, v2
	v_addc_co_u32_e64 v30, s[28:29], 0, -1, vcc
	v_cmp_ne_u32_e32 vcc, 0, v2
	v_xor_b32_e32 v4, vcc_lo, v4
	v_xor_b32_e32 v2, vcc_hi, v30
	v_and_b32_e32 v30, exec_lo, v4
	v_lshlrev_b32_e32 v4, 30, v1
	v_cmp_gt_i64_e32 vcc, 0, v[3:4]
	v_not_b32_e32 v4, v4
	v_ashrrev_i32_e32 v4, 31, v4
	v_xor_b32_e32 v31, vcc_hi, v4
	v_xor_b32_e32 v4, vcc_lo, v4
	v_and_b32_e32 v30, v30, v4
	v_lshlrev_b32_e32 v4, 29, v1
	v_cmp_gt_i64_e32 vcc, 0, v[3:4]
	v_not_b32_e32 v4, v4
	v_and_b32_e32 v2, exec_hi, v2
	v_ashrrev_i32_e32 v4, 31, v4
	v_and_b32_e32 v2, v2, v31
	v_xor_b32_e32 v31, vcc_hi, v4
	v_xor_b32_e32 v4, vcc_lo, v4
	v_and_b32_e32 v30, v30, v4
	v_lshlrev_b32_e32 v4, 28, v1
	v_cmp_gt_i64_e32 vcc, 0, v[3:4]
	v_not_b32_e32 v4, v4
	v_ashrrev_i32_e32 v4, 31, v4
	v_and_b32_e32 v2, v2, v31
	v_xor_b32_e32 v31, vcc_hi, v4
	v_xor_b32_e32 v4, vcc_lo, v4
	v_and_b32_e32 v30, v30, v4
	v_lshlrev_b32_e32 v4, 27, v1
	v_cmp_gt_i64_e32 vcc, 0, v[3:4]
	v_not_b32_e32 v4, v4
	;; [unrolled: 8-line block ×5, first 2 shown]
	v_ashrrev_i32_e32 v1, 31, v1
	v_xor_b32_e32 v4, vcc_hi, v1
	v_xor_b32_e32 v1, vcc_lo, v1
	v_and_b32_e32 v2, v2, v31
	v_and_b32_e32 v1, v30, v1
	;; [unrolled: 1-line block ×3, first 2 shown]
	v_mbcnt_lo_u32_b32 v4, v1, 0
	v_mbcnt_hi_u32_b32 v30, v2, v4
	v_cmp_ne_u64_e32 vcc, 0, v[1:2]
	v_cmp_eq_u32_e64 s[28:29], 0, v30
	s_and_b64 s[38:39], vcc, s[28:29]
	v_add_u32_e32 v31, v15, v5
	; wave barrier
	s_and_saveexec_b64 s[28:29], s[38:39]
	s_cbranch_execz .LBB35_10
; %bb.9:                                ;   in Loop: Header=BB35_4 Depth=2
	v_bcnt_u32_b32 v1, v1, 0
	v_bcnt_u32_b32 v1, v2, v1
	s_waitcnt lgkmcnt(0)
	v_add_u32_e32 v1, v29, v1
	ds_write_b32 v31, v1 offset:20
.LBB35_10:                              ;   in Loop: Header=BB35_4 Depth=2
	s_or_b64 exec, exec, s[28:29]
	; wave barrier
	s_waitcnt lgkmcnt(0)
	s_barrier
	ds_read2_b32 v[4:5], v6 offset0:5 offset1:6
	ds_read2_b32 v[1:2], v6 offset0:7 offset1:8
	s_waitcnt lgkmcnt(1)
	v_add_u32_e32 v32, v5, v4
	s_waitcnt lgkmcnt(0)
	v_add3_u32 v2, v32, v1, v2
	s_nop 1
	v_mov_b32_dpp v32, v2 row_shr:1 row_mask:0xf bank_mask:0xf
	v_cndmask_b32_e64 v32, v32, 0, s[10:11]
	v_add_u32_e32 v2, v32, v2
	s_nop 1
	v_mov_b32_dpp v32, v2 row_shr:2 row_mask:0xf bank_mask:0xf
	v_cndmask_b32_e64 v32, 0, v32, s[12:13]
	v_add_u32_e32 v2, v2, v32
	;; [unrolled: 4-line block ×4, first 2 shown]
	s_nop 1
	v_mov_b32_dpp v32, v2 row_bcast:15 row_mask:0xf bank_mask:0xf
	v_cndmask_b32_e64 v32, v32, 0, s[18:19]
	v_add_u32_e32 v2, v2, v32
	s_nop 1
	v_mov_b32_dpp v32, v2 row_bcast:31 row_mask:0xf bank_mask:0xf
	v_cndmask_b32_e64 v32, 0, v32, s[6:7]
	v_add_u32_e32 v2, v2, v32
	s_and_saveexec_b64 s[28:29], s[26:27]
; %bb.11:                               ;   in Loop: Header=BB35_4 Depth=2
	ds_write_b32 v7, v2
; %bb.12:                               ;   in Loop: Header=BB35_4 Depth=2
	s_or_b64 exec, exec, s[28:29]
	s_waitcnt lgkmcnt(0)
	s_barrier
	s_and_saveexec_b64 s[28:29], s[0:1]
	s_cbranch_execz .LBB35_14
; %bb.13:                               ;   in Loop: Header=BB35_4 Depth=2
	ds_read_b32 v32, v8
	s_waitcnt lgkmcnt(0)
	s_nop 0
	v_mov_b32_dpp v33, v32 row_shr:1 row_mask:0xf bank_mask:0xf
	v_cndmask_b32_e64 v33, v33, 0, s[20:21]
	v_add_u32_e32 v32, v33, v32
	s_nop 1
	v_mov_b32_dpp v33, v32 row_shr:2 row_mask:0xf bank_mask:0xf
	v_cndmask_b32_e64 v33, 0, v33, s[22:23]
	v_add_u32_e32 v32, v32, v33
	;; [unrolled: 4-line block ×3, first 2 shown]
	ds_write_b32 v8, v32
.LBB35_14:                              ;   in Loop: Header=BB35_4 Depth=2
	s_or_b64 exec, exec, s[28:29]
	v_mov_b32_e32 v32, 0
	s_waitcnt lgkmcnt(0)
	s_barrier
	s_and_saveexec_b64 s[28:29], s[2:3]
; %bb.15:                               ;   in Loop: Header=BB35_4 Depth=2
	ds_read_b32 v32, v9
; %bb.16:                               ;   in Loop: Header=BB35_4 Depth=2
	s_or_b64 exec, exec, s[28:29]
	s_waitcnt lgkmcnt(0)
	v_add_u32_e32 v2, v32, v2
	ds_bpermute_b32 v2, v14, v2
	v_cmp_lt_u32_e32 vcc, 23, v21
	s_and_b64 vcc, exec, vcc
	s_mov_b64 s[28:29], -1
	s_waitcnt lgkmcnt(0)
	v_cndmask_b32_e64 v2, v2, v32, s[8:9]
	v_cndmask_b32_e64 v2, v2, 0, s[4:5]
	v_add_u32_e32 v4, v2, v4
	v_add_u32_e32 v5, v4, v5
	v_add_u32_e32 v1, v5, v1
	ds_write2_b32 v6, v2, v4 offset0:5 offset1:6
	ds_write2_b32 v6, v5, v1 offset0:7 offset1:8
	s_waitcnt lgkmcnt(0)
	s_barrier
	ds_read_b32 v1, v25 offset:20
	ds_read_b32 v2, v28 offset:20
	;; [unrolled: 1-line block ×3, first 2 shown]
	s_waitcnt lgkmcnt(2)
	v_add_u32_e32 v28, v1, v24
	s_waitcnt lgkmcnt(1)
	v_add3_u32 v25, v27, v26, v2
	s_waitcnt lgkmcnt(0)
	v_add3_u32 v24, v30, v29, v4
                                        ; implicit-def: $vgpr26
                                        ; implicit-def: $vgpr2
                                        ; implicit-def: $vgpr27
                                        ; implicit-def: $vgpr5
	s_cbranch_vccnz .LBB35_3
; %bb.17:                               ;   in Loop: Header=BB35_4 Depth=2
	v_lshlrev_b32_e32 v4, 2, v28
	v_lshlrev_b32_e32 v5, 2, v25
	;; [unrolled: 1-line block ×3, first 2 shown]
	s_barrier
	ds_write_b32 v4, v23
	ds_write_b32 v5, v22
	;; [unrolled: 1-line block ×3, first 2 shown]
	s_waitcnt lgkmcnt(0)
	s_barrier
	ds_read2st64_b32 v[1:2], v10 offset1:1
	ds_read_b32 v26, v10 offset:512
	s_waitcnt lgkmcnt(0)
	s_barrier
	ds_write_b32 v4, v19
	ds_write_b32 v5, v18
	;; [unrolled: 1-line block ×3, first 2 shown]
	s_waitcnt lgkmcnt(0)
	s_barrier
	ds_read2st64_b32 v[4:5], v10 offset1:1
	ds_read_b32 v27, v10 offset:512
	v_add_u32_e32 v21, 8, v21
	s_mov_b64 s[28:29], 0
	s_waitcnt lgkmcnt(0)
	s_barrier
	s_branch .LBB35_3
.LBB35_18:
	s_add_u32 s0, s30, s34
	s_waitcnt lgkmcnt(1)
	v_add_u32_e32 v1, v17, v4
	s_addc_u32 s1, s31, s35
	v_lshlrev_b32_e32 v0, 2, v0
	v_add_u32_e32 v2, v18, v5
	s_waitcnt lgkmcnt(0)
	v_add_u32_e32 v3, v19, v20
	global_store_dword v0, v1, s[0:1]
	global_store_dword v0, v2, s[0:1] offset:1280
	global_store_dword v0, v3, s[0:1] offset:2560
	s_endpgm
	.section	.rodata,"a",@progbits
	.p2align	6, 0x0
	.amdhsa_kernel _Z17sort_pairs_kernelI22helper_blocked_blockediLj320ELj3ELj10EEvPKT0_PS1_
		.amdhsa_group_segment_fixed_size 5152
		.amdhsa_private_segment_fixed_size 0
		.amdhsa_kernarg_size 272
		.amdhsa_user_sgpr_count 6
		.amdhsa_user_sgpr_private_segment_buffer 1
		.amdhsa_user_sgpr_dispatch_ptr 0
		.amdhsa_user_sgpr_queue_ptr 0
		.amdhsa_user_sgpr_kernarg_segment_ptr 1
		.amdhsa_user_sgpr_dispatch_id 0
		.amdhsa_user_sgpr_flat_scratch_init 0
		.amdhsa_user_sgpr_private_segment_size 0
		.amdhsa_uses_dynamic_stack 0
		.amdhsa_system_sgpr_private_segment_wavefront_offset 0
		.amdhsa_system_sgpr_workgroup_id_x 1
		.amdhsa_system_sgpr_workgroup_id_y 0
		.amdhsa_system_sgpr_workgroup_id_z 0
		.amdhsa_system_sgpr_workgroup_info 0
		.amdhsa_system_vgpr_workitem_id 2
		.amdhsa_next_free_vgpr 34
		.amdhsa_next_free_sgpr 40
		.amdhsa_reserve_vcc 1
		.amdhsa_reserve_flat_scratch 0
		.amdhsa_float_round_mode_32 0
		.amdhsa_float_round_mode_16_64 0
		.amdhsa_float_denorm_mode_32 3
		.amdhsa_float_denorm_mode_16_64 3
		.amdhsa_dx10_clamp 1
		.amdhsa_ieee_mode 1
		.amdhsa_fp16_overflow 0
		.amdhsa_exception_fp_ieee_invalid_op 0
		.amdhsa_exception_fp_denorm_src 0
		.amdhsa_exception_fp_ieee_div_zero 0
		.amdhsa_exception_fp_ieee_overflow 0
		.amdhsa_exception_fp_ieee_underflow 0
		.amdhsa_exception_fp_ieee_inexact 0
		.amdhsa_exception_int_div_zero 0
	.end_amdhsa_kernel
	.section	.text._Z17sort_pairs_kernelI22helper_blocked_blockediLj320ELj3ELj10EEvPKT0_PS1_,"axG",@progbits,_Z17sort_pairs_kernelI22helper_blocked_blockediLj320ELj3ELj10EEvPKT0_PS1_,comdat
.Lfunc_end35:
	.size	_Z17sort_pairs_kernelI22helper_blocked_blockediLj320ELj3ELj10EEvPKT0_PS1_, .Lfunc_end35-_Z17sort_pairs_kernelI22helper_blocked_blockediLj320ELj3ELj10EEvPKT0_PS1_
                                        ; -- End function
	.set _Z17sort_pairs_kernelI22helper_blocked_blockediLj320ELj3ELj10EEvPKT0_PS1_.num_vgpr, 34
	.set _Z17sort_pairs_kernelI22helper_blocked_blockediLj320ELj3ELj10EEvPKT0_PS1_.num_agpr, 0
	.set _Z17sort_pairs_kernelI22helper_blocked_blockediLj320ELj3ELj10EEvPKT0_PS1_.numbered_sgpr, 40
	.set _Z17sort_pairs_kernelI22helper_blocked_blockediLj320ELj3ELj10EEvPKT0_PS1_.num_named_barrier, 0
	.set _Z17sort_pairs_kernelI22helper_blocked_blockediLj320ELj3ELj10EEvPKT0_PS1_.private_seg_size, 0
	.set _Z17sort_pairs_kernelI22helper_blocked_blockediLj320ELj3ELj10EEvPKT0_PS1_.uses_vcc, 1
	.set _Z17sort_pairs_kernelI22helper_blocked_blockediLj320ELj3ELj10EEvPKT0_PS1_.uses_flat_scratch, 0
	.set _Z17sort_pairs_kernelI22helper_blocked_blockediLj320ELj3ELj10EEvPKT0_PS1_.has_dyn_sized_stack, 0
	.set _Z17sort_pairs_kernelI22helper_blocked_blockediLj320ELj3ELj10EEvPKT0_PS1_.has_recursion, 0
	.set _Z17sort_pairs_kernelI22helper_blocked_blockediLj320ELj3ELj10EEvPKT0_PS1_.has_indirect_call, 0
	.section	.AMDGPU.csdata,"",@progbits
; Kernel info:
; codeLenInByte = 2488
; TotalNumSgprs: 44
; NumVgprs: 34
; ScratchSize: 0
; MemoryBound: 0
; FloatMode: 240
; IeeeMode: 1
; LDSByteSize: 5152 bytes/workgroup (compile time only)
; SGPRBlocks: 5
; VGPRBlocks: 8
; NumSGPRsForWavesPerEU: 44
; NumVGPRsForWavesPerEU: 34
; Occupancy: 7
; WaveLimiterHint : 1
; COMPUTE_PGM_RSRC2:SCRATCH_EN: 0
; COMPUTE_PGM_RSRC2:USER_SGPR: 6
; COMPUTE_PGM_RSRC2:TRAP_HANDLER: 0
; COMPUTE_PGM_RSRC2:TGID_X_EN: 1
; COMPUTE_PGM_RSRC2:TGID_Y_EN: 0
; COMPUTE_PGM_RSRC2:TGID_Z_EN: 0
; COMPUTE_PGM_RSRC2:TIDIG_COMP_CNT: 2
	.section	.text._Z16sort_keys_kernelI22helper_blocked_blockediLj320ELj4ELj10EEvPKT0_PS1_,"axG",@progbits,_Z16sort_keys_kernelI22helper_blocked_blockediLj320ELj4ELj10EEvPKT0_PS1_,comdat
	.protected	_Z16sort_keys_kernelI22helper_blocked_blockediLj320ELj4ELj10EEvPKT0_PS1_ ; -- Begin function _Z16sort_keys_kernelI22helper_blocked_blockediLj320ELj4ELj10EEvPKT0_PS1_
	.globl	_Z16sort_keys_kernelI22helper_blocked_blockediLj320ELj4ELj10EEvPKT0_PS1_
	.p2align	8
	.type	_Z16sort_keys_kernelI22helper_blocked_blockediLj320ELj4ELj10EEvPKT0_PS1_,@function
_Z16sort_keys_kernelI22helper_blocked_blockediLj320ELj4ELj10EEvPKT0_PS1_: ; @_Z16sort_keys_kernelI22helper_blocked_blockediLj320ELj4ELj10EEvPKT0_PS1_
; %bb.0:
	s_load_dwordx4 s[40:43], s[4:5], 0x0
	s_load_dword s8, s[4:5], 0x1c
	s_mul_i32 s44, s6, 0x500
	s_mov_b32 s45, 0
	s_lshl_b64 s[46:47], s[44:45], 2
	s_waitcnt lgkmcnt(0)
	s_add_u32 s0, s40, s46
	s_addc_u32 s1, s41, s47
	v_lshlrev_b32_e32 v13, 2, v0
	global_load_dword v21, v13, s[0:1]
	global_load_dword v3, v13, s[0:1] offset:1280
	global_load_dword v4, v13, s[0:1] offset:2560
	;; [unrolled: 1-line block ×3, first 2 shown]
	s_lshr_b32 s9, s8, 16
	v_mbcnt_lo_u32_b32 v6, -1, 0
	s_and_b32 s8, s8, 0xffff
	v_mad_u32_u24 v1, v2, s9, v1
	v_mbcnt_hi_u32_b32 v14, -1, v6
	v_mad_u64_u32 v[1:2], s[8:9], v1, s8, v[0:1]
	v_and_b32_e32 v2, 15, v14
	v_cmp_eq_u32_e64 s[8:9], 0, v2
	v_cmp_lt_u32_e64 s[10:11], 1, v2
	v_cmp_lt_u32_e64 s[12:13], 3, v2
	;; [unrolled: 1-line block ×3, first 2 shown]
	v_and_b32_e32 v2, 16, v14
	v_cmp_eq_u32_e64 s[16:17], 0, v2
	v_and_b32_e32 v2, 0x1c0, v0
	v_min_u32_e32 v2, 0x100, v2
	v_or_b32_e32 v2, 63, v2
	v_and_b32_e32 v11, 64, v14
	v_cmp_eq_u32_e64 s[20:21], v0, v2
	v_subrev_co_u32_e64 v2, s[26:27], 1, v14
	v_lshrrev_b32_e32 v9, 2, v14
	v_and_b32_e32 v6, 3, v14
	v_cmp_lt_i32_e32 vcc, v2, v11
	v_cmp_eq_u32_e64 s[0:1], 3, v6
	v_cmp_eq_u32_e64 s[2:3], 2, v6
	;; [unrolled: 1-line block ×4, first 2 shown]
	v_or_b32_e32 v6, v9, v11
	v_add_u32_e32 v9, 48, v9
	v_cndmask_b32_e32 v2, v2, v14, vcc
	v_and_or_b32 v9, v9, 63, v11
	v_lshlrev_b32_e32 v11, 2, v2
	v_lshrrev_b32_e32 v2, 4, v0
	v_and_b32_e32 v12, 28, v2
	v_and_b32_e32 v2, 7, v14
	s_movk_i32 s33, 0x700
	v_cmp_eq_u32_e64 s[30:31], 0, v2
	v_cmp_lt_u32_e64 s[34:35], 1, v2
	v_cmp_lt_u32_e64 s[36:37], 3, v2
	v_and_or_b32 v2, v13, s33, v14
	v_cmp_lt_u32_e64 s[18:19], 31, v14
	v_lshrrev_b32_e32 v13, 3, v2
	v_lshlrev_b32_e32 v16, 2, v2
	v_add_u32_e32 v14, 64, v2
	v_or_b32_e32 v15, 0x80, v2
	v_add_u32_e32 v2, 0xc0, v2
	v_lshrrev_b32_e32 v14, 3, v14
	v_lshrrev_b32_e32 v15, 3, v15
	;; [unrolled: 1-line block ×4, first 2 shown]
	v_and_b32_e32 v13, 0xec, v13
	v_and_b32_e32 v14, 0xfc, v14
	;; [unrolled: 1-line block ×5, first 2 shown]
	v_lshrrev_b32_e32 v1, 1, v0
	v_lshlrev_b32_e32 v6, 2, v6
	v_lshlrev_b32_e32 v10, 4, v0
	v_add_u32_e32 v13, v13, v16
	v_add_u32_e32 v14, v14, v16
	;; [unrolled: 1-line block ×4, first 2 shown]
	v_mul_i32_i24_e32 v2, -12, v0
	v_and_b32_e32 v1, 0xfc, v1
	v_add_u32_e32 v7, 64, v6
	v_or_b32_e32 v8, 0x80, v6
	v_lshlrev_b32_e32 v9, 2, v9
	v_cmp_gt_u32_e64 s[22:23], 5, v0
	v_cmp_lt_u32_e64 s[24:25], 63, v0
	v_cmp_eq_u32_e64 s[28:29], 0, v0
	v_add_u32_e32 v18, v10, v1
	v_add_u32_e32 v19, v10, v2
	v_mov_b32_e32 v20, 20
	v_mov_b32_e32 v1, 0
	s_branch .LBB36_2
.LBB36_1:                               ;   in Loop: Header=BB36_2 Depth=1
	v_lshrrev_b32_e32 v5, 3, v26
	v_and_b32_e32 v5, 0x1ffffffc, v5
	v_lshl_add_u32 v5, v26, 2, v5
	s_barrier
	ds_write_b32 v5, v25
	v_lshrrev_b32_e32 v5, 3, v4
	v_and_b32_e32 v5, 0x1ffffffc, v5
	v_lshl_add_u32 v4, v4, 2, v5
	ds_write_b32 v4, v23
	v_lshrrev_b32_e32 v4, 3, v3
	v_and_b32_e32 v4, 0x1ffffffc, v4
	v_lshl_add_u32 v3, v3, 2, v4
	;; [unrolled: 4-line block ×3, first 2 shown]
	ds_write_b32 v2, v21
	s_waitcnt lgkmcnt(0)
	s_barrier
	ds_read2_b32 v[2:3], v18 offset1:1
	ds_read2_b32 v[4:5], v18 offset0:2 offset1:3
	s_add_i32 s45, s45, 1
	s_cmp_eq_u32 s45, 10
	s_waitcnt lgkmcnt(1)
	v_xor_b32_e32 v21, 0x80000000, v2
	v_xor_b32_e32 v3, 0x80000000, v3
	s_waitcnt lgkmcnt(0)
	v_xor_b32_e32 v4, 0x80000000, v4
	v_xor_b32_e32 v5, 0x80000000, v5
	s_cbranch_scc1 .LBB36_20
.LBB36_2:                               ; =>This Loop Header: Depth=1
                                        ;     Child Loop BB36_4 Depth 2
	s_waitcnt vmcnt(3)
	v_xor_b32_e32 v2, 0x80000000, v21
	ds_bpermute_b32 v21, v6, v2
	s_waitcnt vmcnt(2)
	v_xor_b32_e32 v3, 0x80000000, v3
	s_waitcnt vmcnt(1)
	v_xor_b32_e32 v4, 0x80000000, v4
	;; [unrolled: 2-line block ×3, first 2 shown]
	ds_bpermute_b32 v5, v6, v3
	ds_bpermute_b32 v23, v6, v4
	;; [unrolled: 1-line block ×4, first 2 shown]
	s_waitcnt lgkmcnt(4)
	v_cndmask_b32_e64 v21, 0, v21, s[6:7]
	ds_bpermute_b32 v26, v7, v3
	s_waitcnt lgkmcnt(4)
	v_cndmask_b32_e64 v5, v21, v5, s[4:5]
	s_waitcnt lgkmcnt(3)
	v_cndmask_b32_e64 v5, v5, v23, s[2:3]
	ds_bpermute_b32 v23, v7, v4
	s_waitcnt lgkmcnt(3)
	v_cndmask_b32_e64 v5, v5, v24, s[0:1]
	s_waitcnt lgkmcnt(2)
	v_cndmask_b32_e64 v21, 0, v25, s[6:7]
	ds_bpermute_b32 v24, v7, v22
	ds_bpermute_b32 v25, v8, v2
	;; [unrolled: 1-line block ×3, first 2 shown]
	s_waitcnt lgkmcnt(4)
	v_cndmask_b32_e64 v21, v21, v26, s[4:5]
	ds_bpermute_b32 v26, v8, v3
	ds_bpermute_b32 v3, v9, v3
	;; [unrolled: 1-line block ×4, first 2 shown]
	s_waitcnt lgkmcnt(7)
	v_cndmask_b32_e64 v21, v21, v23, s[2:3]
	ds_bpermute_b32 v23, v8, v22
	ds_bpermute_b32 v22, v9, v22
	s_waitcnt lgkmcnt(8)
	v_cndmask_b32_e64 v27, v21, v24, s[0:1]
	s_waitcnt lgkmcnt(7)
	v_cndmask_b32_e64 v21, 0, v25, s[6:7]
	;; [unrolled: 2-line block ×9, first 2 shown]
	v_mov_b32_e32 v24, v1
	s_barrier
	s_branch .LBB36_4
.LBB36_3:                               ;   in Loop: Header=BB36_4 Depth=2
	s_andn2_b64 vcc, exec, s[38:39]
	s_cbranch_vccz .LBB36_1
.LBB36_4:                               ;   Parent Loop BB36_2 Depth=1
                                        ; =>  This Inner Loop Header: Depth=2
	v_mov_b32_e32 v25, v5
	v_lshrrev_b32_e32 v3, v24, v25
	v_and_b32_e32 v2, 1, v3
	v_add_co_u32_e32 v5, vcc, -1, v2
	v_addc_co_u32_e64 v26, s[38:39], 0, -1, vcc
	v_cmp_ne_u32_e32 vcc, 0, v2
	v_xor_b32_e32 v2, vcc_hi, v26
	v_and_b32_e32 v26, exec_hi, v2
	v_lshlrev_b32_e32 v2, 30, v3
	v_xor_b32_e32 v5, vcc_lo, v5
	v_cmp_gt_i64_e32 vcc, 0, v[1:2]
	v_not_b32_e32 v2, v2
	v_ashrrev_i32_e32 v2, 31, v2
	v_mov_b32_e32 v23, v27
	v_and_b32_e32 v5, exec_lo, v5
	v_xor_b32_e32 v27, vcc_hi, v2
	v_xor_b32_e32 v2, vcc_lo, v2
	v_and_b32_e32 v5, v5, v2
	v_lshlrev_b32_e32 v2, 29, v3
	v_cmp_gt_i64_e32 vcc, 0, v[1:2]
	v_not_b32_e32 v2, v2
	v_ashrrev_i32_e32 v2, 31, v2
	v_and_b32_e32 v26, v26, v27
	v_xor_b32_e32 v27, vcc_hi, v2
	v_xor_b32_e32 v2, vcc_lo, v2
	v_and_b32_e32 v5, v5, v2
	v_lshlrev_b32_e32 v2, 28, v3
	v_cmp_gt_i64_e32 vcc, 0, v[1:2]
	v_not_b32_e32 v2, v2
	v_ashrrev_i32_e32 v2, 31, v2
	v_and_b32_e32 v26, v26, v27
	;; [unrolled: 8-line block ×5, first 2 shown]
	v_xor_b32_e32 v27, vcc_hi, v2
	v_xor_b32_e32 v2, vcc_lo, v2
	v_and_b32_e32 v5, v5, v2
	v_lshlrev_b32_e32 v2, 24, v3
	v_cmp_gt_i64_e32 vcc, 0, v[1:2]
	v_not_b32_e32 v2, v2
	v_ashrrev_i32_e32 v2, 31, v2
	v_mul_u32_u24_sdwa v4, v3, v20 dst_sel:DWORD dst_unused:UNUSED_PAD src0_sel:BYTE_0 src1_sel:DWORD
	v_xor_b32_e32 v3, vcc_hi, v2
	v_xor_b32_e32 v2, vcc_lo, v2
	v_and_b32_e32 v26, v26, v27
	v_and_b32_e32 v2, v5, v2
	;; [unrolled: 1-line block ×3, first 2 shown]
	v_mbcnt_lo_u32_b32 v5, v2, 0
	v_mbcnt_hi_u32_b32 v26, v3, v5
	v_cmp_ne_u64_e32 vcc, 0, v[2:3]
	v_cmp_eq_u32_e64 s[38:39], 0, v26
	v_mov_b32_e32 v21, v29
	v_mov_b32_e32 v22, v28
	s_and_b64 s[40:41], vcc, s[38:39]
	v_add_u32_e32 v27, v17, v4
	ds_write2_b32 v10, v1, v1 offset0:5 offset1:6
	ds_write2_b32 v10, v1, v1 offset0:7 offset1:8
	s_waitcnt lgkmcnt(0)
	s_barrier
	; wave barrier
	s_and_saveexec_b64 s[38:39], s[40:41]
; %bb.5:                                ;   in Loop: Header=BB36_4 Depth=2
	v_bcnt_u32_b32 v2, v2, 0
	v_bcnt_u32_b32 v2, v3, v2
	ds_write_b32 v27, v2 offset:20
; %bb.6:                                ;   in Loop: Header=BB36_4 Depth=2
	s_or_b64 exec, exec, s[38:39]
	v_lshrrev_b32_e32 v3, v24, v23
	v_and_b32_e32 v2, 0xff, v3
	v_mul_u32_u24_e32 v4, 20, v2
	v_mad_u32_u24 v2, v2, 20, v17
	; wave barrier
	ds_read_b32 v28, v2 offset:20
	v_and_b32_e32 v2, 1, v3
	v_add_co_u32_e32 v5, vcc, -1, v2
	v_addc_co_u32_e64 v29, s[38:39], 0, -1, vcc
	v_cmp_ne_u32_e32 vcc, 0, v2
	v_xor_b32_e32 v2, vcc_hi, v29
	v_and_b32_e32 v29, exec_hi, v2
	v_lshlrev_b32_e32 v2, 30, v3
	v_xor_b32_e32 v5, vcc_lo, v5
	v_cmp_gt_i64_e32 vcc, 0, v[1:2]
	v_not_b32_e32 v2, v2
	v_ashrrev_i32_e32 v2, 31, v2
	v_and_b32_e32 v5, exec_lo, v5
	v_xor_b32_e32 v30, vcc_hi, v2
	v_xor_b32_e32 v2, vcc_lo, v2
	v_and_b32_e32 v5, v5, v2
	v_lshlrev_b32_e32 v2, 29, v3
	v_cmp_gt_i64_e32 vcc, 0, v[1:2]
	v_not_b32_e32 v2, v2
	v_ashrrev_i32_e32 v2, 31, v2
	v_and_b32_e32 v29, v29, v30
	v_xor_b32_e32 v30, vcc_hi, v2
	v_xor_b32_e32 v2, vcc_lo, v2
	v_and_b32_e32 v5, v5, v2
	v_lshlrev_b32_e32 v2, 28, v3
	v_cmp_gt_i64_e32 vcc, 0, v[1:2]
	v_not_b32_e32 v2, v2
	v_ashrrev_i32_e32 v2, 31, v2
	v_and_b32_e32 v29, v29, v30
	;; [unrolled: 8-line block ×5, first 2 shown]
	v_xor_b32_e32 v30, vcc_hi, v2
	v_xor_b32_e32 v2, vcc_lo, v2
	v_and_b32_e32 v5, v5, v2
	v_lshlrev_b32_e32 v2, 24, v3
	v_cmp_gt_i64_e32 vcc, 0, v[1:2]
	v_not_b32_e32 v2, v2
	v_ashrrev_i32_e32 v2, 31, v2
	v_xor_b32_e32 v3, vcc_hi, v2
	v_xor_b32_e32 v2, vcc_lo, v2
	v_and_b32_e32 v29, v29, v30
	v_and_b32_e32 v2, v5, v2
	;; [unrolled: 1-line block ×3, first 2 shown]
	v_mbcnt_lo_u32_b32 v5, v2, 0
	v_mbcnt_hi_u32_b32 v29, v3, v5
	v_cmp_ne_u64_e32 vcc, 0, v[2:3]
	v_cmp_eq_u32_e64 s[38:39], 0, v29
	s_and_b64 s[40:41], vcc, s[38:39]
	v_add_u32_e32 v30, v17, v4
	; wave barrier
	s_and_saveexec_b64 s[38:39], s[40:41]
	s_cbranch_execz .LBB36_8
; %bb.7:                                ;   in Loop: Header=BB36_4 Depth=2
	v_bcnt_u32_b32 v2, v2, 0
	v_bcnt_u32_b32 v2, v3, v2
	s_waitcnt lgkmcnt(0)
	v_add_u32_e32 v2, v28, v2
	ds_write_b32 v30, v2 offset:20
.LBB36_8:                               ;   in Loop: Header=BB36_4 Depth=2
	s_or_b64 exec, exec, s[38:39]
	v_lshrrev_b32_e32 v3, v24, v22
	v_and_b32_e32 v2, 0xff, v3
	v_mul_u32_u24_e32 v4, 20, v2
	v_mad_u32_u24 v2, v2, 20, v17
	; wave barrier
	ds_read_b32 v31, v2 offset:20
	v_and_b32_e32 v2, 1, v3
	v_add_co_u32_e32 v5, vcc, -1, v2
	v_addc_co_u32_e64 v32, s[38:39], 0, -1, vcc
	v_cmp_ne_u32_e32 vcc, 0, v2
	v_xor_b32_e32 v2, vcc_hi, v32
	v_and_b32_e32 v32, exec_hi, v2
	v_lshlrev_b32_e32 v2, 30, v3
	v_xor_b32_e32 v5, vcc_lo, v5
	v_cmp_gt_i64_e32 vcc, 0, v[1:2]
	v_not_b32_e32 v2, v2
	v_ashrrev_i32_e32 v2, 31, v2
	v_and_b32_e32 v5, exec_lo, v5
	v_xor_b32_e32 v33, vcc_hi, v2
	v_xor_b32_e32 v2, vcc_lo, v2
	v_and_b32_e32 v5, v5, v2
	v_lshlrev_b32_e32 v2, 29, v3
	v_cmp_gt_i64_e32 vcc, 0, v[1:2]
	v_not_b32_e32 v2, v2
	v_ashrrev_i32_e32 v2, 31, v2
	v_and_b32_e32 v32, v32, v33
	v_xor_b32_e32 v33, vcc_hi, v2
	v_xor_b32_e32 v2, vcc_lo, v2
	v_and_b32_e32 v5, v5, v2
	v_lshlrev_b32_e32 v2, 28, v3
	v_cmp_gt_i64_e32 vcc, 0, v[1:2]
	v_not_b32_e32 v2, v2
	v_ashrrev_i32_e32 v2, 31, v2
	v_and_b32_e32 v32, v32, v33
	;; [unrolled: 8-line block ×5, first 2 shown]
	v_xor_b32_e32 v33, vcc_hi, v2
	v_xor_b32_e32 v2, vcc_lo, v2
	v_and_b32_e32 v5, v5, v2
	v_lshlrev_b32_e32 v2, 24, v3
	v_cmp_gt_i64_e32 vcc, 0, v[1:2]
	v_not_b32_e32 v2, v2
	v_ashrrev_i32_e32 v2, 31, v2
	v_xor_b32_e32 v3, vcc_hi, v2
	v_xor_b32_e32 v2, vcc_lo, v2
	v_and_b32_e32 v32, v32, v33
	v_and_b32_e32 v2, v5, v2
	;; [unrolled: 1-line block ×3, first 2 shown]
	v_mbcnt_lo_u32_b32 v5, v2, 0
	v_mbcnt_hi_u32_b32 v32, v3, v5
	v_cmp_ne_u64_e32 vcc, 0, v[2:3]
	v_cmp_eq_u32_e64 s[38:39], 0, v32
	s_and_b64 s[40:41], vcc, s[38:39]
	v_add_u32_e32 v33, v17, v4
	; wave barrier
	s_and_saveexec_b64 s[38:39], s[40:41]
	s_cbranch_execz .LBB36_10
; %bb.9:                                ;   in Loop: Header=BB36_4 Depth=2
	v_bcnt_u32_b32 v2, v2, 0
	v_bcnt_u32_b32 v2, v3, v2
	s_waitcnt lgkmcnt(0)
	v_add_u32_e32 v2, v31, v2
	ds_write_b32 v33, v2 offset:20
.LBB36_10:                              ;   in Loop: Header=BB36_4 Depth=2
	s_or_b64 exec, exec, s[38:39]
	v_lshrrev_b32_e32 v3, v24, v21
	v_and_b32_e32 v2, 0xff, v3
	v_mul_u32_u24_e32 v4, 20, v2
	v_mad_u32_u24 v2, v2, 20, v17
	; wave barrier
	ds_read_b32 v34, v2 offset:20
	v_and_b32_e32 v2, 1, v3
	v_add_co_u32_e32 v5, vcc, -1, v2
	v_addc_co_u32_e64 v35, s[38:39], 0, -1, vcc
	v_cmp_ne_u32_e32 vcc, 0, v2
	v_xor_b32_e32 v2, vcc_hi, v35
	v_and_b32_e32 v35, exec_hi, v2
	v_lshlrev_b32_e32 v2, 30, v3
	v_xor_b32_e32 v5, vcc_lo, v5
	v_cmp_gt_i64_e32 vcc, 0, v[1:2]
	v_not_b32_e32 v2, v2
	v_ashrrev_i32_e32 v2, 31, v2
	v_and_b32_e32 v5, exec_lo, v5
	v_xor_b32_e32 v36, vcc_hi, v2
	v_xor_b32_e32 v2, vcc_lo, v2
	v_and_b32_e32 v5, v5, v2
	v_lshlrev_b32_e32 v2, 29, v3
	v_cmp_gt_i64_e32 vcc, 0, v[1:2]
	v_not_b32_e32 v2, v2
	v_ashrrev_i32_e32 v2, 31, v2
	v_and_b32_e32 v35, v35, v36
	v_xor_b32_e32 v36, vcc_hi, v2
	v_xor_b32_e32 v2, vcc_lo, v2
	v_and_b32_e32 v5, v5, v2
	v_lshlrev_b32_e32 v2, 28, v3
	v_cmp_gt_i64_e32 vcc, 0, v[1:2]
	v_not_b32_e32 v2, v2
	v_ashrrev_i32_e32 v2, 31, v2
	v_and_b32_e32 v35, v35, v36
	;; [unrolled: 8-line block ×5, first 2 shown]
	v_xor_b32_e32 v36, vcc_hi, v2
	v_xor_b32_e32 v2, vcc_lo, v2
	v_and_b32_e32 v5, v5, v2
	v_lshlrev_b32_e32 v2, 24, v3
	v_cmp_gt_i64_e32 vcc, 0, v[1:2]
	v_not_b32_e32 v2, v2
	v_ashrrev_i32_e32 v2, 31, v2
	v_xor_b32_e32 v3, vcc_hi, v2
	v_xor_b32_e32 v2, vcc_lo, v2
	v_and_b32_e32 v35, v35, v36
	v_and_b32_e32 v2, v5, v2
	;; [unrolled: 1-line block ×3, first 2 shown]
	v_mbcnt_lo_u32_b32 v5, v2, 0
	v_mbcnt_hi_u32_b32 v35, v3, v5
	v_cmp_ne_u64_e32 vcc, 0, v[2:3]
	v_cmp_eq_u32_e64 s[38:39], 0, v35
	s_and_b64 s[40:41], vcc, s[38:39]
	v_add_u32_e32 v36, v17, v4
	; wave barrier
	s_and_saveexec_b64 s[38:39], s[40:41]
	s_cbranch_execz .LBB36_12
; %bb.11:                               ;   in Loop: Header=BB36_4 Depth=2
	v_bcnt_u32_b32 v2, v2, 0
	v_bcnt_u32_b32 v2, v3, v2
	s_waitcnt lgkmcnt(0)
	v_add_u32_e32 v2, v34, v2
	ds_write_b32 v36, v2 offset:20
.LBB36_12:                              ;   in Loop: Header=BB36_4 Depth=2
	s_or_b64 exec, exec, s[38:39]
	; wave barrier
	s_waitcnt lgkmcnt(0)
	s_barrier
	ds_read2_b32 v[4:5], v10 offset0:5 offset1:6
	ds_read2_b32 v[2:3], v10 offset0:7 offset1:8
	s_waitcnt lgkmcnt(1)
	v_add_u32_e32 v37, v5, v4
	s_waitcnt lgkmcnt(0)
	v_add3_u32 v3, v37, v2, v3
	s_nop 1
	v_mov_b32_dpp v37, v3 row_shr:1 row_mask:0xf bank_mask:0xf
	v_cndmask_b32_e64 v37, v37, 0, s[8:9]
	v_add_u32_e32 v3, v37, v3
	s_nop 1
	v_mov_b32_dpp v37, v3 row_shr:2 row_mask:0xf bank_mask:0xf
	v_cndmask_b32_e64 v37, 0, v37, s[10:11]
	v_add_u32_e32 v3, v3, v37
	;; [unrolled: 4-line block ×4, first 2 shown]
	s_nop 1
	v_mov_b32_dpp v37, v3 row_bcast:15 row_mask:0xf bank_mask:0xf
	v_cndmask_b32_e64 v37, v37, 0, s[16:17]
	v_add_u32_e32 v3, v3, v37
	s_nop 1
	v_mov_b32_dpp v37, v3 row_bcast:31 row_mask:0xf bank_mask:0xf
	v_cndmask_b32_e64 v37, 0, v37, s[18:19]
	v_add_u32_e32 v3, v3, v37
	s_and_saveexec_b64 s[38:39], s[20:21]
; %bb.13:                               ;   in Loop: Header=BB36_4 Depth=2
	ds_write_b32 v12, v3
; %bb.14:                               ;   in Loop: Header=BB36_4 Depth=2
	s_or_b64 exec, exec, s[38:39]
	s_waitcnt lgkmcnt(0)
	s_barrier
	s_and_saveexec_b64 s[38:39], s[22:23]
	s_cbranch_execz .LBB36_16
; %bb.15:                               ;   in Loop: Header=BB36_4 Depth=2
	ds_read_b32 v37, v19
	s_waitcnt lgkmcnt(0)
	s_nop 0
	v_mov_b32_dpp v38, v37 row_shr:1 row_mask:0xf bank_mask:0xf
	v_cndmask_b32_e64 v38, v38, 0, s[30:31]
	v_add_u32_e32 v37, v38, v37
	s_nop 1
	v_mov_b32_dpp v38, v37 row_shr:2 row_mask:0xf bank_mask:0xf
	v_cndmask_b32_e64 v38, 0, v38, s[34:35]
	v_add_u32_e32 v37, v37, v38
	;; [unrolled: 4-line block ×3, first 2 shown]
	ds_write_b32 v19, v37
.LBB36_16:                              ;   in Loop: Header=BB36_4 Depth=2
	s_or_b64 exec, exec, s[38:39]
	v_mov_b32_e32 v37, 0
	s_waitcnt lgkmcnt(0)
	s_barrier
	s_and_saveexec_b64 s[38:39], s[24:25]
; %bb.17:                               ;   in Loop: Header=BB36_4 Depth=2
	v_add_u32_e32 v37, -4, v12
	ds_read_b32 v37, v37
; %bb.18:                               ;   in Loop: Header=BB36_4 Depth=2
	s_or_b64 exec, exec, s[38:39]
	s_waitcnt lgkmcnt(0)
	v_add_u32_e32 v3, v37, v3
	ds_bpermute_b32 v3, v11, v3
	v_cmp_lt_u32_e32 vcc, 23, v24
	s_and_b64 vcc, exec, vcc
	s_mov_b64 s[38:39], -1
	s_waitcnt lgkmcnt(0)
	v_cndmask_b32_e64 v3, v3, v37, s[26:27]
	v_cndmask_b32_e64 v3, v3, 0, s[28:29]
	v_add_u32_e32 v4, v3, v4
	v_add_u32_e32 v5, v4, v5
	;; [unrolled: 1-line block ×3, first 2 shown]
	ds_write2_b32 v10, v3, v4 offset0:5 offset1:6
	ds_write2_b32 v10, v5, v2 offset0:7 offset1:8
	s_waitcnt lgkmcnt(0)
	s_barrier
	ds_read_b32 v2, v27 offset:20
	ds_read_b32 v3, v30 offset:20
	;; [unrolled: 1-line block ×4, first 2 shown]
	s_waitcnt lgkmcnt(3)
	v_add_u32_e32 v26, v2, v26
	s_waitcnt lgkmcnt(2)
	v_add3_u32 v4, v29, v28, v3
	s_waitcnt lgkmcnt(1)
	v_add3_u32 v3, v32, v31, v5
	;; [unrolled: 2-line block ×3, first 2 shown]
                                        ; implicit-def: $vgpr29
                                        ; implicit-def: $vgpr28
                                        ; implicit-def: $vgpr27
                                        ; implicit-def: $vgpr5
	s_cbranch_vccnz .LBB36_3
; %bb.19:                               ;   in Loop: Header=BB36_4 Depth=2
	v_lshrrev_b32_e32 v5, 3, v26
	v_and_b32_e32 v5, 0x1ffffffc, v5
	v_lshl_add_u32 v5, v26, 2, v5
	s_barrier
	ds_write_b32 v5, v25
	v_lshrrev_b32_e32 v5, 3, v4
	v_and_b32_e32 v5, 0x1ffffffc, v5
	v_lshl_add_u32 v5, v4, 2, v5
	ds_write_b32 v5, v23
	v_lshrrev_b32_e32 v5, 3, v3
	v_and_b32_e32 v5, 0x1ffffffc, v5
	v_lshl_add_u32 v5, v3, 2, v5
	;; [unrolled: 4-line block ×3, first 2 shown]
	ds_write_b32 v5, v21
	s_waitcnt lgkmcnt(0)
	s_barrier
	ds_read_b32 v5, v13
	ds_read_b32 v27, v14 offset:256
	ds_read_b32 v28, v15 offset:512
	;; [unrolled: 1-line block ×3, first 2 shown]
	v_add_u32_e32 v24, 8, v24
	s_mov_b64 s[38:39], 0
	s_waitcnt lgkmcnt(0)
	s_barrier
	s_branch .LBB36_3
.LBB36_20:
	s_add_u32 s0, s42, s46
	s_addc_u32 s1, s43, s47
	v_lshlrev_b32_e32 v0, 2, v0
	global_store_dword v0, v21, s[0:1]
	global_store_dword v0, v3, s[0:1] offset:1280
	global_store_dword v0, v4, s[0:1] offset:2560
	;; [unrolled: 1-line block ×3, first 2 shown]
	s_endpgm
	.section	.rodata,"a",@progbits
	.p2align	6, 0x0
	.amdhsa_kernel _Z16sort_keys_kernelI22helper_blocked_blockediLj320ELj4ELj10EEvPKT0_PS1_
		.amdhsa_group_segment_fixed_size 5280
		.amdhsa_private_segment_fixed_size 0
		.amdhsa_kernarg_size 272
		.amdhsa_user_sgpr_count 6
		.amdhsa_user_sgpr_private_segment_buffer 1
		.amdhsa_user_sgpr_dispatch_ptr 0
		.amdhsa_user_sgpr_queue_ptr 0
		.amdhsa_user_sgpr_kernarg_segment_ptr 1
		.amdhsa_user_sgpr_dispatch_id 0
		.amdhsa_user_sgpr_flat_scratch_init 0
		.amdhsa_user_sgpr_private_segment_size 0
		.amdhsa_uses_dynamic_stack 0
		.amdhsa_system_sgpr_private_segment_wavefront_offset 0
		.amdhsa_system_sgpr_workgroup_id_x 1
		.amdhsa_system_sgpr_workgroup_id_y 0
		.amdhsa_system_sgpr_workgroup_id_z 0
		.amdhsa_system_sgpr_workgroup_info 0
		.amdhsa_system_vgpr_workitem_id 2
		.amdhsa_next_free_vgpr 39
		.amdhsa_next_free_sgpr 48
		.amdhsa_reserve_vcc 1
		.amdhsa_reserve_flat_scratch 0
		.amdhsa_float_round_mode_32 0
		.amdhsa_float_round_mode_16_64 0
		.amdhsa_float_denorm_mode_32 3
		.amdhsa_float_denorm_mode_16_64 3
		.amdhsa_dx10_clamp 1
		.amdhsa_ieee_mode 1
		.amdhsa_fp16_overflow 0
		.amdhsa_exception_fp_ieee_invalid_op 0
		.amdhsa_exception_fp_denorm_src 0
		.amdhsa_exception_fp_ieee_div_zero 0
		.amdhsa_exception_fp_ieee_overflow 0
		.amdhsa_exception_fp_ieee_underflow 0
		.amdhsa_exception_fp_ieee_inexact 0
		.amdhsa_exception_int_div_zero 0
	.end_amdhsa_kernel
	.section	.text._Z16sort_keys_kernelI22helper_blocked_blockediLj320ELj4ELj10EEvPKT0_PS1_,"axG",@progbits,_Z16sort_keys_kernelI22helper_blocked_blockediLj320ELj4ELj10EEvPKT0_PS1_,comdat
.Lfunc_end36:
	.size	_Z16sort_keys_kernelI22helper_blocked_blockediLj320ELj4ELj10EEvPKT0_PS1_, .Lfunc_end36-_Z16sort_keys_kernelI22helper_blocked_blockediLj320ELj4ELj10EEvPKT0_PS1_
                                        ; -- End function
	.set _Z16sort_keys_kernelI22helper_blocked_blockediLj320ELj4ELj10EEvPKT0_PS1_.num_vgpr, 39
	.set _Z16sort_keys_kernelI22helper_blocked_blockediLj320ELj4ELj10EEvPKT0_PS1_.num_agpr, 0
	.set _Z16sort_keys_kernelI22helper_blocked_blockediLj320ELj4ELj10EEvPKT0_PS1_.numbered_sgpr, 48
	.set _Z16sort_keys_kernelI22helper_blocked_blockediLj320ELj4ELj10EEvPKT0_PS1_.num_named_barrier, 0
	.set _Z16sort_keys_kernelI22helper_blocked_blockediLj320ELj4ELj10EEvPKT0_PS1_.private_seg_size, 0
	.set _Z16sort_keys_kernelI22helper_blocked_blockediLj320ELj4ELj10EEvPKT0_PS1_.uses_vcc, 1
	.set _Z16sort_keys_kernelI22helper_blocked_blockediLj320ELj4ELj10EEvPKT0_PS1_.uses_flat_scratch, 0
	.set _Z16sort_keys_kernelI22helper_blocked_blockediLj320ELj4ELj10EEvPKT0_PS1_.has_dyn_sized_stack, 0
	.set _Z16sort_keys_kernelI22helper_blocked_blockediLj320ELj4ELj10EEvPKT0_PS1_.has_recursion, 0
	.set _Z16sort_keys_kernelI22helper_blocked_blockediLj320ELj4ELj10EEvPKT0_PS1_.has_indirect_call, 0
	.section	.AMDGPU.csdata,"",@progbits
; Kernel info:
; codeLenInByte = 3332
; TotalNumSgprs: 52
; NumVgprs: 39
; ScratchSize: 0
; MemoryBound: 0
; FloatMode: 240
; IeeeMode: 1
; LDSByteSize: 5280 bytes/workgroup (compile time only)
; SGPRBlocks: 6
; VGPRBlocks: 9
; NumSGPRsForWavesPerEU: 52
; NumVGPRsForWavesPerEU: 39
; Occupancy: 6
; WaveLimiterHint : 1
; COMPUTE_PGM_RSRC2:SCRATCH_EN: 0
; COMPUTE_PGM_RSRC2:USER_SGPR: 6
; COMPUTE_PGM_RSRC2:TRAP_HANDLER: 0
; COMPUTE_PGM_RSRC2:TGID_X_EN: 1
; COMPUTE_PGM_RSRC2:TGID_Y_EN: 0
; COMPUTE_PGM_RSRC2:TGID_Z_EN: 0
; COMPUTE_PGM_RSRC2:TIDIG_COMP_CNT: 2
	.section	.text._Z17sort_pairs_kernelI22helper_blocked_blockediLj320ELj4ELj10EEvPKT0_PS1_,"axG",@progbits,_Z17sort_pairs_kernelI22helper_blocked_blockediLj320ELj4ELj10EEvPKT0_PS1_,comdat
	.protected	_Z17sort_pairs_kernelI22helper_blocked_blockediLj320ELj4ELj10EEvPKT0_PS1_ ; -- Begin function _Z17sort_pairs_kernelI22helper_blocked_blockediLj320ELj4ELj10EEvPKT0_PS1_
	.globl	_Z17sort_pairs_kernelI22helper_blocked_blockediLj320ELj4ELj10EEvPKT0_PS1_
	.p2align	8
	.type	_Z17sort_pairs_kernelI22helper_blocked_blockediLj320ELj4ELj10EEvPKT0_PS1_,@function
_Z17sort_pairs_kernelI22helper_blocked_blockediLj320ELj4ELj10EEvPKT0_PS1_: ; @_Z17sort_pairs_kernelI22helper_blocked_blockediLj320ELj4ELj10EEvPKT0_PS1_
; %bb.0:
	s_load_dwordx4 s[40:43], s[4:5], 0x0
	s_load_dword s33, s[4:5], 0x1c
	s_mul_i32 s46, s6, 0x500
	s_mov_b32 s47, 0
	s_lshl_b64 s[44:45], s[46:47], 2
	s_waitcnt lgkmcnt(0)
	s_add_u32 s0, s40, s44
	s_addc_u32 s1, s41, s45
	v_lshlrev_b32_e32 v3, 2, v0
	global_load_dword v24, v3, s[0:1]
	global_load_dword v25, v3, s[0:1] offset:1280
	global_load_dword v22, v3, s[0:1] offset:2560
	;; [unrolled: 1-line block ×3, first 2 shown]
	s_lshr_b32 s38, s33, 16
	v_mbcnt_lo_u32_b32 v4, -1, 0
	s_and_b32 s33, s33, 0xffff
	v_mad_u32_u24 v1, v2, s38, v1
	v_mbcnt_hi_u32_b32 v4, -1, v4
	v_mad_u64_u32 v[1:2], s[38:39], v1, s33, v[0:1]
	s_movk_i32 s10, 0x700
	v_and_b32_e32 v5, 0x1c0, v0
	v_and_b32_e32 v11, 64, v4
	v_subrev_co_u32_e64 v14, s[8:9], 1, v4
	v_lshrrev_b32_e32 v8, 1, v0
	v_lshrrev_b32_e32 v9, 2, v4
	v_and_b32_e32 v10, 3, v4
	v_and_b32_e32 v12, 15, v4
	;; [unrolled: 1-line block ×3, first 2 shown]
	v_min_u32_e32 v5, 0x100, v5
	v_and_or_b32 v3, v3, s10, v4
	v_cmp_lt_i32_e32 vcc, v14, v11
	v_cmp_lt_u32_e64 s[6:7], 31, v4
	v_and_b32_e32 v15, 7, v4
	v_and_b32_e32 v16, 0xfc, v8
	v_cmp_eq_u32_e64 s[10:11], 3, v10
	v_cmp_eq_u32_e64 s[12:13], 2, v10
	;; [unrolled: 1-line block ×4, first 2 shown]
	v_or_b32_e32 v8, v9, v11
	v_add_u32_e32 v9, 48, v9
	v_cmp_eq_u32_e64 s[18:19], 0, v12
	v_cmp_lt_u32_e64 s[20:21], 1, v12
	v_cmp_lt_u32_e64 s[22:23], 3, v12
	;; [unrolled: 1-line block ×3, first 2 shown]
	v_cmp_eq_u32_e64 s[26:27], 0, v13
	v_or_b32_e32 v5, 63, v5
	v_cndmask_b32_e32 v4, v14, v4, vcc
	v_lshrrev_b32_e32 v10, 3, v3
	v_lshlrev_b32_e32 v14, 2, v3
	v_add_u32_e32 v12, 64, v3
	v_or_b32_e32 v13, 0x80, v3
	v_add_u32_e32 v3, 0xc0, v3
	v_lshrrev_b32_e32 v7, 4, v0
	v_and_or_b32 v11, v9, 63, v11
	v_cmp_eq_u32_e64 s[36:37], v0, v5
	v_lshlrev_b32_e32 v9, 2, v4
	v_and_b32_e32 v4, 0xec, v10
	v_lshrrev_b32_e32 v5, 3, v12
	v_lshrrev_b32_e32 v12, 3, v13
	;; [unrolled: 1-line block ×4, first 2 shown]
	v_lshlrev_b32_e32 v6, 4, v0
	v_and_b32_e32 v7, 28, v7
	v_cmp_eq_u32_e64 s[28:29], 0, v15
	v_cmp_lt_u32_e64 s[30:31], 1, v15
	v_cmp_lt_u32_e64 s[34:35], 3, v15
	v_lshlrev_b32_e32 v8, 2, v8
	v_lshlrev_b32_e32 v10, 2, v11
	v_add_u32_e32 v11, v4, v14
	v_and_b32_e32 v4, 0xfc, v5
	v_and_b32_e32 v5, 0xfc, v12
	;; [unrolled: 1-line block ×4, first 2 shown]
	v_mul_i32_i24_e32 v1, -12, v0
	v_cmp_gt_u32_e64 s[0:1], 5, v0
	v_cmp_lt_u32_e64 s[2:3], 63, v0
	v_cmp_eq_u32_e64 s[4:5], 0, v0
	v_add_u32_e32 v12, v4, v14
	v_add_u32_e32 v13, v5, v14
	;; [unrolled: 1-line block ×6, first 2 shown]
	v_or_b32_e32 v19, 0x80, v8
	v_add_u32_e32 v20, -4, v7
	v_mov_b32_e32 v21, 20
	v_mov_b32_e32 v1, 0
	s_waitcnt vmcnt(3)
	v_add_u32_e32 v4, 1, v24
	s_waitcnt vmcnt(2)
	v_add_u32_e32 v5, 1, v25
	;; [unrolled: 2-line block ×4, first 2 shown]
	s_branch .LBB37_2
.LBB37_1:                               ;   in Loop: Header=BB37_2 Depth=1
	v_lshrrev_b32_e32 v28, 3, v5
	v_and_b32_e32 v28, 0x1ffffffc, v28
	v_lshl_add_u32 v5, v5, 2, v28
	v_lshrrev_b32_e32 v28, 3, v4
	v_and_b32_e32 v28, 0x1ffffffc, v28
	v_lshl_add_u32 v4, v4, 2, v28
	v_lshrrev_b32_e32 v28, 3, v3
	v_and_b32_e32 v28, 0x1ffffffc, v28
	v_lshl_add_u32 v3, v3, 2, v28
	s_barrier
	ds_write_b32 v5, v30
	ds_write_b32 v4, v29
	;; [unrolled: 1-line block ×3, first 2 shown]
	v_lshrrev_b32_e32 v27, 3, v2
	v_and_b32_e32 v27, 0x1ffffffc, v27
	v_lshl_add_u32 v2, v2, 2, v27
	ds_write_b32 v2, v26
	s_waitcnt lgkmcnt(0)
	s_barrier
	ds_read2_b32 v[26:27], v16 offset1:1
	ds_read2_b32 v[28:29], v16 offset0:2 offset1:3
	s_waitcnt lgkmcnt(0)
	s_barrier
	ds_write_b32 v5, v25
	ds_write_b32 v4, v24
	;; [unrolled: 1-line block ×4, first 2 shown]
	s_waitcnt lgkmcnt(0)
	s_barrier
	ds_read2_b32 v[4:5], v16 offset1:1
	ds_read2_b32 v[2:3], v16 offset0:2 offset1:3
	s_add_i32 s47, s47, 1
	v_xor_b32_e32 v24, 0x80000000, v26
	v_xor_b32_e32 v25, 0x80000000, v27
	;; [unrolled: 1-line block ×3, first 2 shown]
	s_cmp_eq_u32 s47, 10
	v_xor_b32_e32 v23, 0x80000000, v29
	s_cbranch_scc1 .LBB37_20
.LBB37_2:                               ; =>This Loop Header: Depth=1
                                        ;     Child Loop BB37_4 Depth 2
	v_xor_b32_e32 v24, 0x80000000, v24
	v_xor_b32_e32 v25, 0x80000000, v25
	ds_bpermute_b32 v26, v8, v24
	ds_bpermute_b32 v27, v8, v25
	v_xor_b32_e32 v22, 0x80000000, v22
	v_xor_b32_e32 v23, 0x80000000, v23
	ds_bpermute_b32 v28, v8, v23
	s_waitcnt lgkmcnt(2)
	v_cndmask_b32_e64 v26, 0, v26, s[16:17]
	s_waitcnt lgkmcnt(1)
	v_cndmask_b32_e64 v26, v26, v27, s[14:15]
	ds_bpermute_b32 v27, v8, v22
	ds_bpermute_b32 v29, v18, v24
	;; [unrolled: 1-line block ×5, first 2 shown]
	s_waitcnt lgkmcnt(4)
	v_cndmask_b32_e64 v26, v26, v27, s[12:13]
	v_cndmask_b32_e64 v31, v26, v28, s[10:11]
	ds_bpermute_b32 v27, v18, v23
	ds_bpermute_b32 v28, v19, v24
	s_waitcnt lgkmcnt(5)
	v_cndmask_b32_e64 v26, 0, v29, s[16:17]
	ds_bpermute_b32 v29, v19, v25
	s_waitcnt lgkmcnt(5)
	v_cndmask_b32_e64 v26, v26, v30, s[14:15]
	ds_bpermute_b32 v30, v19, v22
	ds_bpermute_b32 v24, v10, v24
	;; [unrolled: 1-line block ×3, first 2 shown]
	s_waitcnt lgkmcnt(7)
	v_cndmask_b32_e64 v26, v26, v32, s[12:13]
	ds_bpermute_b32 v22, v10, v22
	s_waitcnt lgkmcnt(6)
	v_cndmask_b32_e64 v32, v26, v27, s[10:11]
	s_waitcnt lgkmcnt(5)
	v_cndmask_b32_e64 v26, 0, v28, s[16:17]
	ds_bpermute_b32 v23, v10, v23
	s_waitcnt lgkmcnt(5)
	v_cndmask_b32_e64 v26, v26, v29, s[14:15]
	s_waitcnt lgkmcnt(4)
	v_cndmask_b32_e64 v26, v26, v30, s[12:13]
	;; [unrolled: 2-line block ×3, first 2 shown]
	v_cndmask_b32_e64 v33, v26, v33, s[10:11]
	ds_bpermute_b32 v26, v8, v4
	s_waitcnt lgkmcnt(3)
	v_cndmask_b32_e64 v24, v24, v25, s[14:15]
	s_waitcnt lgkmcnt(2)
	v_cndmask_b32_e64 v22, v24, v22, s[12:13]
	;; [unrolled: 2-line block ×3, first 2 shown]
	ds_bpermute_b32 v23, v8, v5
	ds_bpermute_b32 v24, v8, v2
	;; [unrolled: 1-line block ×3, first 2 shown]
	s_waitcnt lgkmcnt(3)
	v_cndmask_b32_e64 v22, 0, v26, s[16:17]
	ds_bpermute_b32 v26, v18, v4
	ds_bpermute_b32 v27, v18, v5
	s_waitcnt lgkmcnt(4)
	v_cndmask_b32_e64 v22, v22, v23, s[14:15]
	ds_bpermute_b32 v23, v18, v2
	s_waitcnt lgkmcnt(4)
	v_cndmask_b32_e64 v22, v22, v24, s[12:13]
	s_waitcnt lgkmcnt(3)
	v_cndmask_b32_e64 v35, v22, v25, s[10:11]
	ds_bpermute_b32 v24, v18, v3
	ds_bpermute_b32 v25, v19, v4
	;; [unrolled: 1-line block ×3, first 2 shown]
	s_waitcnt lgkmcnt(5)
	v_cndmask_b32_e64 v22, 0, v26, s[16:17]
	ds_bpermute_b32 v26, v19, v5
	ds_bpermute_b32 v5, v10, v5
	s_waitcnt lgkmcnt(6)
	v_cndmask_b32_e64 v22, v22, v27, s[14:15]
	ds_bpermute_b32 v27, v19, v2
	ds_bpermute_b32 v2, v10, v2
	;; [unrolled: 4-line block ×3, first 2 shown]
	s_waitcnt lgkmcnt(8)
	v_cndmask_b32_e64 v36, v22, v24, s[10:11]
	s_waitcnt lgkmcnt(7)
	v_cndmask_b32_e64 v22, 0, v25, s[16:17]
	;; [unrolled: 2-line block ×9, first 2 shown]
	v_mov_b32_e32 v28, v1
	s_barrier
	s_branch .LBB37_4
.LBB37_3:                               ;   in Loop: Header=BB37_4 Depth=2
	s_andn2_b64 vcc, exec, s[38:39]
	s_cbranch_vccz .LBB37_1
.LBB37_4:                               ;   Parent Loop BB37_2 Depth=1
                                        ; =>  This Inner Loop Header: Depth=2
	v_mov_b32_e32 v30, v31
	v_lshrrev_b32_e32 v3, v28, v30
	v_and_b32_e32 v2, 1, v3
	v_add_co_u32_e32 v5, vcc, -1, v2
	v_addc_co_u32_e64 v31, s[38:39], 0, -1, vcc
	v_cmp_ne_u32_e32 vcc, 0, v2
	v_xor_b32_e32 v2, vcc_hi, v31
	v_and_b32_e32 v31, exec_hi, v2
	v_lshlrev_b32_e32 v2, 30, v3
	v_xor_b32_e32 v5, vcc_lo, v5
	v_cmp_gt_i64_e32 vcc, 0, v[1:2]
	v_not_b32_e32 v2, v2
	v_ashrrev_i32_e32 v2, 31, v2
	v_mov_b32_e32 v29, v32
	v_and_b32_e32 v5, exec_lo, v5
	v_xor_b32_e32 v32, vcc_hi, v2
	v_xor_b32_e32 v2, vcc_lo, v2
	v_and_b32_e32 v5, v5, v2
	v_lshlrev_b32_e32 v2, 29, v3
	v_cmp_gt_i64_e32 vcc, 0, v[1:2]
	v_not_b32_e32 v2, v2
	v_ashrrev_i32_e32 v2, 31, v2
	v_and_b32_e32 v31, v31, v32
	v_xor_b32_e32 v32, vcc_hi, v2
	v_xor_b32_e32 v2, vcc_lo, v2
	v_and_b32_e32 v5, v5, v2
	v_lshlrev_b32_e32 v2, 28, v3
	v_cmp_gt_i64_e32 vcc, 0, v[1:2]
	v_not_b32_e32 v2, v2
	v_ashrrev_i32_e32 v2, 31, v2
	v_and_b32_e32 v31, v31, v32
	;; [unrolled: 8-line block ×5, first 2 shown]
	v_xor_b32_e32 v32, vcc_hi, v2
	v_xor_b32_e32 v2, vcc_lo, v2
	v_and_b32_e32 v5, v5, v2
	v_lshlrev_b32_e32 v2, 24, v3
	v_cmp_gt_i64_e32 vcc, 0, v[1:2]
	v_not_b32_e32 v2, v2
	v_ashrrev_i32_e32 v2, 31, v2
	v_mul_u32_u24_sdwa v4, v3, v21 dst_sel:DWORD dst_unused:UNUSED_PAD src0_sel:BYTE_0 src1_sel:DWORD
	v_xor_b32_e32 v3, vcc_hi, v2
	v_xor_b32_e32 v2, vcc_lo, v2
	v_and_b32_e32 v31, v31, v32
	v_and_b32_e32 v2, v5, v2
	v_and_b32_e32 v3, v31, v3
	v_mbcnt_lo_u32_b32 v5, v2, 0
	v_mbcnt_hi_u32_b32 v31, v3, v5
	v_cmp_ne_u64_e32 vcc, 0, v[2:3]
	v_cmp_eq_u32_e64 s[38:39], 0, v31
	v_mov_b32_e32 v26, v34
	v_mov_b32_e32 v27, v33
	;; [unrolled: 1-line block ×6, first 2 shown]
	s_and_b64 s[40:41], vcc, s[38:39]
	v_add_u32_e32 v32, v15, v4
	ds_write2_b32 v6, v1, v1 offset0:5 offset1:6
	ds_write2_b32 v6, v1, v1 offset0:7 offset1:8
	s_waitcnt lgkmcnt(0)
	s_barrier
	; wave barrier
	s_and_saveexec_b64 s[38:39], s[40:41]
; %bb.5:                                ;   in Loop: Header=BB37_4 Depth=2
	v_bcnt_u32_b32 v2, v2, 0
	v_bcnt_u32_b32 v2, v3, v2
	ds_write_b32 v32, v2 offset:20
; %bb.6:                                ;   in Loop: Header=BB37_4 Depth=2
	s_or_b64 exec, exec, s[38:39]
	v_lshrrev_b32_e32 v3, v28, v29
	v_and_b32_e32 v2, 0xff, v3
	v_mul_u32_u24_e32 v4, 20, v2
	v_mad_u32_u24 v2, v2, 20, v15
	; wave barrier
	ds_read_b32 v33, v2 offset:20
	v_and_b32_e32 v2, 1, v3
	v_add_co_u32_e32 v5, vcc, -1, v2
	v_addc_co_u32_e64 v34, s[38:39], 0, -1, vcc
	v_cmp_ne_u32_e32 vcc, 0, v2
	v_xor_b32_e32 v2, vcc_hi, v34
	v_and_b32_e32 v34, exec_hi, v2
	v_lshlrev_b32_e32 v2, 30, v3
	v_xor_b32_e32 v5, vcc_lo, v5
	v_cmp_gt_i64_e32 vcc, 0, v[1:2]
	v_not_b32_e32 v2, v2
	v_ashrrev_i32_e32 v2, 31, v2
	v_and_b32_e32 v5, exec_lo, v5
	v_xor_b32_e32 v35, vcc_hi, v2
	v_xor_b32_e32 v2, vcc_lo, v2
	v_and_b32_e32 v5, v5, v2
	v_lshlrev_b32_e32 v2, 29, v3
	v_cmp_gt_i64_e32 vcc, 0, v[1:2]
	v_not_b32_e32 v2, v2
	v_ashrrev_i32_e32 v2, 31, v2
	v_and_b32_e32 v34, v34, v35
	v_xor_b32_e32 v35, vcc_hi, v2
	v_xor_b32_e32 v2, vcc_lo, v2
	v_and_b32_e32 v5, v5, v2
	v_lshlrev_b32_e32 v2, 28, v3
	v_cmp_gt_i64_e32 vcc, 0, v[1:2]
	v_not_b32_e32 v2, v2
	v_ashrrev_i32_e32 v2, 31, v2
	v_and_b32_e32 v34, v34, v35
	;; [unrolled: 8-line block ×5, first 2 shown]
	v_xor_b32_e32 v35, vcc_hi, v2
	v_xor_b32_e32 v2, vcc_lo, v2
	v_and_b32_e32 v5, v5, v2
	v_lshlrev_b32_e32 v2, 24, v3
	v_cmp_gt_i64_e32 vcc, 0, v[1:2]
	v_not_b32_e32 v2, v2
	v_ashrrev_i32_e32 v2, 31, v2
	v_xor_b32_e32 v3, vcc_hi, v2
	v_xor_b32_e32 v2, vcc_lo, v2
	v_and_b32_e32 v34, v34, v35
	v_and_b32_e32 v2, v5, v2
	;; [unrolled: 1-line block ×3, first 2 shown]
	v_mbcnt_lo_u32_b32 v5, v2, 0
	v_mbcnt_hi_u32_b32 v34, v3, v5
	v_cmp_ne_u64_e32 vcc, 0, v[2:3]
	v_cmp_eq_u32_e64 s[38:39], 0, v34
	s_and_b64 s[40:41], vcc, s[38:39]
	v_add_u32_e32 v35, v15, v4
	; wave barrier
	s_and_saveexec_b64 s[38:39], s[40:41]
	s_cbranch_execz .LBB37_8
; %bb.7:                                ;   in Loop: Header=BB37_4 Depth=2
	v_bcnt_u32_b32 v2, v2, 0
	v_bcnt_u32_b32 v2, v3, v2
	s_waitcnt lgkmcnt(0)
	v_add_u32_e32 v2, v33, v2
	ds_write_b32 v35, v2 offset:20
.LBB37_8:                               ;   in Loop: Header=BB37_4 Depth=2
	s_or_b64 exec, exec, s[38:39]
	v_lshrrev_b32_e32 v3, v28, v27
	v_and_b32_e32 v2, 0xff, v3
	v_mul_u32_u24_e32 v4, 20, v2
	v_mad_u32_u24 v2, v2, 20, v15
	; wave barrier
	ds_read_b32 v36, v2 offset:20
	v_and_b32_e32 v2, 1, v3
	v_add_co_u32_e32 v5, vcc, -1, v2
	v_addc_co_u32_e64 v37, s[38:39], 0, -1, vcc
	v_cmp_ne_u32_e32 vcc, 0, v2
	v_xor_b32_e32 v2, vcc_hi, v37
	v_and_b32_e32 v37, exec_hi, v2
	v_lshlrev_b32_e32 v2, 30, v3
	v_xor_b32_e32 v5, vcc_lo, v5
	v_cmp_gt_i64_e32 vcc, 0, v[1:2]
	v_not_b32_e32 v2, v2
	v_ashrrev_i32_e32 v2, 31, v2
	v_and_b32_e32 v5, exec_lo, v5
	v_xor_b32_e32 v38, vcc_hi, v2
	v_xor_b32_e32 v2, vcc_lo, v2
	v_and_b32_e32 v5, v5, v2
	v_lshlrev_b32_e32 v2, 29, v3
	v_cmp_gt_i64_e32 vcc, 0, v[1:2]
	v_not_b32_e32 v2, v2
	v_ashrrev_i32_e32 v2, 31, v2
	v_and_b32_e32 v37, v37, v38
	v_xor_b32_e32 v38, vcc_hi, v2
	v_xor_b32_e32 v2, vcc_lo, v2
	v_and_b32_e32 v5, v5, v2
	v_lshlrev_b32_e32 v2, 28, v3
	v_cmp_gt_i64_e32 vcc, 0, v[1:2]
	v_not_b32_e32 v2, v2
	v_ashrrev_i32_e32 v2, 31, v2
	v_and_b32_e32 v37, v37, v38
	;; [unrolled: 8-line block ×5, first 2 shown]
	v_xor_b32_e32 v38, vcc_hi, v2
	v_xor_b32_e32 v2, vcc_lo, v2
	v_and_b32_e32 v5, v5, v2
	v_lshlrev_b32_e32 v2, 24, v3
	v_cmp_gt_i64_e32 vcc, 0, v[1:2]
	v_not_b32_e32 v2, v2
	v_ashrrev_i32_e32 v2, 31, v2
	v_xor_b32_e32 v3, vcc_hi, v2
	v_xor_b32_e32 v2, vcc_lo, v2
	v_and_b32_e32 v37, v37, v38
	v_and_b32_e32 v2, v5, v2
	;; [unrolled: 1-line block ×3, first 2 shown]
	v_mbcnt_lo_u32_b32 v5, v2, 0
	v_mbcnt_hi_u32_b32 v37, v3, v5
	v_cmp_ne_u64_e32 vcc, 0, v[2:3]
	v_cmp_eq_u32_e64 s[38:39], 0, v37
	s_and_b64 s[40:41], vcc, s[38:39]
	v_add_u32_e32 v38, v15, v4
	; wave barrier
	s_and_saveexec_b64 s[38:39], s[40:41]
	s_cbranch_execz .LBB37_10
; %bb.9:                                ;   in Loop: Header=BB37_4 Depth=2
	v_bcnt_u32_b32 v2, v2, 0
	v_bcnt_u32_b32 v2, v3, v2
	s_waitcnt lgkmcnt(0)
	v_add_u32_e32 v2, v36, v2
	ds_write_b32 v38, v2 offset:20
.LBB37_10:                              ;   in Loop: Header=BB37_4 Depth=2
	s_or_b64 exec, exec, s[38:39]
	v_lshrrev_b32_e32 v3, v28, v26
	v_and_b32_e32 v2, 0xff, v3
	v_mul_u32_u24_e32 v4, 20, v2
	v_mad_u32_u24 v2, v2, 20, v15
	; wave barrier
	ds_read_b32 v39, v2 offset:20
	v_and_b32_e32 v2, 1, v3
	v_add_co_u32_e32 v5, vcc, -1, v2
	v_addc_co_u32_e64 v40, s[38:39], 0, -1, vcc
	v_cmp_ne_u32_e32 vcc, 0, v2
	v_xor_b32_e32 v2, vcc_hi, v40
	v_and_b32_e32 v40, exec_hi, v2
	v_lshlrev_b32_e32 v2, 30, v3
	v_xor_b32_e32 v5, vcc_lo, v5
	v_cmp_gt_i64_e32 vcc, 0, v[1:2]
	v_not_b32_e32 v2, v2
	v_ashrrev_i32_e32 v2, 31, v2
	v_and_b32_e32 v5, exec_lo, v5
	v_xor_b32_e32 v41, vcc_hi, v2
	v_xor_b32_e32 v2, vcc_lo, v2
	v_and_b32_e32 v5, v5, v2
	v_lshlrev_b32_e32 v2, 29, v3
	v_cmp_gt_i64_e32 vcc, 0, v[1:2]
	v_not_b32_e32 v2, v2
	v_ashrrev_i32_e32 v2, 31, v2
	v_and_b32_e32 v40, v40, v41
	v_xor_b32_e32 v41, vcc_hi, v2
	v_xor_b32_e32 v2, vcc_lo, v2
	v_and_b32_e32 v5, v5, v2
	v_lshlrev_b32_e32 v2, 28, v3
	v_cmp_gt_i64_e32 vcc, 0, v[1:2]
	v_not_b32_e32 v2, v2
	v_ashrrev_i32_e32 v2, 31, v2
	v_and_b32_e32 v40, v40, v41
	;; [unrolled: 8-line block ×5, first 2 shown]
	v_xor_b32_e32 v41, vcc_hi, v2
	v_xor_b32_e32 v2, vcc_lo, v2
	v_and_b32_e32 v5, v5, v2
	v_lshlrev_b32_e32 v2, 24, v3
	v_cmp_gt_i64_e32 vcc, 0, v[1:2]
	v_not_b32_e32 v2, v2
	v_ashrrev_i32_e32 v2, 31, v2
	v_xor_b32_e32 v3, vcc_hi, v2
	v_xor_b32_e32 v2, vcc_lo, v2
	v_and_b32_e32 v40, v40, v41
	v_and_b32_e32 v2, v5, v2
	;; [unrolled: 1-line block ×3, first 2 shown]
	v_mbcnt_lo_u32_b32 v5, v2, 0
	v_mbcnt_hi_u32_b32 v40, v3, v5
	v_cmp_ne_u64_e32 vcc, 0, v[2:3]
	v_cmp_eq_u32_e64 s[38:39], 0, v40
	s_and_b64 s[40:41], vcc, s[38:39]
	v_add_u32_e32 v41, v15, v4
	; wave barrier
	s_and_saveexec_b64 s[38:39], s[40:41]
	s_cbranch_execz .LBB37_12
; %bb.11:                               ;   in Loop: Header=BB37_4 Depth=2
	v_bcnt_u32_b32 v2, v2, 0
	v_bcnt_u32_b32 v2, v3, v2
	s_waitcnt lgkmcnt(0)
	v_add_u32_e32 v2, v39, v2
	ds_write_b32 v41, v2 offset:20
.LBB37_12:                              ;   in Loop: Header=BB37_4 Depth=2
	s_or_b64 exec, exec, s[38:39]
	; wave barrier
	s_waitcnt lgkmcnt(0)
	s_barrier
	ds_read2_b32 v[4:5], v6 offset0:5 offset1:6
	ds_read2_b32 v[2:3], v6 offset0:7 offset1:8
	s_waitcnt lgkmcnt(1)
	v_add_u32_e32 v42, v5, v4
	s_waitcnt lgkmcnt(0)
	v_add3_u32 v3, v42, v2, v3
	s_nop 1
	v_mov_b32_dpp v42, v3 row_shr:1 row_mask:0xf bank_mask:0xf
	v_cndmask_b32_e64 v42, v42, 0, s[18:19]
	v_add_u32_e32 v3, v42, v3
	s_nop 1
	v_mov_b32_dpp v42, v3 row_shr:2 row_mask:0xf bank_mask:0xf
	v_cndmask_b32_e64 v42, 0, v42, s[20:21]
	v_add_u32_e32 v3, v3, v42
	;; [unrolled: 4-line block ×4, first 2 shown]
	s_nop 1
	v_mov_b32_dpp v42, v3 row_bcast:15 row_mask:0xf bank_mask:0xf
	v_cndmask_b32_e64 v42, v42, 0, s[26:27]
	v_add_u32_e32 v3, v3, v42
	s_nop 1
	v_mov_b32_dpp v42, v3 row_bcast:31 row_mask:0xf bank_mask:0xf
	v_cndmask_b32_e64 v42, 0, v42, s[6:7]
	v_add_u32_e32 v3, v3, v42
	s_and_saveexec_b64 s[38:39], s[36:37]
; %bb.13:                               ;   in Loop: Header=BB37_4 Depth=2
	ds_write_b32 v7, v3
; %bb.14:                               ;   in Loop: Header=BB37_4 Depth=2
	s_or_b64 exec, exec, s[38:39]
	s_waitcnt lgkmcnt(0)
	s_barrier
	s_and_saveexec_b64 s[38:39], s[0:1]
	s_cbranch_execz .LBB37_16
; %bb.15:                               ;   in Loop: Header=BB37_4 Depth=2
	ds_read_b32 v42, v17
	s_waitcnt lgkmcnt(0)
	s_nop 0
	v_mov_b32_dpp v43, v42 row_shr:1 row_mask:0xf bank_mask:0xf
	v_cndmask_b32_e64 v43, v43, 0, s[28:29]
	v_add_u32_e32 v42, v43, v42
	s_nop 1
	v_mov_b32_dpp v43, v42 row_shr:2 row_mask:0xf bank_mask:0xf
	v_cndmask_b32_e64 v43, 0, v43, s[30:31]
	v_add_u32_e32 v42, v42, v43
	;; [unrolled: 4-line block ×3, first 2 shown]
	ds_write_b32 v17, v42
.LBB37_16:                              ;   in Loop: Header=BB37_4 Depth=2
	s_or_b64 exec, exec, s[38:39]
	v_mov_b32_e32 v42, 0
	s_waitcnt lgkmcnt(0)
	s_barrier
	s_and_saveexec_b64 s[38:39], s[2:3]
; %bb.17:                               ;   in Loop: Header=BB37_4 Depth=2
	ds_read_b32 v42, v20
; %bb.18:                               ;   in Loop: Header=BB37_4 Depth=2
	s_or_b64 exec, exec, s[38:39]
	s_waitcnt lgkmcnt(0)
	v_add_u32_e32 v3, v42, v3
	ds_bpermute_b32 v3, v9, v3
	v_cmp_lt_u32_e32 vcc, 23, v28
	s_and_b64 vcc, exec, vcc
	s_mov_b64 s[38:39], -1
	s_waitcnt lgkmcnt(0)
	v_cndmask_b32_e64 v3, v3, v42, s[8:9]
	v_cndmask_b32_e64 v3, v3, 0, s[4:5]
	v_add_u32_e32 v4, v3, v4
	v_add_u32_e32 v5, v4, v5
	;; [unrolled: 1-line block ×3, first 2 shown]
	ds_write2_b32 v6, v3, v4 offset0:5 offset1:6
	ds_write2_b32 v6, v5, v2 offset0:7 offset1:8
	s_waitcnt lgkmcnt(0)
	s_barrier
	ds_read_b32 v2, v32 offset:20
	ds_read_b32 v3, v35 offset:20
	;; [unrolled: 1-line block ×4, first 2 shown]
                                        ; implicit-def: $vgpr38
	s_waitcnt lgkmcnt(3)
	v_add_u32_e32 v5, v2, v31
	s_waitcnt lgkmcnt(2)
	v_add3_u32 v4, v34, v33, v3
	s_waitcnt lgkmcnt(1)
	v_add3_u32 v3, v37, v36, v32
	;; [unrolled: 2-line block ×3, first 2 shown]
                                        ; implicit-def: $vgpr34
                                        ; implicit-def: $vgpr33
                                        ; implicit-def: $vgpr32
                                        ; implicit-def: $vgpr31
                                        ; implicit-def: $vgpr37
                                        ; implicit-def: $vgpr36
                                        ; implicit-def: $vgpr35
	s_cbranch_vccnz .LBB37_3
; %bb.19:                               ;   in Loop: Header=BB37_4 Depth=2
	v_lshrrev_b32_e32 v31, 3, v5
	v_and_b32_e32 v31, 0x1ffffffc, v31
	v_lshl_add_u32 v35, v5, 2, v31
	v_lshrrev_b32_e32 v31, 3, v4
	v_and_b32_e32 v31, 0x1ffffffc, v31
	v_lshl_add_u32 v36, v4, 2, v31
	;; [unrolled: 3-line block ×4, first 2 shown]
	s_barrier
	ds_write_b32 v35, v30
	ds_write_b32 v36, v29
	;; [unrolled: 1-line block ×4, first 2 shown]
	s_waitcnt lgkmcnt(0)
	s_barrier
	ds_read_b32 v31, v11
	ds_read_b32 v32, v12 offset:256
	ds_read_b32 v33, v13 offset:512
	;; [unrolled: 1-line block ×3, first 2 shown]
	s_waitcnt lgkmcnt(0)
	s_barrier
	ds_write_b32 v35, v25
	ds_write_b32 v36, v24
	;; [unrolled: 1-line block ×4, first 2 shown]
	s_waitcnt lgkmcnt(0)
	s_barrier
	ds_read_b32 v35, v11
	ds_read_b32 v36, v12 offset:256
	ds_read_b32 v37, v13 offset:512
	;; [unrolled: 1-line block ×3, first 2 shown]
	v_add_u32_e32 v28, 8, v28
	s_mov_b64 s[38:39], 0
	s_waitcnt lgkmcnt(0)
	s_barrier
	s_branch .LBB37_3
.LBB37_20:
	s_add_u32 s0, s42, s44
	s_waitcnt lgkmcnt(1)
	v_add_u32_e32 v1, v24, v4
	s_addc_u32 s1, s43, s45
	v_lshlrev_b32_e32 v0, 2, v0
	v_add_u32_e32 v4, v25, v5
	s_waitcnt lgkmcnt(0)
	v_add_u32_e32 v2, v22, v2
	v_add_u32_e32 v3, v23, v3
	global_store_dword v0, v1, s[0:1]
	global_store_dword v0, v4, s[0:1] offset:1280
	global_store_dword v0, v2, s[0:1] offset:2560
	global_store_dword v0, v3, s[0:1] offset:3840
	s_endpgm
	.section	.rodata,"a",@progbits
	.p2align	6, 0x0
	.amdhsa_kernel _Z17sort_pairs_kernelI22helper_blocked_blockediLj320ELj4ELj10EEvPKT0_PS1_
		.amdhsa_group_segment_fixed_size 5280
		.amdhsa_private_segment_fixed_size 0
		.amdhsa_kernarg_size 272
		.amdhsa_user_sgpr_count 6
		.amdhsa_user_sgpr_private_segment_buffer 1
		.amdhsa_user_sgpr_dispatch_ptr 0
		.amdhsa_user_sgpr_queue_ptr 0
		.amdhsa_user_sgpr_kernarg_segment_ptr 1
		.amdhsa_user_sgpr_dispatch_id 0
		.amdhsa_user_sgpr_flat_scratch_init 0
		.amdhsa_user_sgpr_private_segment_size 0
		.amdhsa_uses_dynamic_stack 0
		.amdhsa_system_sgpr_private_segment_wavefront_offset 0
		.amdhsa_system_sgpr_workgroup_id_x 1
		.amdhsa_system_sgpr_workgroup_id_y 0
		.amdhsa_system_sgpr_workgroup_id_z 0
		.amdhsa_system_sgpr_workgroup_info 0
		.amdhsa_system_vgpr_workitem_id 2
		.amdhsa_next_free_vgpr 44
		.amdhsa_next_free_sgpr 48
		.amdhsa_reserve_vcc 1
		.amdhsa_reserve_flat_scratch 0
		.amdhsa_float_round_mode_32 0
		.amdhsa_float_round_mode_16_64 0
		.amdhsa_float_denorm_mode_32 3
		.amdhsa_float_denorm_mode_16_64 3
		.amdhsa_dx10_clamp 1
		.amdhsa_ieee_mode 1
		.amdhsa_fp16_overflow 0
		.amdhsa_exception_fp_ieee_invalid_op 0
		.amdhsa_exception_fp_denorm_src 0
		.amdhsa_exception_fp_ieee_div_zero 0
		.amdhsa_exception_fp_ieee_overflow 0
		.amdhsa_exception_fp_ieee_underflow 0
		.amdhsa_exception_fp_ieee_inexact 0
		.amdhsa_exception_int_div_zero 0
	.end_amdhsa_kernel
	.section	.text._Z17sort_pairs_kernelI22helper_blocked_blockediLj320ELj4ELj10EEvPKT0_PS1_,"axG",@progbits,_Z17sort_pairs_kernelI22helper_blocked_blockediLj320ELj4ELj10EEvPKT0_PS1_,comdat
.Lfunc_end37:
	.size	_Z17sort_pairs_kernelI22helper_blocked_blockediLj320ELj4ELj10EEvPKT0_PS1_, .Lfunc_end37-_Z17sort_pairs_kernelI22helper_blocked_blockediLj320ELj4ELj10EEvPKT0_PS1_
                                        ; -- End function
	.set _Z17sort_pairs_kernelI22helper_blocked_blockediLj320ELj4ELj10EEvPKT0_PS1_.num_vgpr, 44
	.set _Z17sort_pairs_kernelI22helper_blocked_blockediLj320ELj4ELj10EEvPKT0_PS1_.num_agpr, 0
	.set _Z17sort_pairs_kernelI22helper_blocked_blockediLj320ELj4ELj10EEvPKT0_PS1_.numbered_sgpr, 48
	.set _Z17sort_pairs_kernelI22helper_blocked_blockediLj320ELj4ELj10EEvPKT0_PS1_.num_named_barrier, 0
	.set _Z17sort_pairs_kernelI22helper_blocked_blockediLj320ELj4ELj10EEvPKT0_PS1_.private_seg_size, 0
	.set _Z17sort_pairs_kernelI22helper_blocked_blockediLj320ELj4ELj10EEvPKT0_PS1_.uses_vcc, 1
	.set _Z17sort_pairs_kernelI22helper_blocked_blockediLj320ELj4ELj10EEvPKT0_PS1_.uses_flat_scratch, 0
	.set _Z17sort_pairs_kernelI22helper_blocked_blockediLj320ELj4ELj10EEvPKT0_PS1_.has_dyn_sized_stack, 0
	.set _Z17sort_pairs_kernelI22helper_blocked_blockediLj320ELj4ELj10EEvPKT0_PS1_.has_recursion, 0
	.set _Z17sort_pairs_kernelI22helper_blocked_blockediLj320ELj4ELj10EEvPKT0_PS1_.has_indirect_call, 0
	.section	.AMDGPU.csdata,"",@progbits
; Kernel info:
; codeLenInByte = 3836
; TotalNumSgprs: 52
; NumVgprs: 44
; ScratchSize: 0
; MemoryBound: 0
; FloatMode: 240
; IeeeMode: 1
; LDSByteSize: 5280 bytes/workgroup (compile time only)
; SGPRBlocks: 6
; VGPRBlocks: 10
; NumSGPRsForWavesPerEU: 52
; NumVGPRsForWavesPerEU: 44
; Occupancy: 5
; WaveLimiterHint : 1
; COMPUTE_PGM_RSRC2:SCRATCH_EN: 0
; COMPUTE_PGM_RSRC2:USER_SGPR: 6
; COMPUTE_PGM_RSRC2:TRAP_HANDLER: 0
; COMPUTE_PGM_RSRC2:TGID_X_EN: 1
; COMPUTE_PGM_RSRC2:TGID_Y_EN: 0
; COMPUTE_PGM_RSRC2:TGID_Z_EN: 0
; COMPUTE_PGM_RSRC2:TIDIG_COMP_CNT: 2
	.section	.text._Z16sort_keys_kernelI22helper_blocked_blockediLj320ELj8ELj10EEvPKT0_PS1_,"axG",@progbits,_Z16sort_keys_kernelI22helper_blocked_blockediLj320ELj8ELj10EEvPKT0_PS1_,comdat
	.protected	_Z16sort_keys_kernelI22helper_blocked_blockediLj320ELj8ELj10EEvPKT0_PS1_ ; -- Begin function _Z16sort_keys_kernelI22helper_blocked_blockediLj320ELj8ELj10EEvPKT0_PS1_
	.globl	_Z16sort_keys_kernelI22helper_blocked_blockediLj320ELj8ELj10EEvPKT0_PS1_
	.p2align	8
	.type	_Z16sort_keys_kernelI22helper_blocked_blockediLj320ELj8ELj10EEvPKT0_PS1_,@function
_Z16sort_keys_kernelI22helper_blocked_blockediLj320ELj8ELj10EEvPKT0_PS1_: ; @_Z16sort_keys_kernelI22helper_blocked_blockediLj320ELj8ELj10EEvPKT0_PS1_
; %bb.0:
	s_load_dwordx4 s[28:31], s[4:5], 0x0
	s_load_dword s2, s[4:5], 0x1c
	s_mul_i32 s34, s6, 0xa00
	s_mov_b32 s35, 0
	s_lshl_b64 s[36:37], s[34:35], 2
	s_waitcnt lgkmcnt(0)
	s_add_u32 s0, s28, s36
	s_addc_u32 s1, s29, s37
	v_lshlrev_b32_e32 v10, 2, v0
	v_mov_b32_e32 v4, s1
	v_add_co_u32_e32 v5, vcc, s0, v10
	v_addc_co_u32_e32 v4, vcc, 0, v4, vcc
	s_movk_i32 s3, 0x1000
	v_add_co_u32_e32 v6, vcc, s3, v5
	v_addc_co_u32_e32 v7, vcc, 0, v4, vcc
	s_movk_i32 s3, 0x2000
	v_add_co_u32_e32 v8, vcc, s3, v5
	v_addc_co_u32_e32 v9, vcc, 0, v4, vcc
	global_load_dword v25, v10, s[0:1]
	global_load_dword v26, v10, s[0:1] offset:1280
	global_load_dword v27, v10, s[0:1] offset:2560
	;; [unrolled: 1-line block ×3, first 2 shown]
	global_load_dword v5, v[6:7], off offset:1024
	global_load_dword v23, v[6:7], off offset:2304
	;; [unrolled: 1-line block ×4, first 2 shown]
	v_mbcnt_lo_u32_b32 v6, -1, 0
	v_mbcnt_hi_u32_b32 v18, -1, v6
	v_lshlrev_b32_e32 v7, 3, v0
	s_movk_i32 s0, 0xe00
	v_and_or_b32 v14, v7, s0, v18
	s_lshr_b32 s0, s2, 16
	s_and_b32 s1, s2, 0xffff
	v_mad_u32_u24 v1, v2, s0, v1
	v_mad_u64_u32 v[1:2], s[0:1], v1, s1, v[0:1]
	v_and_b32_e32 v2, 15, v18
	v_and_b32_e32 v16, 0x1c0, v0
	v_cmp_eq_u32_e64 s[0:1], 0, v2
	v_cmp_lt_u32_e64 s[2:3], 1, v2
	v_cmp_lt_u32_e64 s[4:5], 3, v2
	;; [unrolled: 1-line block ×3, first 2 shown]
	v_and_b32_e32 v2, 16, v18
	v_cmp_eq_u32_e64 s[8:9], 0, v2
	v_min_u32_e32 v2, 0x100, v16
	v_add_u32_e32 v6, v18, v16
	v_or_b32_e32 v2, 63, v2
	v_and_b32_e32 v8, 0x3fc, v6
	v_cmp_eq_u32_e64 s[12:13], v0, v2
	v_subrev_co_u32_e64 v2, s[18:19], 1, v18
	v_and_b32_e32 v16, 64, v18
	v_lshl_add_u32 v6, v6, 5, v8
	v_lshrrev_b32_e32 v7, 3, v14
	v_lshlrev_b32_e32 v15, 2, v14
	v_add_u32_e32 v8, 64, v14
	v_or_b32_e32 v9, 0x80, v14
	v_add_u32_e32 v10, 0xc0, v14
	v_or_b32_e32 v11, 0x100, v14
	;; [unrolled: 2-line block ×3, first 2 shown]
	v_add_u32_e32 v14, 0x1c0, v14
	v_cmp_lt_i32_e32 vcc, v2, v16
	v_lshrrev_b32_e32 v8, 3, v8
	v_lshrrev_b32_e32 v9, 3, v9
	;; [unrolled: 1-line block ×7, first 2 shown]
	v_cndmask_b32_e32 v2, v2, v18, vcc
	v_and_b32_e32 v7, 0x1cc, v7
	v_and_b32_e32 v8, 0x1dc, v8
	;; [unrolled: 1-line block ×8, first 2 shown]
	v_lshlrev_b32_e32 v16, 2, v2
	v_lshrrev_b32_e32 v2, 4, v0
	v_lshrrev_b32_e32 v1, 4, v1
	v_add_u32_e32 v7, v7, v15
	v_add_u32_e32 v8, v8, v15
	;; [unrolled: 1-line block ×8, first 2 shown]
	v_lshlrev_b32_e32 v15, 4, v0
	v_cmp_lt_u32_e64 s[10:11], 31, v18
	v_and_b32_e32 v17, 28, v2
	v_mul_i32_i24_e32 v2, -12, v0
	v_and_b32_e32 v18, 7, v18
	v_and_b32_e32 v19, 0xffffffc, v1
	v_and_b32_e32 v1, 0x1fc, v0
	v_mov_b32_e32 v3, 0
	v_cmp_gt_u32_e64 s[14:15], 5, v0
	v_cmp_lt_u32_e64 s[16:17], 63, v0
	v_cmp_eq_u32_e64 s[20:21], 0, v0
	v_cmp_eq_u32_e64 s[22:23], 0, v18
	v_cmp_lt_u32_e64 s[24:25], 1, v18
	v_cmp_lt_u32_e64 s[26:27], 3, v18
	v_add_u32_e32 v18, -4, v17
	v_lshl_add_u32 v20, v0, 5, v1
	v_add_u32_e32 v21, v15, v2
	v_mov_b32_e32 v22, 20
	s_branch .LBB38_2
.LBB38_1:                               ;   in Loop: Header=BB38_2 Depth=1
	v_lshrrev_b32_e32 v29, 3, v36
	v_and_b32_e32 v29, 0x1ffffffc, v29
	v_lshl_add_u32 v29, v36, 2, v29
	s_barrier
	ds_write_b32 v29, v31
	v_lshrrev_b32_e32 v29, 3, v32
	v_and_b32_e32 v29, 0x1ffffffc, v29
	v_lshl_add_u32 v29, v32, 2, v29
	ds_write_b32 v29, v30
	v_lshrrev_b32_e32 v29, 3, v5
	v_and_b32_e32 v29, 0x1ffffffc, v29
	v_lshl_add_u32 v5, v5, 2, v29
	;; [unrolled: 4-line block ×7, first 2 shown]
	ds_write_b32 v1, v23
	s_waitcnt lgkmcnt(0)
	s_barrier
	ds_read2_b32 v[1:2], v20 offset1:1
	ds_read2_b32 v[4:5], v20 offset0:2 offset1:3
	ds_read2_b32 v[23:24], v20 offset0:4 offset1:5
	;; [unrolled: 1-line block ×3, first 2 shown]
	s_add_i32 s35, s35, 1
	s_waitcnt lgkmcnt(3)
	v_xor_b32_e32 v25, 0x80000000, v1
	v_xor_b32_e32 v26, 0x80000000, v2
	s_waitcnt lgkmcnt(2)
	v_xor_b32_e32 v27, 0x80000000, v4
	v_xor_b32_e32 v28, 0x80000000, v5
	;; [unrolled: 3-line block ×3, first 2 shown]
	s_waitcnt lgkmcnt(0)
	v_xor_b32_e32 v24, 0x80000000, v29
	s_cmp_eq_u32 s35, 10
	v_xor_b32_e32 v4, 0x80000000, v30
	s_cbranch_scc1 .LBB38_28
.LBB38_2:                               ; =>This Loop Header: Depth=1
                                        ;     Child Loop BB38_4 Depth 2
	s_waitcnt vmcnt(7)
	v_xor_b32_e32 v1, 0x80000000, v25
	s_waitcnt vmcnt(6)
	v_xor_b32_e32 v2, 0x80000000, v26
	;; [unrolled: 2-line block ×8, first 2 shown]
	ds_write2_b32 v6, v1, v2 offset1:1
	ds_write2_b32 v6, v25, v26 offset0:2 offset1:3
	ds_write2_b32 v6, v5, v23 offset0:4 offset1:5
	;; [unrolled: 1-line block ×3, first 2 shown]
	; wave barrier
	ds_read_b32 v35, v7
	ds_read_b32 v37, v8 offset:256
	ds_read_b32 v38, v9 offset:512
	;; [unrolled: 1-line block ×7, first 2 shown]
	v_mov_b32_e32 v29, v3
	s_waitcnt lgkmcnt(0)
	s_barrier
	; wave barrier
	s_barrier
	s_branch .LBB38_4
.LBB38_3:                               ;   in Loop: Header=BB38_4 Depth=2
	s_andn2_b64 vcc, exec, s[28:29]
	s_cbranch_vccz .LBB38_1
.LBB38_4:                               ;   Parent Loop BB38_2 Depth=1
                                        ; =>  This Inner Loop Header: Depth=2
	v_mov_b32_e32 v31, v35
	v_lshrrev_b32_e32 v1, v29, v31
	v_and_b32_e32 v2, 1, v1
	v_add_co_u32_e32 v4, vcc, -1, v2
	v_addc_co_u32_e64 v32, s[28:29], 0, -1, vcc
	v_cmp_ne_u32_e32 vcc, 0, v2
	v_xor_b32_e32 v4, vcc_lo, v4
	v_xor_b32_e32 v2, vcc_hi, v32
	v_and_b32_e32 v32, exec_lo, v4
	v_lshlrev_b32_e32 v4, 30, v1
	v_cmp_gt_i64_e32 vcc, 0, v[3:4]
	v_not_b32_e32 v4, v4
	v_ashrrev_i32_e32 v4, 31, v4
	v_xor_b32_e32 v33, vcc_hi, v4
	v_xor_b32_e32 v4, vcc_lo, v4
	v_and_b32_e32 v32, v32, v4
	v_lshlrev_b32_e32 v4, 29, v1
	v_cmp_gt_i64_e32 vcc, 0, v[3:4]
	v_not_b32_e32 v4, v4
	v_and_b32_e32 v2, exec_hi, v2
	v_ashrrev_i32_e32 v4, 31, v4
	v_and_b32_e32 v2, v2, v33
	v_xor_b32_e32 v33, vcc_hi, v4
	v_xor_b32_e32 v4, vcc_lo, v4
	v_and_b32_e32 v32, v32, v4
	v_lshlrev_b32_e32 v4, 28, v1
	v_cmp_gt_i64_e32 vcc, 0, v[3:4]
	v_not_b32_e32 v4, v4
	v_ashrrev_i32_e32 v4, 31, v4
	v_and_b32_e32 v2, v2, v33
	v_xor_b32_e32 v33, vcc_hi, v4
	v_xor_b32_e32 v4, vcc_lo, v4
	v_and_b32_e32 v32, v32, v4
	v_lshlrev_b32_e32 v4, 27, v1
	v_cmp_gt_i64_e32 vcc, 0, v[3:4]
	v_not_b32_e32 v4, v4
	;; [unrolled: 8-line block ×4, first 2 shown]
	v_ashrrev_i32_e32 v4, 31, v4
	v_and_b32_e32 v2, v2, v33
	v_xor_b32_e32 v33, vcc_hi, v4
	v_xor_b32_e32 v4, vcc_lo, v4
	v_and_b32_e32 v32, v32, v4
	v_lshlrev_b32_e32 v4, 24, v1
	v_mul_u32_u24_sdwa v5, v1, v22 dst_sel:DWORD dst_unused:UNUSED_PAD src0_sel:BYTE_0 src1_sel:DWORD
	v_cmp_gt_i64_e32 vcc, 0, v[3:4]
	v_not_b32_e32 v1, v4
	v_ashrrev_i32_e32 v1, 31, v1
	v_xor_b32_e32 v4, vcc_hi, v1
	v_xor_b32_e32 v1, vcc_lo, v1
	v_and_b32_e32 v2, v2, v33
	v_and_b32_e32 v1, v32, v1
	;; [unrolled: 1-line block ×3, first 2 shown]
	v_mbcnt_lo_u32_b32 v4, v1, 0
	v_mbcnt_hi_u32_b32 v32, v2, v4
	v_cmp_ne_u64_e32 vcc, 0, v[1:2]
	v_cmp_eq_u32_e64 s[28:29], 0, v32
	v_mov_b32_e32 v23, v43
	v_mov_b32_e32 v24, v42
	;; [unrolled: 1-line block ×7, first 2 shown]
	s_and_b64 s[38:39], vcc, s[28:29]
	v_add_u32_e32 v33, v19, v5
	ds_write2_b32 v15, v3, v3 offset0:5 offset1:6
	ds_write2_b32 v15, v3, v3 offset0:7 offset1:8
	s_waitcnt lgkmcnt(0)
	s_barrier
	; wave barrier
	s_and_saveexec_b64 s[28:29], s[38:39]
; %bb.5:                                ;   in Loop: Header=BB38_4 Depth=2
	v_bcnt_u32_b32 v1, v1, 0
	v_bcnt_u32_b32 v1, v2, v1
	ds_write_b32 v33, v1 offset:20
; %bb.6:                                ;   in Loop: Header=BB38_4 Depth=2
	s_or_b64 exec, exec, s[28:29]
	v_lshrrev_b32_e32 v1, v29, v30
	v_and_b32_e32 v2, 0xff, v1
	v_mul_u32_u24_e32 v5, 20, v2
	v_mad_u32_u24 v2, v2, 20, v19
	; wave barrier
	ds_read_b32 v34, v2 offset:20
	v_and_b32_e32 v2, 1, v1
	v_add_co_u32_e32 v4, vcc, -1, v2
	v_addc_co_u32_e64 v35, s[28:29], 0, -1, vcc
	v_cmp_ne_u32_e32 vcc, 0, v2
	v_xor_b32_e32 v4, vcc_lo, v4
	v_xor_b32_e32 v2, vcc_hi, v35
	v_and_b32_e32 v35, exec_lo, v4
	v_lshlrev_b32_e32 v4, 30, v1
	v_cmp_gt_i64_e32 vcc, 0, v[3:4]
	v_not_b32_e32 v4, v4
	v_ashrrev_i32_e32 v4, 31, v4
	v_xor_b32_e32 v36, vcc_hi, v4
	v_xor_b32_e32 v4, vcc_lo, v4
	v_and_b32_e32 v35, v35, v4
	v_lshlrev_b32_e32 v4, 29, v1
	v_cmp_gt_i64_e32 vcc, 0, v[3:4]
	v_not_b32_e32 v4, v4
	v_and_b32_e32 v2, exec_hi, v2
	v_ashrrev_i32_e32 v4, 31, v4
	v_and_b32_e32 v2, v2, v36
	v_xor_b32_e32 v36, vcc_hi, v4
	v_xor_b32_e32 v4, vcc_lo, v4
	v_and_b32_e32 v35, v35, v4
	v_lshlrev_b32_e32 v4, 28, v1
	v_cmp_gt_i64_e32 vcc, 0, v[3:4]
	v_not_b32_e32 v4, v4
	v_ashrrev_i32_e32 v4, 31, v4
	v_and_b32_e32 v2, v2, v36
	v_xor_b32_e32 v36, vcc_hi, v4
	v_xor_b32_e32 v4, vcc_lo, v4
	v_and_b32_e32 v35, v35, v4
	v_lshlrev_b32_e32 v4, 27, v1
	v_cmp_gt_i64_e32 vcc, 0, v[3:4]
	v_not_b32_e32 v4, v4
	;; [unrolled: 8-line block ×5, first 2 shown]
	v_ashrrev_i32_e32 v1, 31, v1
	v_xor_b32_e32 v4, vcc_hi, v1
	v_xor_b32_e32 v1, vcc_lo, v1
	v_and_b32_e32 v2, v2, v36
	v_and_b32_e32 v1, v35, v1
	;; [unrolled: 1-line block ×3, first 2 shown]
	v_mbcnt_lo_u32_b32 v4, v1, 0
	v_mbcnt_hi_u32_b32 v35, v2, v4
	v_cmp_ne_u64_e32 vcc, 0, v[1:2]
	v_cmp_eq_u32_e64 s[28:29], 0, v35
	s_and_b64 s[38:39], vcc, s[28:29]
	v_add_u32_e32 v36, v19, v5
	; wave barrier
	s_and_saveexec_b64 s[28:29], s[38:39]
	s_cbranch_execz .LBB38_8
; %bb.7:                                ;   in Loop: Header=BB38_4 Depth=2
	v_bcnt_u32_b32 v1, v1, 0
	v_bcnt_u32_b32 v1, v2, v1
	s_waitcnt lgkmcnt(0)
	v_add_u32_e32 v1, v34, v1
	ds_write_b32 v36, v1 offset:20
.LBB38_8:                               ;   in Loop: Header=BB38_4 Depth=2
	s_or_b64 exec, exec, s[28:29]
	v_lshrrev_b32_e32 v1, v29, v28
	v_and_b32_e32 v2, 0xff, v1
	v_mul_u32_u24_e32 v5, 20, v2
	v_mad_u32_u24 v2, v2, 20, v19
	; wave barrier
	ds_read_b32 v37, v2 offset:20
	v_and_b32_e32 v2, 1, v1
	v_add_co_u32_e32 v4, vcc, -1, v2
	v_addc_co_u32_e64 v38, s[28:29], 0, -1, vcc
	v_cmp_ne_u32_e32 vcc, 0, v2
	v_xor_b32_e32 v4, vcc_lo, v4
	v_xor_b32_e32 v2, vcc_hi, v38
	v_and_b32_e32 v38, exec_lo, v4
	v_lshlrev_b32_e32 v4, 30, v1
	v_cmp_gt_i64_e32 vcc, 0, v[3:4]
	v_not_b32_e32 v4, v4
	v_ashrrev_i32_e32 v4, 31, v4
	v_xor_b32_e32 v39, vcc_hi, v4
	v_xor_b32_e32 v4, vcc_lo, v4
	v_and_b32_e32 v38, v38, v4
	v_lshlrev_b32_e32 v4, 29, v1
	v_cmp_gt_i64_e32 vcc, 0, v[3:4]
	v_not_b32_e32 v4, v4
	v_and_b32_e32 v2, exec_hi, v2
	v_ashrrev_i32_e32 v4, 31, v4
	v_and_b32_e32 v2, v2, v39
	v_xor_b32_e32 v39, vcc_hi, v4
	v_xor_b32_e32 v4, vcc_lo, v4
	v_and_b32_e32 v38, v38, v4
	v_lshlrev_b32_e32 v4, 28, v1
	v_cmp_gt_i64_e32 vcc, 0, v[3:4]
	v_not_b32_e32 v4, v4
	v_ashrrev_i32_e32 v4, 31, v4
	v_and_b32_e32 v2, v2, v39
	v_xor_b32_e32 v39, vcc_hi, v4
	v_xor_b32_e32 v4, vcc_lo, v4
	v_and_b32_e32 v38, v38, v4
	v_lshlrev_b32_e32 v4, 27, v1
	v_cmp_gt_i64_e32 vcc, 0, v[3:4]
	v_not_b32_e32 v4, v4
	;; [unrolled: 8-line block ×5, first 2 shown]
	v_ashrrev_i32_e32 v1, 31, v1
	v_xor_b32_e32 v4, vcc_hi, v1
	v_xor_b32_e32 v1, vcc_lo, v1
	v_and_b32_e32 v2, v2, v39
	v_and_b32_e32 v1, v38, v1
	;; [unrolled: 1-line block ×3, first 2 shown]
	v_mbcnt_lo_u32_b32 v4, v1, 0
	v_mbcnt_hi_u32_b32 v38, v2, v4
	v_cmp_ne_u64_e32 vcc, 0, v[1:2]
	v_cmp_eq_u32_e64 s[28:29], 0, v38
	s_and_b64 s[38:39], vcc, s[28:29]
	v_add_u32_e32 v39, v19, v5
	; wave barrier
	s_and_saveexec_b64 s[28:29], s[38:39]
	s_cbranch_execz .LBB38_10
; %bb.9:                                ;   in Loop: Header=BB38_4 Depth=2
	v_bcnt_u32_b32 v1, v1, 0
	v_bcnt_u32_b32 v1, v2, v1
	s_waitcnt lgkmcnt(0)
	v_add_u32_e32 v1, v37, v1
	ds_write_b32 v39, v1 offset:20
.LBB38_10:                              ;   in Loop: Header=BB38_4 Depth=2
	s_or_b64 exec, exec, s[28:29]
	v_lshrrev_b32_e32 v1, v29, v27
	v_and_b32_e32 v2, 0xff, v1
	v_mul_u32_u24_e32 v5, 20, v2
	v_mad_u32_u24 v2, v2, 20, v19
	; wave barrier
	ds_read_b32 v40, v2 offset:20
	v_and_b32_e32 v2, 1, v1
	v_add_co_u32_e32 v4, vcc, -1, v2
	v_addc_co_u32_e64 v41, s[28:29], 0, -1, vcc
	v_cmp_ne_u32_e32 vcc, 0, v2
	v_xor_b32_e32 v4, vcc_lo, v4
	v_xor_b32_e32 v2, vcc_hi, v41
	v_and_b32_e32 v41, exec_lo, v4
	v_lshlrev_b32_e32 v4, 30, v1
	v_cmp_gt_i64_e32 vcc, 0, v[3:4]
	v_not_b32_e32 v4, v4
	v_ashrrev_i32_e32 v4, 31, v4
	v_xor_b32_e32 v42, vcc_hi, v4
	v_xor_b32_e32 v4, vcc_lo, v4
	v_and_b32_e32 v41, v41, v4
	v_lshlrev_b32_e32 v4, 29, v1
	v_cmp_gt_i64_e32 vcc, 0, v[3:4]
	v_not_b32_e32 v4, v4
	v_and_b32_e32 v2, exec_hi, v2
	v_ashrrev_i32_e32 v4, 31, v4
	v_and_b32_e32 v2, v2, v42
	v_xor_b32_e32 v42, vcc_hi, v4
	v_xor_b32_e32 v4, vcc_lo, v4
	v_and_b32_e32 v41, v41, v4
	v_lshlrev_b32_e32 v4, 28, v1
	v_cmp_gt_i64_e32 vcc, 0, v[3:4]
	v_not_b32_e32 v4, v4
	v_ashrrev_i32_e32 v4, 31, v4
	v_and_b32_e32 v2, v2, v42
	v_xor_b32_e32 v42, vcc_hi, v4
	v_xor_b32_e32 v4, vcc_lo, v4
	v_and_b32_e32 v41, v41, v4
	v_lshlrev_b32_e32 v4, 27, v1
	v_cmp_gt_i64_e32 vcc, 0, v[3:4]
	v_not_b32_e32 v4, v4
	v_ashrrev_i32_e32 v4, 31, v4
	v_and_b32_e32 v2, v2, v42
	v_xor_b32_e32 v42, vcc_hi, v4
	v_xor_b32_e32 v4, vcc_lo, v4
	v_and_b32_e32 v41, v41, v4
	v_lshlrev_b32_e32 v4, 26, v1
	v_cmp_gt_i64_e32 vcc, 0, v[3:4]
	v_not_b32_e32 v4, v4
	v_ashrrev_i32_e32 v4, 31, v4
	v_and_b32_e32 v2, v2, v42
	v_xor_b32_e32 v42, vcc_hi, v4
	v_xor_b32_e32 v4, vcc_lo, v4
	v_and_b32_e32 v41, v41, v4
	v_lshlrev_b32_e32 v4, 25, v1
	v_cmp_gt_i64_e32 vcc, 0, v[3:4]
	v_not_b32_e32 v4, v4
	v_ashrrev_i32_e32 v4, 31, v4
	v_and_b32_e32 v2, v2, v42
	v_xor_b32_e32 v42, vcc_hi, v4
	v_xor_b32_e32 v4, vcc_lo, v4
	v_and_b32_e32 v41, v41, v4
	v_lshlrev_b32_e32 v4, 24, v1
	v_cmp_gt_i64_e32 vcc, 0, v[3:4]
	v_not_b32_e32 v1, v4
	v_ashrrev_i32_e32 v1, 31, v1
	v_xor_b32_e32 v4, vcc_hi, v1
	v_xor_b32_e32 v1, vcc_lo, v1
	v_and_b32_e32 v2, v2, v42
	v_and_b32_e32 v1, v41, v1
	;; [unrolled: 1-line block ×3, first 2 shown]
	v_mbcnt_lo_u32_b32 v4, v1, 0
	v_mbcnt_hi_u32_b32 v41, v2, v4
	v_cmp_ne_u64_e32 vcc, 0, v[1:2]
	v_cmp_eq_u32_e64 s[28:29], 0, v41
	s_and_b64 s[38:39], vcc, s[28:29]
	v_add_u32_e32 v42, v19, v5
	; wave barrier
	s_and_saveexec_b64 s[28:29], s[38:39]
	s_cbranch_execz .LBB38_12
; %bb.11:                               ;   in Loop: Header=BB38_4 Depth=2
	v_bcnt_u32_b32 v1, v1, 0
	v_bcnt_u32_b32 v1, v2, v1
	s_waitcnt lgkmcnt(0)
	v_add_u32_e32 v1, v40, v1
	ds_write_b32 v42, v1 offset:20
.LBB38_12:                              ;   in Loop: Header=BB38_4 Depth=2
	s_or_b64 exec, exec, s[28:29]
	v_lshrrev_b32_e32 v1, v29, v26
	v_and_b32_e32 v2, 0xff, v1
	v_mul_u32_u24_e32 v5, 20, v2
	v_mad_u32_u24 v2, v2, 20, v19
	; wave barrier
	ds_read_b32 v43, v2 offset:20
	v_and_b32_e32 v2, 1, v1
	v_add_co_u32_e32 v4, vcc, -1, v2
	v_addc_co_u32_e64 v44, s[28:29], 0, -1, vcc
	v_cmp_ne_u32_e32 vcc, 0, v2
	v_xor_b32_e32 v4, vcc_lo, v4
	v_xor_b32_e32 v2, vcc_hi, v44
	v_and_b32_e32 v44, exec_lo, v4
	v_lshlrev_b32_e32 v4, 30, v1
	v_cmp_gt_i64_e32 vcc, 0, v[3:4]
	v_not_b32_e32 v4, v4
	v_ashrrev_i32_e32 v4, 31, v4
	v_xor_b32_e32 v45, vcc_hi, v4
	v_xor_b32_e32 v4, vcc_lo, v4
	v_and_b32_e32 v44, v44, v4
	v_lshlrev_b32_e32 v4, 29, v1
	v_cmp_gt_i64_e32 vcc, 0, v[3:4]
	v_not_b32_e32 v4, v4
	v_and_b32_e32 v2, exec_hi, v2
	v_ashrrev_i32_e32 v4, 31, v4
	v_and_b32_e32 v2, v2, v45
	v_xor_b32_e32 v45, vcc_hi, v4
	v_xor_b32_e32 v4, vcc_lo, v4
	v_and_b32_e32 v44, v44, v4
	v_lshlrev_b32_e32 v4, 28, v1
	v_cmp_gt_i64_e32 vcc, 0, v[3:4]
	v_not_b32_e32 v4, v4
	v_ashrrev_i32_e32 v4, 31, v4
	v_and_b32_e32 v2, v2, v45
	v_xor_b32_e32 v45, vcc_hi, v4
	v_xor_b32_e32 v4, vcc_lo, v4
	v_and_b32_e32 v44, v44, v4
	v_lshlrev_b32_e32 v4, 27, v1
	v_cmp_gt_i64_e32 vcc, 0, v[3:4]
	v_not_b32_e32 v4, v4
	;; [unrolled: 8-line block ×5, first 2 shown]
	v_ashrrev_i32_e32 v1, 31, v1
	v_xor_b32_e32 v4, vcc_hi, v1
	v_xor_b32_e32 v1, vcc_lo, v1
	v_and_b32_e32 v2, v2, v45
	v_and_b32_e32 v1, v44, v1
	;; [unrolled: 1-line block ×3, first 2 shown]
	v_mbcnt_lo_u32_b32 v4, v1, 0
	v_mbcnt_hi_u32_b32 v44, v2, v4
	v_cmp_ne_u64_e32 vcc, 0, v[1:2]
	v_cmp_eq_u32_e64 s[28:29], 0, v44
	s_and_b64 s[38:39], vcc, s[28:29]
	v_add_u32_e32 v45, v19, v5
	; wave barrier
	s_and_saveexec_b64 s[28:29], s[38:39]
	s_cbranch_execz .LBB38_14
; %bb.13:                               ;   in Loop: Header=BB38_4 Depth=2
	v_bcnt_u32_b32 v1, v1, 0
	v_bcnt_u32_b32 v1, v2, v1
	s_waitcnt lgkmcnt(0)
	v_add_u32_e32 v1, v43, v1
	ds_write_b32 v45, v1 offset:20
.LBB38_14:                              ;   in Loop: Header=BB38_4 Depth=2
	s_or_b64 exec, exec, s[28:29]
	v_lshrrev_b32_e32 v1, v29, v25
	v_and_b32_e32 v2, 0xff, v1
	v_mul_u32_u24_e32 v5, 20, v2
	v_mad_u32_u24 v2, v2, 20, v19
	; wave barrier
	ds_read_b32 v46, v2 offset:20
	v_and_b32_e32 v2, 1, v1
	v_add_co_u32_e32 v4, vcc, -1, v2
	v_addc_co_u32_e64 v47, s[28:29], 0, -1, vcc
	v_cmp_ne_u32_e32 vcc, 0, v2
	v_xor_b32_e32 v4, vcc_lo, v4
	v_xor_b32_e32 v2, vcc_hi, v47
	v_and_b32_e32 v47, exec_lo, v4
	v_lshlrev_b32_e32 v4, 30, v1
	v_cmp_gt_i64_e32 vcc, 0, v[3:4]
	v_not_b32_e32 v4, v4
	v_ashrrev_i32_e32 v4, 31, v4
	v_xor_b32_e32 v48, vcc_hi, v4
	v_xor_b32_e32 v4, vcc_lo, v4
	v_and_b32_e32 v47, v47, v4
	v_lshlrev_b32_e32 v4, 29, v1
	v_cmp_gt_i64_e32 vcc, 0, v[3:4]
	v_not_b32_e32 v4, v4
	v_and_b32_e32 v2, exec_hi, v2
	v_ashrrev_i32_e32 v4, 31, v4
	v_and_b32_e32 v2, v2, v48
	v_xor_b32_e32 v48, vcc_hi, v4
	v_xor_b32_e32 v4, vcc_lo, v4
	v_and_b32_e32 v47, v47, v4
	v_lshlrev_b32_e32 v4, 28, v1
	v_cmp_gt_i64_e32 vcc, 0, v[3:4]
	v_not_b32_e32 v4, v4
	v_ashrrev_i32_e32 v4, 31, v4
	v_and_b32_e32 v2, v2, v48
	v_xor_b32_e32 v48, vcc_hi, v4
	v_xor_b32_e32 v4, vcc_lo, v4
	v_and_b32_e32 v47, v47, v4
	v_lshlrev_b32_e32 v4, 27, v1
	v_cmp_gt_i64_e32 vcc, 0, v[3:4]
	v_not_b32_e32 v4, v4
	v_ashrrev_i32_e32 v4, 31, v4
	v_and_b32_e32 v2, v2, v48
	v_xor_b32_e32 v48, vcc_hi, v4
	v_xor_b32_e32 v4, vcc_lo, v4
	v_and_b32_e32 v47, v47, v4
	v_lshlrev_b32_e32 v4, 26, v1
	v_cmp_gt_i64_e32 vcc, 0, v[3:4]
	v_not_b32_e32 v4, v4
	v_ashrrev_i32_e32 v4, 31, v4
	v_and_b32_e32 v2, v2, v48
	v_xor_b32_e32 v48, vcc_hi, v4
	v_xor_b32_e32 v4, vcc_lo, v4
	v_and_b32_e32 v47, v47, v4
	v_lshlrev_b32_e32 v4, 25, v1
	v_cmp_gt_i64_e32 vcc, 0, v[3:4]
	v_not_b32_e32 v4, v4
	v_ashrrev_i32_e32 v4, 31, v4
	v_and_b32_e32 v2, v2, v48
	v_xor_b32_e32 v48, vcc_hi, v4
	v_xor_b32_e32 v4, vcc_lo, v4
	v_and_b32_e32 v47, v47, v4
	v_lshlrev_b32_e32 v4, 24, v1
	v_cmp_gt_i64_e32 vcc, 0, v[3:4]
	v_not_b32_e32 v1, v4
	v_ashrrev_i32_e32 v1, 31, v1
	v_xor_b32_e32 v4, vcc_hi, v1
	v_xor_b32_e32 v1, vcc_lo, v1
	v_and_b32_e32 v2, v2, v48
	v_and_b32_e32 v1, v47, v1
	;; [unrolled: 1-line block ×3, first 2 shown]
	v_mbcnt_lo_u32_b32 v4, v1, 0
	v_mbcnt_hi_u32_b32 v47, v2, v4
	v_cmp_ne_u64_e32 vcc, 0, v[1:2]
	v_cmp_eq_u32_e64 s[28:29], 0, v47
	s_and_b64 s[38:39], vcc, s[28:29]
	v_add_u32_e32 v48, v19, v5
	; wave barrier
	s_and_saveexec_b64 s[28:29], s[38:39]
	s_cbranch_execz .LBB38_16
; %bb.15:                               ;   in Loop: Header=BB38_4 Depth=2
	v_bcnt_u32_b32 v1, v1, 0
	v_bcnt_u32_b32 v1, v2, v1
	s_waitcnt lgkmcnt(0)
	v_add_u32_e32 v1, v46, v1
	ds_write_b32 v48, v1 offset:20
.LBB38_16:                              ;   in Loop: Header=BB38_4 Depth=2
	s_or_b64 exec, exec, s[28:29]
	v_lshrrev_b32_e32 v1, v29, v24
	v_and_b32_e32 v2, 0xff, v1
	v_mul_u32_u24_e32 v5, 20, v2
	v_mad_u32_u24 v2, v2, 20, v19
	; wave barrier
	ds_read_b32 v49, v2 offset:20
	v_and_b32_e32 v2, 1, v1
	v_add_co_u32_e32 v4, vcc, -1, v2
	v_addc_co_u32_e64 v50, s[28:29], 0, -1, vcc
	v_cmp_ne_u32_e32 vcc, 0, v2
	v_xor_b32_e32 v4, vcc_lo, v4
	v_xor_b32_e32 v2, vcc_hi, v50
	v_and_b32_e32 v50, exec_lo, v4
	v_lshlrev_b32_e32 v4, 30, v1
	v_cmp_gt_i64_e32 vcc, 0, v[3:4]
	v_not_b32_e32 v4, v4
	v_ashrrev_i32_e32 v4, 31, v4
	v_xor_b32_e32 v51, vcc_hi, v4
	v_xor_b32_e32 v4, vcc_lo, v4
	v_and_b32_e32 v50, v50, v4
	v_lshlrev_b32_e32 v4, 29, v1
	v_cmp_gt_i64_e32 vcc, 0, v[3:4]
	v_not_b32_e32 v4, v4
	v_and_b32_e32 v2, exec_hi, v2
	v_ashrrev_i32_e32 v4, 31, v4
	v_and_b32_e32 v2, v2, v51
	v_xor_b32_e32 v51, vcc_hi, v4
	v_xor_b32_e32 v4, vcc_lo, v4
	v_and_b32_e32 v50, v50, v4
	v_lshlrev_b32_e32 v4, 28, v1
	v_cmp_gt_i64_e32 vcc, 0, v[3:4]
	v_not_b32_e32 v4, v4
	v_ashrrev_i32_e32 v4, 31, v4
	v_and_b32_e32 v2, v2, v51
	v_xor_b32_e32 v51, vcc_hi, v4
	v_xor_b32_e32 v4, vcc_lo, v4
	v_and_b32_e32 v50, v50, v4
	v_lshlrev_b32_e32 v4, 27, v1
	v_cmp_gt_i64_e32 vcc, 0, v[3:4]
	v_not_b32_e32 v4, v4
	v_ashrrev_i32_e32 v4, 31, v4
	v_and_b32_e32 v2, v2, v51
	v_xor_b32_e32 v51, vcc_hi, v4
	v_xor_b32_e32 v4, vcc_lo, v4
	v_and_b32_e32 v50, v50, v4
	v_lshlrev_b32_e32 v4, 26, v1
	v_cmp_gt_i64_e32 vcc, 0, v[3:4]
	v_not_b32_e32 v4, v4
	v_ashrrev_i32_e32 v4, 31, v4
	v_and_b32_e32 v2, v2, v51
	v_xor_b32_e32 v51, vcc_hi, v4
	v_xor_b32_e32 v4, vcc_lo, v4
	v_and_b32_e32 v50, v50, v4
	v_lshlrev_b32_e32 v4, 25, v1
	v_cmp_gt_i64_e32 vcc, 0, v[3:4]
	v_not_b32_e32 v4, v4
	v_ashrrev_i32_e32 v4, 31, v4
	v_and_b32_e32 v2, v2, v51
	v_xor_b32_e32 v51, vcc_hi, v4
	v_xor_b32_e32 v4, vcc_lo, v4
	v_and_b32_e32 v50, v50, v4
	v_lshlrev_b32_e32 v4, 24, v1
	v_cmp_gt_i64_e32 vcc, 0, v[3:4]
	v_not_b32_e32 v1, v4
	v_ashrrev_i32_e32 v1, 31, v1
	v_xor_b32_e32 v4, vcc_hi, v1
	v_xor_b32_e32 v1, vcc_lo, v1
	v_and_b32_e32 v2, v2, v51
	v_and_b32_e32 v1, v50, v1
	;; [unrolled: 1-line block ×3, first 2 shown]
	v_mbcnt_lo_u32_b32 v4, v1, 0
	v_mbcnt_hi_u32_b32 v50, v2, v4
	v_cmp_ne_u64_e32 vcc, 0, v[1:2]
	v_cmp_eq_u32_e64 s[28:29], 0, v50
	s_and_b64 s[38:39], vcc, s[28:29]
	v_add_u32_e32 v51, v19, v5
	; wave barrier
	s_and_saveexec_b64 s[28:29], s[38:39]
	s_cbranch_execz .LBB38_18
; %bb.17:                               ;   in Loop: Header=BB38_4 Depth=2
	v_bcnt_u32_b32 v1, v1, 0
	v_bcnt_u32_b32 v1, v2, v1
	s_waitcnt lgkmcnt(0)
	v_add_u32_e32 v1, v49, v1
	ds_write_b32 v51, v1 offset:20
.LBB38_18:                              ;   in Loop: Header=BB38_4 Depth=2
	s_or_b64 exec, exec, s[28:29]
	v_lshrrev_b32_e32 v1, v29, v23
	v_and_b32_e32 v2, 0xff, v1
	v_mul_u32_u24_e32 v5, 20, v2
	v_mad_u32_u24 v2, v2, 20, v19
	; wave barrier
	ds_read_b32 v52, v2 offset:20
	v_and_b32_e32 v2, 1, v1
	v_add_co_u32_e32 v4, vcc, -1, v2
	v_addc_co_u32_e64 v53, s[28:29], 0, -1, vcc
	v_cmp_ne_u32_e32 vcc, 0, v2
	v_xor_b32_e32 v4, vcc_lo, v4
	v_xor_b32_e32 v2, vcc_hi, v53
	v_and_b32_e32 v53, exec_lo, v4
	v_lshlrev_b32_e32 v4, 30, v1
	v_cmp_gt_i64_e32 vcc, 0, v[3:4]
	v_not_b32_e32 v4, v4
	v_ashrrev_i32_e32 v4, 31, v4
	v_xor_b32_e32 v54, vcc_hi, v4
	v_xor_b32_e32 v4, vcc_lo, v4
	v_and_b32_e32 v53, v53, v4
	v_lshlrev_b32_e32 v4, 29, v1
	v_cmp_gt_i64_e32 vcc, 0, v[3:4]
	v_not_b32_e32 v4, v4
	v_and_b32_e32 v2, exec_hi, v2
	v_ashrrev_i32_e32 v4, 31, v4
	v_and_b32_e32 v2, v2, v54
	v_xor_b32_e32 v54, vcc_hi, v4
	v_xor_b32_e32 v4, vcc_lo, v4
	v_and_b32_e32 v53, v53, v4
	v_lshlrev_b32_e32 v4, 28, v1
	v_cmp_gt_i64_e32 vcc, 0, v[3:4]
	v_not_b32_e32 v4, v4
	v_ashrrev_i32_e32 v4, 31, v4
	v_and_b32_e32 v2, v2, v54
	v_xor_b32_e32 v54, vcc_hi, v4
	v_xor_b32_e32 v4, vcc_lo, v4
	v_and_b32_e32 v53, v53, v4
	v_lshlrev_b32_e32 v4, 27, v1
	v_cmp_gt_i64_e32 vcc, 0, v[3:4]
	v_not_b32_e32 v4, v4
	v_ashrrev_i32_e32 v4, 31, v4
	v_and_b32_e32 v2, v2, v54
	v_xor_b32_e32 v54, vcc_hi, v4
	v_xor_b32_e32 v4, vcc_lo, v4
	v_and_b32_e32 v53, v53, v4
	v_lshlrev_b32_e32 v4, 26, v1
	v_cmp_gt_i64_e32 vcc, 0, v[3:4]
	v_not_b32_e32 v4, v4
	v_ashrrev_i32_e32 v4, 31, v4
	v_and_b32_e32 v2, v2, v54
	v_xor_b32_e32 v54, vcc_hi, v4
	v_xor_b32_e32 v4, vcc_lo, v4
	v_and_b32_e32 v53, v53, v4
	v_lshlrev_b32_e32 v4, 25, v1
	v_cmp_gt_i64_e32 vcc, 0, v[3:4]
	v_not_b32_e32 v4, v4
	v_ashrrev_i32_e32 v4, 31, v4
	v_and_b32_e32 v2, v2, v54
	v_xor_b32_e32 v54, vcc_hi, v4
	v_xor_b32_e32 v4, vcc_lo, v4
	v_and_b32_e32 v53, v53, v4
	v_lshlrev_b32_e32 v4, 24, v1
	v_cmp_gt_i64_e32 vcc, 0, v[3:4]
	v_not_b32_e32 v1, v4
	v_ashrrev_i32_e32 v1, 31, v1
	v_xor_b32_e32 v4, vcc_hi, v1
	v_xor_b32_e32 v1, vcc_lo, v1
	v_and_b32_e32 v2, v2, v54
	v_and_b32_e32 v1, v53, v1
	;; [unrolled: 1-line block ×3, first 2 shown]
	v_mbcnt_lo_u32_b32 v4, v1, 0
	v_mbcnt_hi_u32_b32 v53, v2, v4
	v_cmp_ne_u64_e32 vcc, 0, v[1:2]
	v_cmp_eq_u32_e64 s[28:29], 0, v53
	s_and_b64 s[38:39], vcc, s[28:29]
	v_add_u32_e32 v54, v19, v5
	; wave barrier
	s_and_saveexec_b64 s[28:29], s[38:39]
	s_cbranch_execz .LBB38_20
; %bb.19:                               ;   in Loop: Header=BB38_4 Depth=2
	v_bcnt_u32_b32 v1, v1, 0
	v_bcnt_u32_b32 v1, v2, v1
	s_waitcnt lgkmcnt(0)
	v_add_u32_e32 v1, v52, v1
	ds_write_b32 v54, v1 offset:20
.LBB38_20:                              ;   in Loop: Header=BB38_4 Depth=2
	s_or_b64 exec, exec, s[28:29]
	; wave barrier
	s_waitcnt lgkmcnt(0)
	s_barrier
	ds_read2_b32 v[4:5], v15 offset0:5 offset1:6
	ds_read2_b32 v[1:2], v15 offset0:7 offset1:8
	s_waitcnt lgkmcnt(1)
	v_add_u32_e32 v55, v5, v4
	s_waitcnt lgkmcnt(0)
	v_add3_u32 v2, v55, v1, v2
	s_nop 1
	v_mov_b32_dpp v55, v2 row_shr:1 row_mask:0xf bank_mask:0xf
	v_cndmask_b32_e64 v55, v55, 0, s[0:1]
	v_add_u32_e32 v2, v55, v2
	s_nop 1
	v_mov_b32_dpp v55, v2 row_shr:2 row_mask:0xf bank_mask:0xf
	v_cndmask_b32_e64 v55, 0, v55, s[2:3]
	v_add_u32_e32 v2, v2, v55
	s_nop 1
	v_mov_b32_dpp v55, v2 row_shr:4 row_mask:0xf bank_mask:0xf
	v_cndmask_b32_e64 v55, 0, v55, s[4:5]
	v_add_u32_e32 v2, v2, v55
	s_nop 1
	v_mov_b32_dpp v55, v2 row_shr:8 row_mask:0xf bank_mask:0xf
	v_cndmask_b32_e64 v55, 0, v55, s[6:7]
	v_add_u32_e32 v2, v2, v55
	s_nop 1
	v_mov_b32_dpp v55, v2 row_bcast:15 row_mask:0xf bank_mask:0xf
	v_cndmask_b32_e64 v55, v55, 0, s[8:9]
	v_add_u32_e32 v2, v2, v55
	s_nop 1
	v_mov_b32_dpp v55, v2 row_bcast:31 row_mask:0xf bank_mask:0xf
	v_cndmask_b32_e64 v55, 0, v55, s[10:11]
	v_add_u32_e32 v2, v2, v55
	s_and_saveexec_b64 s[28:29], s[12:13]
; %bb.21:                               ;   in Loop: Header=BB38_4 Depth=2
	ds_write_b32 v17, v2
; %bb.22:                               ;   in Loop: Header=BB38_4 Depth=2
	s_or_b64 exec, exec, s[28:29]
	s_waitcnt lgkmcnt(0)
	s_barrier
	s_and_saveexec_b64 s[28:29], s[14:15]
	s_cbranch_execz .LBB38_24
; %bb.23:                               ;   in Loop: Header=BB38_4 Depth=2
	ds_read_b32 v55, v21
	s_waitcnt lgkmcnt(0)
	s_nop 0
	v_mov_b32_dpp v56, v55 row_shr:1 row_mask:0xf bank_mask:0xf
	v_cndmask_b32_e64 v56, v56, 0, s[22:23]
	v_add_u32_e32 v55, v56, v55
	s_nop 1
	v_mov_b32_dpp v56, v55 row_shr:2 row_mask:0xf bank_mask:0xf
	v_cndmask_b32_e64 v56, 0, v56, s[24:25]
	v_add_u32_e32 v55, v55, v56
	;; [unrolled: 4-line block ×3, first 2 shown]
	ds_write_b32 v21, v55
.LBB38_24:                              ;   in Loop: Header=BB38_4 Depth=2
	s_or_b64 exec, exec, s[28:29]
	v_mov_b32_e32 v55, 0
	s_waitcnt lgkmcnt(0)
	s_barrier
	s_and_saveexec_b64 s[28:29], s[16:17]
; %bb.25:                               ;   in Loop: Header=BB38_4 Depth=2
	ds_read_b32 v55, v18
; %bb.26:                               ;   in Loop: Header=BB38_4 Depth=2
	s_or_b64 exec, exec, s[28:29]
	s_waitcnt lgkmcnt(0)
	v_add_u32_e32 v2, v55, v2
	ds_bpermute_b32 v2, v16, v2
	v_cmp_lt_u32_e32 vcc, 23, v29
	s_and_b64 vcc, exec, vcc
	s_mov_b64 s[28:29], -1
	s_waitcnt lgkmcnt(0)
	v_cndmask_b32_e64 v2, v2, v55, s[18:19]
	v_cndmask_b32_e64 v2, v2, 0, s[20:21]
	v_add_u32_e32 v4, v2, v4
	v_add_u32_e32 v5, v4, v5
	;; [unrolled: 1-line block ×3, first 2 shown]
	ds_write2_b32 v15, v2, v4 offset0:5 offset1:6
	ds_write2_b32 v15, v5, v1 offset0:7 offset1:8
	s_waitcnt lgkmcnt(0)
	s_barrier
	ds_read_b32 v1, v33 offset:20
	ds_read_b32 v2, v36 offset:20
	;; [unrolled: 1-line block ×3, first 2 shown]
                                        ; implicit-def: $vgpr39
	s_waitcnt lgkmcnt(2)
	v_add_u32_e32 v36, v1, v32
	s_waitcnt lgkmcnt(1)
	v_add3_u32 v32, v35, v34, v2
	ds_read_b32 v1, v42 offset:20
	s_waitcnt lgkmcnt(1)
	v_add3_u32 v5, v38, v37, v4
	ds_read_b32 v2, v45 offset:20
	ds_read_b32 v4, v48 offset:20
	ds_read_b32 v35, v51 offset:20
	ds_read_b32 v37, v54 offset:20
                                        ; implicit-def: $vgpr42
                                        ; implicit-def: $vgpr38
	s_waitcnt lgkmcnt(3)
	v_add3_u32 v33, v44, v43, v2
	v_add3_u32 v34, v41, v40, v1
	s_waitcnt lgkmcnt(2)
	v_add3_u32 v4, v47, v46, v4
	s_waitcnt lgkmcnt(1)
	;; [unrolled: 2-line block ×3, first 2 shown]
	v_add3_u32 v1, v53, v52, v37
                                        ; implicit-def: $vgpr43
                                        ; implicit-def: $vgpr41
                                        ; implicit-def: $vgpr40
                                        ; implicit-def: $vgpr37
                                        ; implicit-def: $vgpr35
	s_cbranch_vccnz .LBB38_3
; %bb.27:                               ;   in Loop: Header=BB38_4 Depth=2
	v_lshrrev_b32_e32 v35, 3, v36
	v_and_b32_e32 v35, 0x1ffffffc, v35
	v_lshl_add_u32 v35, v36, 2, v35
	s_barrier
	ds_write_b32 v35, v31
	v_lshrrev_b32_e32 v35, 3, v32
	v_and_b32_e32 v35, 0x1ffffffc, v35
	v_lshl_add_u32 v35, v32, 2, v35
	ds_write_b32 v35, v30
	v_lshrrev_b32_e32 v35, 3, v5
	v_and_b32_e32 v35, 0x1ffffffc, v35
	v_lshl_add_u32 v35, v5, 2, v35
	;; [unrolled: 4-line block ×7, first 2 shown]
	ds_write_b32 v35, v23
	s_waitcnt lgkmcnt(0)
	s_barrier
	ds_read_b32 v35, v7
	ds_read_b32 v37, v8 offset:256
	ds_read_b32 v38, v9 offset:512
	;; [unrolled: 1-line block ×7, first 2 shown]
	v_add_u32_e32 v29, 8, v29
	s_mov_b64 s[28:29], 0
	s_waitcnt lgkmcnt(0)
	s_barrier
	s_branch .LBB38_3
.LBB38_28:
	s_add_u32 s0, s30, s36
	s_addc_u32 s1, s31, s37
	v_lshlrev_b32_e32 v0, 2, v0
	v_mov_b32_e32 v1, s1
	v_add_co_u32_e32 v2, vcc, s0, v0
	v_addc_co_u32_e32 v3, vcc, 0, v1, vcc
	global_store_dword v0, v25, s[0:1]
	global_store_dword v0, v26, s[0:1] offset:1280
	global_store_dword v0, v27, s[0:1] offset:2560
	;; [unrolled: 1-line block ×3, first 2 shown]
	v_add_co_u32_e32 v0, vcc, 0x1000, v2
	v_addc_co_u32_e32 v1, vcc, 0, v3, vcc
	global_store_dword v[0:1], v5, off offset:1024
	global_store_dword v[0:1], v23, off offset:2304
	;; [unrolled: 1-line block ×3, first 2 shown]
	v_add_co_u32_e32 v0, vcc, 0x2000, v2
	v_addc_co_u32_e32 v1, vcc, 0, v3, vcc
	global_store_dword v[0:1], v4, off offset:768
	s_endpgm
	.section	.rodata,"a",@progbits
	.p2align	6, 0x0
	.amdhsa_kernel _Z16sort_keys_kernelI22helper_blocked_blockediLj320ELj8ELj10EEvPKT0_PS1_
		.amdhsa_group_segment_fixed_size 10560
		.amdhsa_private_segment_fixed_size 0
		.amdhsa_kernarg_size 272
		.amdhsa_user_sgpr_count 6
		.amdhsa_user_sgpr_private_segment_buffer 1
		.amdhsa_user_sgpr_dispatch_ptr 0
		.amdhsa_user_sgpr_queue_ptr 0
		.amdhsa_user_sgpr_kernarg_segment_ptr 1
		.amdhsa_user_sgpr_dispatch_id 0
		.amdhsa_user_sgpr_flat_scratch_init 0
		.amdhsa_user_sgpr_private_segment_size 0
		.amdhsa_uses_dynamic_stack 0
		.amdhsa_system_sgpr_private_segment_wavefront_offset 0
		.amdhsa_system_sgpr_workgroup_id_x 1
		.amdhsa_system_sgpr_workgroup_id_y 0
		.amdhsa_system_sgpr_workgroup_id_z 0
		.amdhsa_system_sgpr_workgroup_info 0
		.amdhsa_system_vgpr_workitem_id 2
		.amdhsa_next_free_vgpr 57
		.amdhsa_next_free_sgpr 61
		.amdhsa_reserve_vcc 1
		.amdhsa_reserve_flat_scratch 0
		.amdhsa_float_round_mode_32 0
		.amdhsa_float_round_mode_16_64 0
		.amdhsa_float_denorm_mode_32 3
		.amdhsa_float_denorm_mode_16_64 3
		.amdhsa_dx10_clamp 1
		.amdhsa_ieee_mode 1
		.amdhsa_fp16_overflow 0
		.amdhsa_exception_fp_ieee_invalid_op 0
		.amdhsa_exception_fp_denorm_src 0
		.amdhsa_exception_fp_ieee_div_zero 0
		.amdhsa_exception_fp_ieee_overflow 0
		.amdhsa_exception_fp_ieee_underflow 0
		.amdhsa_exception_fp_ieee_inexact 0
		.amdhsa_exception_int_div_zero 0
	.end_amdhsa_kernel
	.section	.text._Z16sort_keys_kernelI22helper_blocked_blockediLj320ELj8ELj10EEvPKT0_PS1_,"axG",@progbits,_Z16sort_keys_kernelI22helper_blocked_blockediLj320ELj8ELj10EEvPKT0_PS1_,comdat
.Lfunc_end38:
	.size	_Z16sort_keys_kernelI22helper_blocked_blockediLj320ELj8ELj10EEvPKT0_PS1_, .Lfunc_end38-_Z16sort_keys_kernelI22helper_blocked_blockediLj320ELj8ELj10EEvPKT0_PS1_
                                        ; -- End function
	.set _Z16sort_keys_kernelI22helper_blocked_blockediLj320ELj8ELj10EEvPKT0_PS1_.num_vgpr, 57
	.set _Z16sort_keys_kernelI22helper_blocked_blockediLj320ELj8ELj10EEvPKT0_PS1_.num_agpr, 0
	.set _Z16sort_keys_kernelI22helper_blocked_blockediLj320ELj8ELj10EEvPKT0_PS1_.numbered_sgpr, 40
	.set _Z16sort_keys_kernelI22helper_blocked_blockediLj320ELj8ELj10EEvPKT0_PS1_.num_named_barrier, 0
	.set _Z16sort_keys_kernelI22helper_blocked_blockediLj320ELj8ELj10EEvPKT0_PS1_.private_seg_size, 0
	.set _Z16sort_keys_kernelI22helper_blocked_blockediLj320ELj8ELj10EEvPKT0_PS1_.uses_vcc, 1
	.set _Z16sort_keys_kernelI22helper_blocked_blockediLj320ELj8ELj10EEvPKT0_PS1_.uses_flat_scratch, 0
	.set _Z16sort_keys_kernelI22helper_blocked_blockediLj320ELj8ELj10EEvPKT0_PS1_.has_dyn_sized_stack, 0
	.set _Z16sort_keys_kernelI22helper_blocked_blockediLj320ELj8ELj10EEvPKT0_PS1_.has_recursion, 0
	.set _Z16sort_keys_kernelI22helper_blocked_blockediLj320ELj8ELj10EEvPKT0_PS1_.has_indirect_call, 0
	.section	.AMDGPU.csdata,"",@progbits
; Kernel info:
; codeLenInByte = 5236
; TotalNumSgprs: 44
; NumVgprs: 57
; ScratchSize: 0
; MemoryBound: 0
; FloatMode: 240
; IeeeMode: 1
; LDSByteSize: 10560 bytes/workgroup (compile time only)
; SGPRBlocks: 8
; VGPRBlocks: 14
; NumSGPRsForWavesPerEU: 65
; NumVGPRsForWavesPerEU: 57
; Occupancy: 4
; WaveLimiterHint : 1
; COMPUTE_PGM_RSRC2:SCRATCH_EN: 0
; COMPUTE_PGM_RSRC2:USER_SGPR: 6
; COMPUTE_PGM_RSRC2:TRAP_HANDLER: 0
; COMPUTE_PGM_RSRC2:TGID_X_EN: 1
; COMPUTE_PGM_RSRC2:TGID_Y_EN: 0
; COMPUTE_PGM_RSRC2:TGID_Z_EN: 0
; COMPUTE_PGM_RSRC2:TIDIG_COMP_CNT: 2
	.section	.text._Z17sort_pairs_kernelI22helper_blocked_blockediLj320ELj8ELj10EEvPKT0_PS1_,"axG",@progbits,_Z17sort_pairs_kernelI22helper_blocked_blockediLj320ELj8ELj10EEvPKT0_PS1_,comdat
	.protected	_Z17sort_pairs_kernelI22helper_blocked_blockediLj320ELj8ELj10EEvPKT0_PS1_ ; -- Begin function _Z17sort_pairs_kernelI22helper_blocked_blockediLj320ELj8ELj10EEvPKT0_PS1_
	.globl	_Z17sort_pairs_kernelI22helper_blocked_blockediLj320ELj8ELj10EEvPKT0_PS1_
	.p2align	8
	.type	_Z17sort_pairs_kernelI22helper_blocked_blockediLj320ELj8ELj10EEvPKT0_PS1_,@function
_Z17sort_pairs_kernelI22helper_blocked_blockediLj320ELj8ELj10EEvPKT0_PS1_: ; @_Z17sort_pairs_kernelI22helper_blocked_blockediLj320ELj8ELj10EEvPKT0_PS1_
; %bb.0:
	s_load_dwordx4 s[28:31], s[4:5], 0x0
	s_load_dword s7, s[4:5], 0x1c
	s_mul_i32 s36, s6, 0xa00
	s_mov_b32 s37, 0
	s_lshl_b64 s[34:35], s[36:37], 2
	s_waitcnt lgkmcnt(0)
	s_add_u32 s0, s28, s34
	s_addc_u32 s1, s29, s35
	v_lshlrev_b32_e32 v3, 2, v0
	v_mov_b32_e32 v4, s1
	v_add_co_u32_e32 v5, vcc, s0, v3
	global_load_dword v25, v3, s[0:1]
	global_load_dword v26, v3, s[0:1] offset:1280
	global_load_dword v27, v3, s[0:1] offset:2560
	;; [unrolled: 1-line block ×3, first 2 shown]
	v_addc_co_u32_e32 v6, vcc, 0, v4, vcc
	s_movk_i32 s0, 0x1000
	v_add_co_u32_e32 v3, vcc, s0, v5
	v_addc_co_u32_e32 v4, vcc, 0, v6, vcc
	s_movk_i32 s0, 0x2000
	v_add_co_u32_e32 v5, vcc, s0, v5
	global_load_dword v29, v[3:4], off offset:1024
	global_load_dword v30, v[3:4], off offset:2304
	v_addc_co_u32_e32 v6, vcc, 0, v6, vcc
	global_load_dword v31, v[3:4], off offset:3584
	global_load_dword v32, v[5:6], off offset:768
	s_lshr_b32 s4, s7, 16
	s_and_b32 s5, s7, 0xffff
	v_mad_u32_u24 v1, v2, s4, v1
	v_mbcnt_lo_u32_b32 v3, -1, 0
	v_mad_u64_u32 v[1:2], s[4:5], v1, s5, v[0:1]
	s_movk_i32 s0, 0xe00
	v_mbcnt_hi_u32_b32 v6, -1, v3
	v_lshlrev_b32_e32 v3, 3, v0
	v_and_b32_e32 v7, 0x1c0, v0
	v_add_u32_e32 v4, v6, v7
	v_and_or_b32 v3, v3, s0, v6
	v_and_b32_e32 v8, 15, v6
	v_min_u32_e32 v7, 0x100, v7
	v_and_b32_e32 v5, 0x3fc, v4
	v_lshrrev_b32_e32 v9, 3, v3
	v_or_b32_e32 v12, 0x80, v3
	v_add_u32_e32 v13, 0xc0, v3
	v_or_b32_e32 v14, 0x100, v3
	v_add_u32_e32 v15, 0x140, v3
	v_or_b32_e32 v16, 0x180, v3
	v_cmp_eq_u32_e64 s[0:1], 0, v8
	v_cmp_lt_u32_e64 s[2:3], 1, v8
	v_cmp_lt_u32_e64 s[4:5], 3, v8
	v_cmp_lt_u32_e64 s[6:7], 7, v8
	v_and_b32_e32 v8, 16, v6
	v_or_b32_e32 v7, 63, v7
	v_lshlrev_b32_e32 v18, 2, v3
	v_add_u32_e32 v11, 64, v3
	v_add_u32_e32 v3, 0x1c0, v3
	v_lshl_add_u32 v10, v4, 5, v5
	v_and_b32_e32 v4, 0x1cc, v9
	v_lshrrev_b32_e32 v9, 3, v12
	v_lshrrev_b32_e32 v12, 3, v13
	;; [unrolled: 1-line block ×5, first 2 shown]
	v_cmp_eq_u32_e64 s[8:9], 0, v8
	v_cmp_eq_u32_e64 s[12:13], v0, v7
	v_subrev_co_u32_e64 v7, s[14:15], 1, v6
	v_and_b32_e32 v8, 64, v6
	v_lshrrev_b32_e32 v1, 4, v1
	v_lshrrev_b32_e32 v5, 3, v11
	v_lshrrev_b32_e32 v3, 3, v3
	v_and_b32_e32 v16, 0x1ec, v13
	v_and_b32_e32 v17, 0x1fc, v14
	;; [unrolled: 1-line block ×3, first 2 shown]
	v_cmp_lt_i32_e32 vcc, v7, v8
	v_and_b32_e32 v21, 0xffffffc, v1
	v_and_b32_e32 v1, 0x1fc, v0
	v_add_u32_e32 v11, v4, v18
	v_and_b32_e32 v4, 0x1dc, v5
	v_and_b32_e32 v5, 0x1dc, v9
	;; [unrolled: 1-line block ×4, first 2 shown]
	v_add_u32_e32 v15, v16, v18
	v_add_u32_e32 v16, v17, v18
	;; [unrolled: 1-line block ×3, first 2 shown]
	v_cmp_lt_u32_e64 s[10:11], 31, v6
	v_cndmask_b32_e32 v19, v7, v6, vcc
	v_and_b32_e32 v6, 7, v6
	v_lshrrev_b32_e32 v20, 4, v0
	v_lshl_add_u32 v22, v0, 5, v1
	v_lshlrev_b32_e32 v23, 4, v0
	v_mul_i32_i24_e32 v1, -12, v0
	v_add_u32_e32 v12, v4, v18
	v_add_u32_e32 v13, v5, v18
	;; [unrolled: 1-line block ×4, first 2 shown]
	s_waitcnt vmcnt(7)
	v_add_u32_e32 v2, 1, v25
	s_waitcnt vmcnt(6)
	v_add_u32_e32 v3, 1, v26
	;; [unrolled: 2-line block ×4, first 2 shown]
	v_cmp_eq_u32_e64 s[16:17], 0, v6
	v_cmp_lt_u32_e64 s[18:19], 1, v6
	v_cmp_lt_u32_e64 s[20:21], 3, v6
	s_waitcnt vmcnt(3)
	v_add_u32_e32 v6, 1, v29
	s_waitcnt vmcnt(2)
	v_add_u32_e32 v7, 1, v30
	;; [unrolled: 2-line block ×4, first 2 shown]
	v_cmp_gt_u32_e64 s[22:23], 5, v0
	v_cmp_lt_u32_e64 s[24:25], 63, v0
	v_lshlrev_b32_e32 v19, 2, v19
	v_cmp_eq_u32_e64 s[26:27], 0, v0
	v_and_b32_e32 v20, 28, v20
	v_add_u32_e32 v24, v23, v1
	v_mov_b32_e32 v1, 0
	s_branch .LBB39_2
.LBB39_1:                               ;   in Loop: Header=BB39_2 Depth=1
	v_lshrrev_b32_e32 v33, 3, v42
	v_and_b32_e32 v33, 0x1ffffffc, v33
	v_lshl_add_u32 v41, v42, 2, v33
	v_lshrrev_b32_e32 v33, 3, v38
	v_and_b32_e32 v33, 0x1ffffffc, v33
	v_lshl_add_u32 v38, v38, 2, v33
	;; [unrolled: 3-line block ×5, first 2 shown]
	s_barrier
	ds_write_b32 v41, v37
	ds_write_b32 v38, v36
	;; [unrolled: 1-line block ×5, first 2 shown]
	v_lshrrev_b32_e32 v32, 3, v4
	v_and_b32_e32 v32, 0x1ffffffc, v32
	v_lshl_add_u32 v4, v4, 2, v32
	ds_write_b32 v4, v31
	v_lshrrev_b32_e32 v31, 3, v3
	v_and_b32_e32 v31, 0x1ffffffc, v31
	v_lshl_add_u32 v3, v3, 2, v31
	ds_write_b32 v3, v30
	v_lshrrev_b32_e32 v30, 3, v2
	v_and_b32_e32 v30, 0x1ffffffc, v30
	v_lshl_add_u32 v2, v2, 2, v30
	ds_write_b32 v2, v27
	s_waitcnt lgkmcnt(0)
	s_barrier
	ds_read2_b32 v[30:31], v22 offset1:1
	ds_read2_b32 v[32:33], v22 offset0:2 offset1:3
	ds_read2_b32 v[34:35], v22 offset0:4 offset1:5
	;; [unrolled: 1-line block ×3, first 2 shown]
	s_waitcnt lgkmcnt(0)
	s_barrier
	ds_write_b32 v41, v29
	ds_write_b32 v38, v28
	;; [unrolled: 1-line block ×8, first 2 shown]
	s_waitcnt lgkmcnt(0)
	s_barrier
	ds_read2_b32 v[2:3], v22 offset1:1
	ds_read2_b32 v[4:5], v22 offset0:2 offset1:3
	ds_read2_b32 v[6:7], v22 offset0:4 offset1:5
	;; [unrolled: 1-line block ×3, first 2 shown]
	s_add_i32 s37, s37, 1
	v_xor_b32_e32 v25, 0x80000000, v30
	v_xor_b32_e32 v26, 0x80000000, v31
	v_xor_b32_e32 v27, 0x80000000, v32
	v_xor_b32_e32 v28, 0x80000000, v33
	v_xor_b32_e32 v29, 0x80000000, v34
	v_xor_b32_e32 v30, 0x80000000, v35
	v_xor_b32_e32 v31, 0x80000000, v36
	s_cmp_eq_u32 s37, 10
	v_xor_b32_e32 v32, 0x80000000, v37
	s_cbranch_scc1 .LBB39_28
.LBB39_2:                               ; =>This Loop Header: Depth=1
                                        ;     Child Loop BB39_4 Depth 2
	v_xor_b32_e32 v25, 0x80000000, v25
	v_xor_b32_e32 v26, 0x80000000, v26
	;; [unrolled: 1-line block ×8, first 2 shown]
	ds_write2_b32 v10, v25, v26 offset1:1
	ds_write2_b32 v10, v27, v28 offset0:2 offset1:3
	ds_write2_b32 v10, v29, v30 offset0:4 offset1:5
	;; [unrolled: 1-line block ×3, first 2 shown]
	; wave barrier
	ds_read_b32 v41, v11
	ds_read_b32 v43, v12 offset:256
	ds_read_b32 v44, v13 offset:512
	;; [unrolled: 1-line block ×7, first 2 shown]
	; wave barrier
	s_waitcnt lgkmcnt(14)
	ds_write2_b32 v10, v2, v3 offset1:1
	ds_write2_b32 v10, v4, v5 offset0:2 offset1:3
	s_waitcnt lgkmcnt(14)
	ds_write2_b32 v10, v6, v7 offset0:4 offset1:5
	ds_write2_b32 v10, v8, v9 offset0:6 offset1:7
	; wave barrier
	ds_read_b32 v50, v11
	ds_read_b32 v51, v12 offset:256
	ds_read_b32 v52, v13 offset:512
	;; [unrolled: 1-line block ×7, first 2 shown]
	v_mov_b32_e32 v33, v1
	s_waitcnt lgkmcnt(0)
	s_barrier
	s_branch .LBB39_4
.LBB39_3:                               ;   in Loop: Header=BB39_4 Depth=2
	s_andn2_b64 vcc, exec, s[28:29]
	s_cbranch_vccz .LBB39_1
.LBB39_4:                               ;   Parent Loop BB39_2 Depth=1
                                        ; =>  This Inner Loop Header: Depth=2
	v_mov_b32_e32 v37, v41
	v_lshrrev_b32_e32 v3, v33, v37
	v_mov_b32_e32 v2, 20
	v_mul_u32_u24_sdwa v4, v3, v2 dst_sel:DWORD dst_unused:UNUSED_PAD src0_sel:BYTE_0 src1_sel:DWORD
	v_and_b32_e32 v2, 1, v3
	v_add_co_u32_e32 v5, vcc, -1, v2
	v_addc_co_u32_e64 v38, s[28:29], 0, -1, vcc
	v_cmp_ne_u32_e32 vcc, 0, v2
	v_xor_b32_e32 v2, vcc_hi, v38
	v_and_b32_e32 v38, exec_hi, v2
	v_lshlrev_b32_e32 v2, 30, v3
	v_xor_b32_e32 v5, vcc_lo, v5
	v_cmp_gt_i64_e32 vcc, 0, v[1:2]
	v_not_b32_e32 v2, v2
	v_ashrrev_i32_e32 v2, 31, v2
	v_and_b32_e32 v5, exec_lo, v5
	v_xor_b32_e32 v39, vcc_hi, v2
	v_xor_b32_e32 v2, vcc_lo, v2
	v_and_b32_e32 v5, v5, v2
	v_lshlrev_b32_e32 v2, 29, v3
	v_cmp_gt_i64_e32 vcc, 0, v[1:2]
	v_not_b32_e32 v2, v2
	v_ashrrev_i32_e32 v2, 31, v2
	v_and_b32_e32 v38, v38, v39
	v_xor_b32_e32 v39, vcc_hi, v2
	v_xor_b32_e32 v2, vcc_lo, v2
	v_and_b32_e32 v5, v5, v2
	v_lshlrev_b32_e32 v2, 28, v3
	v_cmp_gt_i64_e32 vcc, 0, v[1:2]
	v_not_b32_e32 v2, v2
	v_ashrrev_i32_e32 v2, 31, v2
	v_and_b32_e32 v38, v38, v39
	;; [unrolled: 8-line block ×5, first 2 shown]
	v_xor_b32_e32 v39, vcc_hi, v2
	v_xor_b32_e32 v2, vcc_lo, v2
	v_and_b32_e32 v5, v5, v2
	v_lshlrev_b32_e32 v2, 24, v3
	v_cmp_gt_i64_e32 vcc, 0, v[1:2]
	v_not_b32_e32 v2, v2
	v_ashrrev_i32_e32 v2, 31, v2
	v_xor_b32_e32 v3, vcc_hi, v2
	v_xor_b32_e32 v2, vcc_lo, v2
	v_and_b32_e32 v38, v38, v39
	v_and_b32_e32 v2, v5, v2
	;; [unrolled: 1-line block ×3, first 2 shown]
	v_mbcnt_lo_u32_b32 v5, v2, 0
	v_mbcnt_hi_u32_b32 v38, v3, v5
	v_cmp_ne_u64_e32 vcc, 0, v[2:3]
	v_cmp_eq_u32_e64 s[28:29], 0, v38
	v_mov_b32_e32 v27, v49
	v_mov_b32_e32 v30, v48
	;; [unrolled: 1-line block ×15, first 2 shown]
	s_and_b64 s[38:39], vcc, s[28:29]
	v_add_u32_e32 v39, v21, v4
	ds_write2_b32 v23, v1, v1 offset0:5 offset1:6
	ds_write2_b32 v23, v1, v1 offset0:7 offset1:8
	s_waitcnt lgkmcnt(0)
	s_barrier
	; wave barrier
	s_and_saveexec_b64 s[28:29], s[38:39]
; %bb.5:                                ;   in Loop: Header=BB39_4 Depth=2
	v_bcnt_u32_b32 v2, v2, 0
	v_bcnt_u32_b32 v2, v3, v2
	ds_write_b32 v39, v2 offset:20
; %bb.6:                                ;   in Loop: Header=BB39_4 Depth=2
	s_or_b64 exec, exec, s[28:29]
	v_lshrrev_b32_e32 v3, v33, v36
	v_and_b32_e32 v2, 0xff, v3
	v_mul_u32_u24_e32 v4, 20, v2
	v_mad_u32_u24 v2, v2, 20, v21
	; wave barrier
	ds_read_b32 v40, v2 offset:20
	v_and_b32_e32 v2, 1, v3
	v_add_co_u32_e32 v5, vcc, -1, v2
	v_addc_co_u32_e64 v41, s[28:29], 0, -1, vcc
	v_cmp_ne_u32_e32 vcc, 0, v2
	v_xor_b32_e32 v2, vcc_hi, v41
	v_and_b32_e32 v41, exec_hi, v2
	v_lshlrev_b32_e32 v2, 30, v3
	v_xor_b32_e32 v5, vcc_lo, v5
	v_cmp_gt_i64_e32 vcc, 0, v[1:2]
	v_not_b32_e32 v2, v2
	v_ashrrev_i32_e32 v2, 31, v2
	v_and_b32_e32 v5, exec_lo, v5
	v_xor_b32_e32 v42, vcc_hi, v2
	v_xor_b32_e32 v2, vcc_lo, v2
	v_and_b32_e32 v5, v5, v2
	v_lshlrev_b32_e32 v2, 29, v3
	v_cmp_gt_i64_e32 vcc, 0, v[1:2]
	v_not_b32_e32 v2, v2
	v_ashrrev_i32_e32 v2, 31, v2
	v_and_b32_e32 v41, v41, v42
	v_xor_b32_e32 v42, vcc_hi, v2
	v_xor_b32_e32 v2, vcc_lo, v2
	v_and_b32_e32 v5, v5, v2
	v_lshlrev_b32_e32 v2, 28, v3
	v_cmp_gt_i64_e32 vcc, 0, v[1:2]
	v_not_b32_e32 v2, v2
	v_ashrrev_i32_e32 v2, 31, v2
	v_and_b32_e32 v41, v41, v42
	;; [unrolled: 8-line block ×5, first 2 shown]
	v_xor_b32_e32 v42, vcc_hi, v2
	v_xor_b32_e32 v2, vcc_lo, v2
	v_and_b32_e32 v5, v5, v2
	v_lshlrev_b32_e32 v2, 24, v3
	v_cmp_gt_i64_e32 vcc, 0, v[1:2]
	v_not_b32_e32 v2, v2
	v_ashrrev_i32_e32 v2, 31, v2
	v_xor_b32_e32 v3, vcc_hi, v2
	v_xor_b32_e32 v2, vcc_lo, v2
	v_and_b32_e32 v41, v41, v42
	v_and_b32_e32 v2, v5, v2
	;; [unrolled: 1-line block ×3, first 2 shown]
	v_mbcnt_lo_u32_b32 v5, v2, 0
	v_mbcnt_hi_u32_b32 v41, v3, v5
	v_cmp_ne_u64_e32 vcc, 0, v[2:3]
	v_cmp_eq_u32_e64 s[28:29], 0, v41
	s_and_b64 s[38:39], vcc, s[28:29]
	v_add_u32_e32 v42, v21, v4
	; wave barrier
	s_and_saveexec_b64 s[28:29], s[38:39]
	s_cbranch_execz .LBB39_8
; %bb.7:                                ;   in Loop: Header=BB39_4 Depth=2
	v_bcnt_u32_b32 v2, v2, 0
	v_bcnt_u32_b32 v2, v3, v2
	s_waitcnt lgkmcnt(0)
	v_add_u32_e32 v2, v40, v2
	ds_write_b32 v42, v2 offset:20
.LBB39_8:                               ;   in Loop: Header=BB39_4 Depth=2
	s_or_b64 exec, exec, s[28:29]
	v_lshrrev_b32_e32 v3, v33, v35
	v_and_b32_e32 v2, 0xff, v3
	v_mul_u32_u24_e32 v4, 20, v2
	v_mad_u32_u24 v2, v2, 20, v21
	; wave barrier
	ds_read_b32 v43, v2 offset:20
	v_and_b32_e32 v2, 1, v3
	v_add_co_u32_e32 v5, vcc, -1, v2
	v_addc_co_u32_e64 v44, s[28:29], 0, -1, vcc
	v_cmp_ne_u32_e32 vcc, 0, v2
	v_xor_b32_e32 v2, vcc_hi, v44
	v_and_b32_e32 v44, exec_hi, v2
	v_lshlrev_b32_e32 v2, 30, v3
	v_xor_b32_e32 v5, vcc_lo, v5
	v_cmp_gt_i64_e32 vcc, 0, v[1:2]
	v_not_b32_e32 v2, v2
	v_ashrrev_i32_e32 v2, 31, v2
	v_and_b32_e32 v5, exec_lo, v5
	v_xor_b32_e32 v45, vcc_hi, v2
	v_xor_b32_e32 v2, vcc_lo, v2
	v_and_b32_e32 v5, v5, v2
	v_lshlrev_b32_e32 v2, 29, v3
	v_cmp_gt_i64_e32 vcc, 0, v[1:2]
	v_not_b32_e32 v2, v2
	v_ashrrev_i32_e32 v2, 31, v2
	v_and_b32_e32 v44, v44, v45
	v_xor_b32_e32 v45, vcc_hi, v2
	v_xor_b32_e32 v2, vcc_lo, v2
	v_and_b32_e32 v5, v5, v2
	v_lshlrev_b32_e32 v2, 28, v3
	v_cmp_gt_i64_e32 vcc, 0, v[1:2]
	v_not_b32_e32 v2, v2
	v_ashrrev_i32_e32 v2, 31, v2
	v_and_b32_e32 v44, v44, v45
	;; [unrolled: 8-line block ×5, first 2 shown]
	v_xor_b32_e32 v45, vcc_hi, v2
	v_xor_b32_e32 v2, vcc_lo, v2
	v_and_b32_e32 v5, v5, v2
	v_lshlrev_b32_e32 v2, 24, v3
	v_cmp_gt_i64_e32 vcc, 0, v[1:2]
	v_not_b32_e32 v2, v2
	v_ashrrev_i32_e32 v2, 31, v2
	v_xor_b32_e32 v3, vcc_hi, v2
	v_xor_b32_e32 v2, vcc_lo, v2
	v_and_b32_e32 v44, v44, v45
	v_and_b32_e32 v2, v5, v2
	;; [unrolled: 1-line block ×3, first 2 shown]
	v_mbcnt_lo_u32_b32 v5, v2, 0
	v_mbcnt_hi_u32_b32 v44, v3, v5
	v_cmp_ne_u64_e32 vcc, 0, v[2:3]
	v_cmp_eq_u32_e64 s[28:29], 0, v44
	s_and_b64 s[38:39], vcc, s[28:29]
	v_add_u32_e32 v45, v21, v4
	; wave barrier
	s_and_saveexec_b64 s[28:29], s[38:39]
	s_cbranch_execz .LBB39_10
; %bb.9:                                ;   in Loop: Header=BB39_4 Depth=2
	v_bcnt_u32_b32 v2, v2, 0
	v_bcnt_u32_b32 v2, v3, v2
	s_waitcnt lgkmcnt(0)
	v_add_u32_e32 v2, v43, v2
	ds_write_b32 v45, v2 offset:20
.LBB39_10:                              ;   in Loop: Header=BB39_4 Depth=2
	s_or_b64 exec, exec, s[28:29]
	v_lshrrev_b32_e32 v3, v33, v34
	v_and_b32_e32 v2, 0xff, v3
	v_mul_u32_u24_e32 v4, 20, v2
	v_mad_u32_u24 v2, v2, 20, v21
	; wave barrier
	ds_read_b32 v46, v2 offset:20
	v_and_b32_e32 v2, 1, v3
	v_add_co_u32_e32 v5, vcc, -1, v2
	v_addc_co_u32_e64 v47, s[28:29], 0, -1, vcc
	v_cmp_ne_u32_e32 vcc, 0, v2
	v_xor_b32_e32 v2, vcc_hi, v47
	v_and_b32_e32 v47, exec_hi, v2
	v_lshlrev_b32_e32 v2, 30, v3
	v_xor_b32_e32 v5, vcc_lo, v5
	v_cmp_gt_i64_e32 vcc, 0, v[1:2]
	v_not_b32_e32 v2, v2
	v_ashrrev_i32_e32 v2, 31, v2
	v_and_b32_e32 v5, exec_lo, v5
	v_xor_b32_e32 v48, vcc_hi, v2
	v_xor_b32_e32 v2, vcc_lo, v2
	v_and_b32_e32 v5, v5, v2
	v_lshlrev_b32_e32 v2, 29, v3
	v_cmp_gt_i64_e32 vcc, 0, v[1:2]
	v_not_b32_e32 v2, v2
	v_ashrrev_i32_e32 v2, 31, v2
	v_and_b32_e32 v47, v47, v48
	v_xor_b32_e32 v48, vcc_hi, v2
	v_xor_b32_e32 v2, vcc_lo, v2
	v_and_b32_e32 v5, v5, v2
	v_lshlrev_b32_e32 v2, 28, v3
	v_cmp_gt_i64_e32 vcc, 0, v[1:2]
	v_not_b32_e32 v2, v2
	v_ashrrev_i32_e32 v2, 31, v2
	v_and_b32_e32 v47, v47, v48
	;; [unrolled: 8-line block ×5, first 2 shown]
	v_xor_b32_e32 v48, vcc_hi, v2
	v_xor_b32_e32 v2, vcc_lo, v2
	v_and_b32_e32 v5, v5, v2
	v_lshlrev_b32_e32 v2, 24, v3
	v_cmp_gt_i64_e32 vcc, 0, v[1:2]
	v_not_b32_e32 v2, v2
	v_ashrrev_i32_e32 v2, 31, v2
	v_xor_b32_e32 v3, vcc_hi, v2
	v_xor_b32_e32 v2, vcc_lo, v2
	v_and_b32_e32 v47, v47, v48
	v_and_b32_e32 v2, v5, v2
	;; [unrolled: 1-line block ×3, first 2 shown]
	v_mbcnt_lo_u32_b32 v5, v2, 0
	v_mbcnt_hi_u32_b32 v47, v3, v5
	v_cmp_ne_u64_e32 vcc, 0, v[2:3]
	v_cmp_eq_u32_e64 s[28:29], 0, v47
	s_and_b64 s[38:39], vcc, s[28:29]
	v_add_u32_e32 v48, v21, v4
	; wave barrier
	s_and_saveexec_b64 s[28:29], s[38:39]
	s_cbranch_execz .LBB39_12
; %bb.11:                               ;   in Loop: Header=BB39_4 Depth=2
	v_bcnt_u32_b32 v2, v2, 0
	v_bcnt_u32_b32 v2, v3, v2
	s_waitcnt lgkmcnt(0)
	v_add_u32_e32 v2, v46, v2
	ds_write_b32 v48, v2 offset:20
.LBB39_12:                              ;   in Loop: Header=BB39_4 Depth=2
	s_or_b64 exec, exec, s[28:29]
	v_lshrrev_b32_e32 v3, v33, v32
	v_and_b32_e32 v2, 0xff, v3
	v_mul_u32_u24_e32 v4, 20, v2
	v_mad_u32_u24 v2, v2, 20, v21
	; wave barrier
	ds_read_b32 v49, v2 offset:20
	v_and_b32_e32 v2, 1, v3
	v_add_co_u32_e32 v5, vcc, -1, v2
	v_addc_co_u32_e64 v50, s[28:29], 0, -1, vcc
	v_cmp_ne_u32_e32 vcc, 0, v2
	v_xor_b32_e32 v2, vcc_hi, v50
	v_and_b32_e32 v50, exec_hi, v2
	v_lshlrev_b32_e32 v2, 30, v3
	v_xor_b32_e32 v5, vcc_lo, v5
	v_cmp_gt_i64_e32 vcc, 0, v[1:2]
	v_not_b32_e32 v2, v2
	v_ashrrev_i32_e32 v2, 31, v2
	v_and_b32_e32 v5, exec_lo, v5
	v_xor_b32_e32 v51, vcc_hi, v2
	v_xor_b32_e32 v2, vcc_lo, v2
	v_and_b32_e32 v5, v5, v2
	v_lshlrev_b32_e32 v2, 29, v3
	v_cmp_gt_i64_e32 vcc, 0, v[1:2]
	v_not_b32_e32 v2, v2
	v_ashrrev_i32_e32 v2, 31, v2
	v_and_b32_e32 v50, v50, v51
	v_xor_b32_e32 v51, vcc_hi, v2
	v_xor_b32_e32 v2, vcc_lo, v2
	v_and_b32_e32 v5, v5, v2
	v_lshlrev_b32_e32 v2, 28, v3
	v_cmp_gt_i64_e32 vcc, 0, v[1:2]
	v_not_b32_e32 v2, v2
	v_ashrrev_i32_e32 v2, 31, v2
	v_and_b32_e32 v50, v50, v51
	;; [unrolled: 8-line block ×5, first 2 shown]
	v_xor_b32_e32 v51, vcc_hi, v2
	v_xor_b32_e32 v2, vcc_lo, v2
	v_and_b32_e32 v5, v5, v2
	v_lshlrev_b32_e32 v2, 24, v3
	v_cmp_gt_i64_e32 vcc, 0, v[1:2]
	v_not_b32_e32 v2, v2
	v_ashrrev_i32_e32 v2, 31, v2
	v_xor_b32_e32 v3, vcc_hi, v2
	v_xor_b32_e32 v2, vcc_lo, v2
	v_and_b32_e32 v50, v50, v51
	v_and_b32_e32 v2, v5, v2
	;; [unrolled: 1-line block ×3, first 2 shown]
	v_mbcnt_lo_u32_b32 v5, v2, 0
	v_mbcnt_hi_u32_b32 v50, v3, v5
	v_cmp_ne_u64_e32 vcc, 0, v[2:3]
	v_cmp_eq_u32_e64 s[28:29], 0, v50
	s_and_b64 s[38:39], vcc, s[28:29]
	v_add_u32_e32 v51, v21, v4
	; wave barrier
	s_and_saveexec_b64 s[28:29], s[38:39]
	s_cbranch_execz .LBB39_14
; %bb.13:                               ;   in Loop: Header=BB39_4 Depth=2
	v_bcnt_u32_b32 v2, v2, 0
	v_bcnt_u32_b32 v2, v3, v2
	s_waitcnt lgkmcnt(0)
	v_add_u32_e32 v2, v49, v2
	ds_write_b32 v51, v2 offset:20
.LBB39_14:                              ;   in Loop: Header=BB39_4 Depth=2
	s_or_b64 exec, exec, s[28:29]
	v_lshrrev_b32_e32 v3, v33, v31
	v_and_b32_e32 v2, 0xff, v3
	v_mul_u32_u24_e32 v4, 20, v2
	v_mad_u32_u24 v2, v2, 20, v21
	; wave barrier
	ds_read_b32 v52, v2 offset:20
	v_and_b32_e32 v2, 1, v3
	v_add_co_u32_e32 v5, vcc, -1, v2
	v_addc_co_u32_e64 v53, s[28:29], 0, -1, vcc
	v_cmp_ne_u32_e32 vcc, 0, v2
	v_xor_b32_e32 v2, vcc_hi, v53
	v_and_b32_e32 v53, exec_hi, v2
	v_lshlrev_b32_e32 v2, 30, v3
	v_xor_b32_e32 v5, vcc_lo, v5
	v_cmp_gt_i64_e32 vcc, 0, v[1:2]
	v_not_b32_e32 v2, v2
	v_ashrrev_i32_e32 v2, 31, v2
	v_and_b32_e32 v5, exec_lo, v5
	v_xor_b32_e32 v54, vcc_hi, v2
	v_xor_b32_e32 v2, vcc_lo, v2
	v_and_b32_e32 v5, v5, v2
	v_lshlrev_b32_e32 v2, 29, v3
	v_cmp_gt_i64_e32 vcc, 0, v[1:2]
	v_not_b32_e32 v2, v2
	v_ashrrev_i32_e32 v2, 31, v2
	v_and_b32_e32 v53, v53, v54
	v_xor_b32_e32 v54, vcc_hi, v2
	v_xor_b32_e32 v2, vcc_lo, v2
	v_and_b32_e32 v5, v5, v2
	v_lshlrev_b32_e32 v2, 28, v3
	v_cmp_gt_i64_e32 vcc, 0, v[1:2]
	v_not_b32_e32 v2, v2
	v_ashrrev_i32_e32 v2, 31, v2
	v_and_b32_e32 v53, v53, v54
	;; [unrolled: 8-line block ×5, first 2 shown]
	v_xor_b32_e32 v54, vcc_hi, v2
	v_xor_b32_e32 v2, vcc_lo, v2
	v_and_b32_e32 v5, v5, v2
	v_lshlrev_b32_e32 v2, 24, v3
	v_cmp_gt_i64_e32 vcc, 0, v[1:2]
	v_not_b32_e32 v2, v2
	v_ashrrev_i32_e32 v2, 31, v2
	v_xor_b32_e32 v3, vcc_hi, v2
	v_xor_b32_e32 v2, vcc_lo, v2
	v_and_b32_e32 v53, v53, v54
	v_and_b32_e32 v2, v5, v2
	;; [unrolled: 1-line block ×3, first 2 shown]
	v_mbcnt_lo_u32_b32 v5, v2, 0
	v_mbcnt_hi_u32_b32 v53, v3, v5
	v_cmp_ne_u64_e32 vcc, 0, v[2:3]
	v_cmp_eq_u32_e64 s[28:29], 0, v53
	s_and_b64 s[38:39], vcc, s[28:29]
	v_add_u32_e32 v54, v21, v4
	; wave barrier
	s_and_saveexec_b64 s[28:29], s[38:39]
	s_cbranch_execz .LBB39_16
; %bb.15:                               ;   in Loop: Header=BB39_4 Depth=2
	v_bcnt_u32_b32 v2, v2, 0
	v_bcnt_u32_b32 v2, v3, v2
	s_waitcnt lgkmcnt(0)
	v_add_u32_e32 v2, v52, v2
	ds_write_b32 v54, v2 offset:20
.LBB39_16:                              ;   in Loop: Header=BB39_4 Depth=2
	s_or_b64 exec, exec, s[28:29]
	v_lshrrev_b32_e32 v3, v33, v30
	v_and_b32_e32 v2, 0xff, v3
	v_mul_u32_u24_e32 v4, 20, v2
	v_mad_u32_u24 v2, v2, 20, v21
	; wave barrier
	ds_read_b32 v55, v2 offset:20
	v_and_b32_e32 v2, 1, v3
	v_add_co_u32_e32 v5, vcc, -1, v2
	v_addc_co_u32_e64 v56, s[28:29], 0, -1, vcc
	v_cmp_ne_u32_e32 vcc, 0, v2
	v_xor_b32_e32 v2, vcc_hi, v56
	v_and_b32_e32 v56, exec_hi, v2
	v_lshlrev_b32_e32 v2, 30, v3
	v_xor_b32_e32 v5, vcc_lo, v5
	v_cmp_gt_i64_e32 vcc, 0, v[1:2]
	v_not_b32_e32 v2, v2
	v_ashrrev_i32_e32 v2, 31, v2
	v_and_b32_e32 v5, exec_lo, v5
	v_xor_b32_e32 v57, vcc_hi, v2
	v_xor_b32_e32 v2, vcc_lo, v2
	v_and_b32_e32 v5, v5, v2
	v_lshlrev_b32_e32 v2, 29, v3
	v_cmp_gt_i64_e32 vcc, 0, v[1:2]
	v_not_b32_e32 v2, v2
	v_ashrrev_i32_e32 v2, 31, v2
	v_and_b32_e32 v56, v56, v57
	v_xor_b32_e32 v57, vcc_hi, v2
	v_xor_b32_e32 v2, vcc_lo, v2
	v_and_b32_e32 v5, v5, v2
	v_lshlrev_b32_e32 v2, 28, v3
	v_cmp_gt_i64_e32 vcc, 0, v[1:2]
	v_not_b32_e32 v2, v2
	v_ashrrev_i32_e32 v2, 31, v2
	v_and_b32_e32 v56, v56, v57
	;; [unrolled: 8-line block ×5, first 2 shown]
	v_xor_b32_e32 v57, vcc_hi, v2
	v_xor_b32_e32 v2, vcc_lo, v2
	v_and_b32_e32 v5, v5, v2
	v_lshlrev_b32_e32 v2, 24, v3
	v_cmp_gt_i64_e32 vcc, 0, v[1:2]
	v_not_b32_e32 v2, v2
	v_ashrrev_i32_e32 v2, 31, v2
	v_xor_b32_e32 v3, vcc_hi, v2
	v_xor_b32_e32 v2, vcc_lo, v2
	v_and_b32_e32 v56, v56, v57
	v_and_b32_e32 v2, v5, v2
	;; [unrolled: 1-line block ×3, first 2 shown]
	v_mbcnt_lo_u32_b32 v5, v2, 0
	v_mbcnt_hi_u32_b32 v56, v3, v5
	v_cmp_ne_u64_e32 vcc, 0, v[2:3]
	v_cmp_eq_u32_e64 s[28:29], 0, v56
	s_and_b64 s[38:39], vcc, s[28:29]
	v_add_u32_e32 v57, v21, v4
	; wave barrier
	s_and_saveexec_b64 s[28:29], s[38:39]
	s_cbranch_execz .LBB39_18
; %bb.17:                               ;   in Loop: Header=BB39_4 Depth=2
	v_bcnt_u32_b32 v2, v2, 0
	v_bcnt_u32_b32 v2, v3, v2
	s_waitcnt lgkmcnt(0)
	v_add_u32_e32 v2, v55, v2
	ds_write_b32 v57, v2 offset:20
.LBB39_18:                              ;   in Loop: Header=BB39_4 Depth=2
	s_or_b64 exec, exec, s[28:29]
	v_lshrrev_b32_e32 v3, v33, v27
	v_and_b32_e32 v2, 0xff, v3
	v_mul_u32_u24_e32 v4, 20, v2
	v_mad_u32_u24 v2, v2, 20, v21
	; wave barrier
	ds_read_b32 v58, v2 offset:20
	v_and_b32_e32 v2, 1, v3
	v_add_co_u32_e32 v5, vcc, -1, v2
	v_addc_co_u32_e64 v59, s[28:29], 0, -1, vcc
	v_cmp_ne_u32_e32 vcc, 0, v2
	v_xor_b32_e32 v2, vcc_hi, v59
	v_and_b32_e32 v59, exec_hi, v2
	v_lshlrev_b32_e32 v2, 30, v3
	v_xor_b32_e32 v5, vcc_lo, v5
	v_cmp_gt_i64_e32 vcc, 0, v[1:2]
	v_not_b32_e32 v2, v2
	v_ashrrev_i32_e32 v2, 31, v2
	v_and_b32_e32 v5, exec_lo, v5
	v_xor_b32_e32 v60, vcc_hi, v2
	v_xor_b32_e32 v2, vcc_lo, v2
	v_and_b32_e32 v5, v5, v2
	v_lshlrev_b32_e32 v2, 29, v3
	v_cmp_gt_i64_e32 vcc, 0, v[1:2]
	v_not_b32_e32 v2, v2
	v_ashrrev_i32_e32 v2, 31, v2
	v_and_b32_e32 v59, v59, v60
	v_xor_b32_e32 v60, vcc_hi, v2
	v_xor_b32_e32 v2, vcc_lo, v2
	v_and_b32_e32 v5, v5, v2
	v_lshlrev_b32_e32 v2, 28, v3
	v_cmp_gt_i64_e32 vcc, 0, v[1:2]
	v_not_b32_e32 v2, v2
	v_ashrrev_i32_e32 v2, 31, v2
	v_and_b32_e32 v59, v59, v60
	;; [unrolled: 8-line block ×5, first 2 shown]
	v_xor_b32_e32 v60, vcc_hi, v2
	v_xor_b32_e32 v2, vcc_lo, v2
	v_and_b32_e32 v5, v5, v2
	v_lshlrev_b32_e32 v2, 24, v3
	v_cmp_gt_i64_e32 vcc, 0, v[1:2]
	v_not_b32_e32 v2, v2
	v_ashrrev_i32_e32 v2, 31, v2
	v_xor_b32_e32 v3, vcc_hi, v2
	v_xor_b32_e32 v2, vcc_lo, v2
	v_and_b32_e32 v59, v59, v60
	v_and_b32_e32 v2, v5, v2
	;; [unrolled: 1-line block ×3, first 2 shown]
	v_mbcnt_lo_u32_b32 v5, v2, 0
	v_mbcnt_hi_u32_b32 v59, v3, v5
	v_cmp_ne_u64_e32 vcc, 0, v[2:3]
	v_cmp_eq_u32_e64 s[28:29], 0, v59
	s_and_b64 s[38:39], vcc, s[28:29]
	v_add_u32_e32 v60, v21, v4
	; wave barrier
	s_and_saveexec_b64 s[28:29], s[38:39]
	s_cbranch_execz .LBB39_20
; %bb.19:                               ;   in Loop: Header=BB39_4 Depth=2
	v_bcnt_u32_b32 v2, v2, 0
	v_bcnt_u32_b32 v2, v3, v2
	s_waitcnt lgkmcnt(0)
	v_add_u32_e32 v2, v58, v2
	ds_write_b32 v60, v2 offset:20
.LBB39_20:                              ;   in Loop: Header=BB39_4 Depth=2
	s_or_b64 exec, exec, s[28:29]
	; wave barrier
	s_waitcnt lgkmcnt(0)
	s_barrier
	ds_read2_b32 v[4:5], v23 offset0:5 offset1:6
	ds_read2_b32 v[2:3], v23 offset0:7 offset1:8
	s_waitcnt lgkmcnt(1)
	v_add_u32_e32 v61, v5, v4
	s_waitcnt lgkmcnt(0)
	v_add3_u32 v3, v61, v2, v3
	s_nop 1
	v_mov_b32_dpp v61, v3 row_shr:1 row_mask:0xf bank_mask:0xf
	v_cndmask_b32_e64 v61, v61, 0, s[0:1]
	v_add_u32_e32 v3, v61, v3
	s_nop 1
	v_mov_b32_dpp v61, v3 row_shr:2 row_mask:0xf bank_mask:0xf
	v_cndmask_b32_e64 v61, 0, v61, s[2:3]
	v_add_u32_e32 v3, v3, v61
	;; [unrolled: 4-line block ×4, first 2 shown]
	s_nop 1
	v_mov_b32_dpp v61, v3 row_bcast:15 row_mask:0xf bank_mask:0xf
	v_cndmask_b32_e64 v61, v61, 0, s[8:9]
	v_add_u32_e32 v3, v3, v61
	s_nop 1
	v_mov_b32_dpp v61, v3 row_bcast:31 row_mask:0xf bank_mask:0xf
	v_cndmask_b32_e64 v61, 0, v61, s[10:11]
	v_add_u32_e32 v3, v3, v61
	s_and_saveexec_b64 s[28:29], s[12:13]
; %bb.21:                               ;   in Loop: Header=BB39_4 Depth=2
	ds_write_b32 v20, v3
; %bb.22:                               ;   in Loop: Header=BB39_4 Depth=2
	s_or_b64 exec, exec, s[28:29]
	s_waitcnt lgkmcnt(0)
	s_barrier
	s_and_saveexec_b64 s[28:29], s[22:23]
	s_cbranch_execz .LBB39_24
; %bb.23:                               ;   in Loop: Header=BB39_4 Depth=2
	ds_read_b32 v61, v24
	s_waitcnt lgkmcnt(0)
	s_nop 0
	v_mov_b32_dpp v62, v61 row_shr:1 row_mask:0xf bank_mask:0xf
	v_cndmask_b32_e64 v62, v62, 0, s[16:17]
	v_add_u32_e32 v61, v62, v61
	s_nop 1
	v_mov_b32_dpp v62, v61 row_shr:2 row_mask:0xf bank_mask:0xf
	v_cndmask_b32_e64 v62, 0, v62, s[18:19]
	v_add_u32_e32 v61, v61, v62
	;; [unrolled: 4-line block ×3, first 2 shown]
	ds_write_b32 v24, v61
.LBB39_24:                              ;   in Loop: Header=BB39_4 Depth=2
	s_or_b64 exec, exec, s[28:29]
	v_mov_b32_e32 v61, 0
	s_waitcnt lgkmcnt(0)
	s_barrier
	s_and_saveexec_b64 s[28:29], s[24:25]
; %bb.25:                               ;   in Loop: Header=BB39_4 Depth=2
	v_add_u32_e32 v61, -4, v20
	ds_read_b32 v61, v61
; %bb.26:                               ;   in Loop: Header=BB39_4 Depth=2
	s_or_b64 exec, exec, s[28:29]
	s_waitcnt lgkmcnt(0)
	v_add_u32_e32 v3, v61, v3
	ds_bpermute_b32 v3, v19, v3
	v_cmp_lt_u32_e32 vcc, 23, v33
	s_and_b64 vcc, exec, vcc
	s_mov_b64 s[28:29], -1
	s_waitcnt lgkmcnt(0)
	v_cndmask_b32_e64 v3, v3, v61, s[14:15]
	v_cndmask_b32_e64 v3, v3, 0, s[26:27]
	v_add_u32_e32 v4, v3, v4
	v_add_u32_e32 v5, v4, v5
	;; [unrolled: 1-line block ×3, first 2 shown]
	ds_write2_b32 v23, v3, v4 offset0:5 offset1:6
	ds_write2_b32 v23, v5, v2 offset0:7 offset1:8
	s_waitcnt lgkmcnt(0)
	s_barrier
	ds_read_b32 v2, v39 offset:20
	ds_read_b32 v3, v42 offset:20
	;; [unrolled: 1-line block ×3, first 2 shown]
                                        ; implicit-def: $vgpr45
	s_waitcnt lgkmcnt(2)
	v_add_u32_e32 v42, v2, v38
	s_waitcnt lgkmcnt(1)
	v_add3_u32 v38, v41, v40, v3
	ds_read_b32 v2, v48 offset:20
	s_waitcnt lgkmcnt(1)
	v_add3_u32 v5, v44, v43, v4
	ds_read_b32 v3, v51 offset:20
	ds_read_b32 v4, v54 offset:20
	;; [unrolled: 1-line block ×4, first 2 shown]
                                        ; implicit-def: $vgpr48
                                        ; implicit-def: $vgpr44
                                        ; implicit-def: $vgpr57
                                        ; implicit-def: $vgpr54
                                        ; implicit-def: $vgpr51
	s_waitcnt lgkmcnt(3)
	v_add3_u32 v39, v50, v49, v3
	v_add3_u32 v40, v47, v46, v2
	s_waitcnt lgkmcnt(2)
	v_add3_u32 v4, v53, v52, v4
	s_waitcnt lgkmcnt(1)
	;; [unrolled: 2-line block ×3, first 2 shown]
	v_add3_u32 v2, v59, v58, v43
                                        ; implicit-def: $vgpr49
                                        ; implicit-def: $vgpr47
                                        ; implicit-def: $vgpr46
                                        ; implicit-def: $vgpr43
                                        ; implicit-def: $vgpr41
                                        ; implicit-def: $vgpr56
                                        ; implicit-def: $vgpr55
                                        ; implicit-def: $vgpr53
                                        ; implicit-def: $vgpr52
                                        ; implicit-def: $vgpr50
	s_cbranch_vccnz .LBB39_3
; %bb.27:                               ;   in Loop: Header=BB39_4 Depth=2
	v_lshrrev_b32_e32 v41, 3, v42
	v_and_b32_e32 v41, 0x1ffffffc, v41
	v_lshl_add_u32 v50, v42, 2, v41
	v_lshrrev_b32_e32 v41, 3, v38
	v_and_b32_e32 v41, 0x1ffffffc, v41
	v_lshl_add_u32 v51, v38, 2, v41
	;; [unrolled: 3-line block ×8, first 2 shown]
	s_barrier
	ds_write_b32 v50, v37
	ds_write_b32 v51, v36
	;; [unrolled: 1-line block ×8, first 2 shown]
	s_waitcnt lgkmcnt(0)
	s_barrier
	ds_read_b32 v41, v11
	ds_read_b32 v43, v12 offset:256
	ds_read_b32 v44, v13 offset:512
	;; [unrolled: 1-line block ×7, first 2 shown]
	s_waitcnt lgkmcnt(0)
	s_barrier
	ds_write_b32 v50, v29
	ds_write_b32 v51, v28
	;; [unrolled: 1-line block ×8, first 2 shown]
	s_waitcnt lgkmcnt(0)
	s_barrier
	ds_read_b32 v50, v11
	ds_read_b32 v51, v12 offset:256
	ds_read_b32 v52, v13 offset:512
	;; [unrolled: 1-line block ×7, first 2 shown]
	v_add_u32_e32 v33, 8, v33
	s_mov_b64 s[28:29], 0
	s_waitcnt lgkmcnt(0)
	s_barrier
	s_branch .LBB39_3
.LBB39_28:
	s_add_u32 s0, s30, s34
	s_addc_u32 s1, s31, s35
	v_lshlrev_b32_e32 v0, 2, v0
	s_waitcnt lgkmcnt(3)
	v_add_u32_e32 v1, v25, v2
	v_add_u32_e32 v2, v26, v3
	s_waitcnt lgkmcnt(2)
	v_add_u32_e32 v3, v27, v4
	v_add_u32_e32 v4, v28, v5
	;; [unrolled: 3-line block ×4, first 2 shown]
	v_mov_b32_e32 v9, s1
	v_add_co_u32_e32 v10, vcc, s0, v0
	v_addc_co_u32_e32 v9, vcc, 0, v9, vcc
	global_store_dword v0, v1, s[0:1]
	global_store_dword v0, v2, s[0:1] offset:1280
	global_store_dword v0, v3, s[0:1] offset:2560
	;; [unrolled: 1-line block ×3, first 2 shown]
	v_add_co_u32_e32 v0, vcc, 0x1000, v10
	v_addc_co_u32_e32 v1, vcc, 0, v9, vcc
	global_store_dword v[0:1], v5, off offset:1024
	global_store_dword v[0:1], v6, off offset:2304
	;; [unrolled: 1-line block ×3, first 2 shown]
	v_add_co_u32_e32 v0, vcc, 0x2000, v10
	v_addc_co_u32_e32 v1, vcc, 0, v9, vcc
	global_store_dword v[0:1], v8, off offset:768
	s_endpgm
	.section	.rodata,"a",@progbits
	.p2align	6, 0x0
	.amdhsa_kernel _Z17sort_pairs_kernelI22helper_blocked_blockediLj320ELj8ELj10EEvPKT0_PS1_
		.amdhsa_group_segment_fixed_size 10560
		.amdhsa_private_segment_fixed_size 0
		.amdhsa_kernarg_size 272
		.amdhsa_user_sgpr_count 6
		.amdhsa_user_sgpr_private_segment_buffer 1
		.amdhsa_user_sgpr_dispatch_ptr 0
		.amdhsa_user_sgpr_queue_ptr 0
		.amdhsa_user_sgpr_kernarg_segment_ptr 1
		.amdhsa_user_sgpr_dispatch_id 0
		.amdhsa_user_sgpr_flat_scratch_init 0
		.amdhsa_user_sgpr_private_segment_size 0
		.amdhsa_uses_dynamic_stack 0
		.amdhsa_system_sgpr_private_segment_wavefront_offset 0
		.amdhsa_system_sgpr_workgroup_id_x 1
		.amdhsa_system_sgpr_workgroup_id_y 0
		.amdhsa_system_sgpr_workgroup_id_z 0
		.amdhsa_system_sgpr_workgroup_info 0
		.amdhsa_system_vgpr_workitem_id 2
		.amdhsa_next_free_vgpr 63
		.amdhsa_next_free_sgpr 61
		.amdhsa_reserve_vcc 1
		.amdhsa_reserve_flat_scratch 0
		.amdhsa_float_round_mode_32 0
		.amdhsa_float_round_mode_16_64 0
		.amdhsa_float_denorm_mode_32 3
		.amdhsa_float_denorm_mode_16_64 3
		.amdhsa_dx10_clamp 1
		.amdhsa_ieee_mode 1
		.amdhsa_fp16_overflow 0
		.amdhsa_exception_fp_ieee_invalid_op 0
		.amdhsa_exception_fp_denorm_src 0
		.amdhsa_exception_fp_ieee_div_zero 0
		.amdhsa_exception_fp_ieee_overflow 0
		.amdhsa_exception_fp_ieee_underflow 0
		.amdhsa_exception_fp_ieee_inexact 0
		.amdhsa_exception_int_div_zero 0
	.end_amdhsa_kernel
	.section	.text._Z17sort_pairs_kernelI22helper_blocked_blockediLj320ELj8ELj10EEvPKT0_PS1_,"axG",@progbits,_Z17sort_pairs_kernelI22helper_blocked_blockediLj320ELj8ELj10EEvPKT0_PS1_,comdat
.Lfunc_end39:
	.size	_Z17sort_pairs_kernelI22helper_blocked_blockediLj320ELj8ELj10EEvPKT0_PS1_, .Lfunc_end39-_Z17sort_pairs_kernelI22helper_blocked_blockediLj320ELj8ELj10EEvPKT0_PS1_
                                        ; -- End function
	.set _Z17sort_pairs_kernelI22helper_blocked_blockediLj320ELj8ELj10EEvPKT0_PS1_.num_vgpr, 63
	.set _Z17sort_pairs_kernelI22helper_blocked_blockediLj320ELj8ELj10EEvPKT0_PS1_.num_agpr, 0
	.set _Z17sort_pairs_kernelI22helper_blocked_blockediLj320ELj8ELj10EEvPKT0_PS1_.numbered_sgpr, 40
	.set _Z17sort_pairs_kernelI22helper_blocked_blockediLj320ELj8ELj10EEvPKT0_PS1_.num_named_barrier, 0
	.set _Z17sort_pairs_kernelI22helper_blocked_blockediLj320ELj8ELj10EEvPKT0_PS1_.private_seg_size, 0
	.set _Z17sort_pairs_kernelI22helper_blocked_blockediLj320ELj8ELj10EEvPKT0_PS1_.uses_vcc, 1
	.set _Z17sort_pairs_kernelI22helper_blocked_blockediLj320ELj8ELj10EEvPKT0_PS1_.uses_flat_scratch, 0
	.set _Z17sort_pairs_kernelI22helper_blocked_blockediLj320ELj8ELj10EEvPKT0_PS1_.has_dyn_sized_stack, 0
	.set _Z17sort_pairs_kernelI22helper_blocked_blockediLj320ELj8ELj10EEvPKT0_PS1_.has_recursion, 0
	.set _Z17sort_pairs_kernelI22helper_blocked_blockediLj320ELj8ELj10EEvPKT0_PS1_.has_indirect_call, 0
	.section	.AMDGPU.csdata,"",@progbits
; Kernel info:
; codeLenInByte = 5688
; TotalNumSgprs: 44
; NumVgprs: 63
; ScratchSize: 0
; MemoryBound: 0
; FloatMode: 240
; IeeeMode: 1
; LDSByteSize: 10560 bytes/workgroup (compile time only)
; SGPRBlocks: 8
; VGPRBlocks: 15
; NumSGPRsForWavesPerEU: 65
; NumVGPRsForWavesPerEU: 63
; Occupancy: 4
; WaveLimiterHint : 1
; COMPUTE_PGM_RSRC2:SCRATCH_EN: 0
; COMPUTE_PGM_RSRC2:USER_SGPR: 6
; COMPUTE_PGM_RSRC2:TRAP_HANDLER: 0
; COMPUTE_PGM_RSRC2:TGID_X_EN: 1
; COMPUTE_PGM_RSRC2:TGID_Y_EN: 0
; COMPUTE_PGM_RSRC2:TGID_Z_EN: 0
; COMPUTE_PGM_RSRC2:TIDIG_COMP_CNT: 2
	.section	.text._Z16sort_keys_kernelI22helper_blocked_blockediLj512ELj1ELj10EEvPKT0_PS1_,"axG",@progbits,_Z16sort_keys_kernelI22helper_blocked_blockediLj512ELj1ELj10EEvPKT0_PS1_,comdat
	.protected	_Z16sort_keys_kernelI22helper_blocked_blockediLj512ELj1ELj10EEvPKT0_PS1_ ; -- Begin function _Z16sort_keys_kernelI22helper_blocked_blockediLj512ELj1ELj10EEvPKT0_PS1_
	.globl	_Z16sort_keys_kernelI22helper_blocked_blockediLj512ELj1ELj10EEvPKT0_PS1_
	.p2align	8
	.type	_Z16sort_keys_kernelI22helper_blocked_blockediLj512ELj1ELj10EEvPKT0_PS1_,@function
_Z16sort_keys_kernelI22helper_blocked_blockediLj512ELj1ELj10EEvPKT0_PS1_: ; @_Z16sort_keys_kernelI22helper_blocked_blockediLj512ELj1ELj10EEvPKT0_PS1_
; %bb.0:
	s_load_dwordx4 s[28:31], s[4:5], 0x0
	s_load_dword s41, s[4:5], 0x1c
	s_lshl_b32 s34, s6, 9
	s_mov_b32 s35, 0
	s_lshl_b64 s[36:37], s[34:35], 2
	s_waitcnt lgkmcnt(0)
	s_add_u32 s0, s28, s36
	s_addc_u32 s1, s29, s37
	v_lshlrev_b32_e32 v3, 2, v0
	global_load_dword v3, v3, s[0:1]
	v_mbcnt_lo_u32_b32 v4, -1, 0
	v_mbcnt_hi_u32_b32 v4, -1, v4
	v_subrev_co_u32_e64 v24, s[4:5], 1, v4
	v_and_b32_e32 v25, 64, v4
	v_and_b32_e32 v9, 15, v4
	v_cmp_lt_i32_e64 s[26:27], v24, v25
	v_cmp_eq_u32_e64 s[8:9], 0, v9
	v_cmp_lt_u32_e64 s[10:11], 1, v9
	v_cmp_lt_u32_e64 s[12:13], 3, v9
	v_cmp_lt_u32_e64 s[14:15], 7, v9
	v_cndmask_b32_e64 v9, v24, v4, s[26:27]
	s_lshr_b32 s26, s41, 16
	s_and_b32 s27, s41, 0xffff
	v_mad_u32_u24 v1, v2, s26, v1
	v_mad_u64_u32 v[1:2], s[26:27], v1, s27, v[0:1]
	v_and_b32_e32 v6, 0x1c0, v0
	v_lshlrev_b32_e32 v20, 4, v0
	v_lshrrev_b32_e32 v7, 4, v0
	v_mul_i32_i24_e32 v8, -12, v0
	s_mov_b32 s38, s35
	v_and_b32_e32 v10, 16, v4
	s_mov_b32 s34, s35
	s_mov_b32 s39, s35
	v_or_b32_e32 v23, 63, v6
	v_and_b32_e32 v26, 7, v4
	v_lshlrev_b32_e32 v6, 2, v6
	v_and_b32_e32 v21, 28, v7
	v_add_u32_e32 v22, v20, v8
	v_cmp_eq_u32_e64 s[16:17], 0, v10
	v_mov_b32_e32 v7, s34
	v_lshlrev_b32_e32 v25, 2, v9
	v_lshrrev_b32_e32 v1, 4, v1
	v_mov_b32_e32 v9, s38
	v_mov_b32_e32 v5, 0
	s_mov_b32 s33, 10
	s_movk_i32 s40, 0xff
	v_mov_b32_e32 v11, 5
	v_mov_b32_e32 v12, 1
	;; [unrolled: 1-line block ×9, first 2 shown]
	v_cmp_gt_u32_e32 vcc, 8, v0
	v_cmp_lt_u32_e64 s[0:1], 63, v0
	v_cmp_eq_u32_e64 s[2:3], 0, v0
	v_cmp_lt_u32_e64 s[6:7], 31, v4
	v_cmp_eq_u32_e64 s[18:19], v0, v23
	v_cmp_eq_u32_e64 s[20:21], 0, v26
	v_cmp_lt_u32_e64 s[22:23], 1, v26
	v_cmp_lt_u32_e64 s[24:25], 3, v26
	v_lshl_add_u32 v23, v4, 2, v6
	v_add_u32_e32 v24, -4, v21
	v_mov_b32_e32 v8, s35
	v_and_b32_e32 v26, 0xffffffc, v1
	v_mov_b32_e32 v10, s39
	s_waitcnt vmcnt(0)
	v_xor_b32_e32 v27, 0x80000000, v3
	s_branch .LBB40_2
.LBB40_1:                               ;   in Loop: Header=BB40_2 Depth=1
	s_or_b64 exec, exec, s[26:27]
	s_waitcnt lgkmcnt(0)
	v_add_u32_e32 v4, v29, v4
	ds_bpermute_b32 v4, v25, v4
	s_add_i32 s33, s33, -1
	s_cmp_eq_u32 s33, 0
	s_waitcnt lgkmcnt(0)
	v_cndmask_b32_e64 v4, v4, v29, s[4:5]
	v_cndmask_b32_e64 v29, v4, 0, s[2:3]
	v_add_u32_e32 v30, v29, v1
	v_add_u32_e32 v1, v30, v2
	v_add_u32_e32 v2, v1, v3
	ds_write2_b64 v20, v[29:30], v[1:2] offset0:4 offset1:5
	s_waitcnt lgkmcnt(0)
	s_barrier
	ds_read_b32 v1, v28 offset:32
	v_lshlrev_b32_e32 v2, 2, v6
	s_waitcnt lgkmcnt(0)
	s_barrier
	v_lshl_add_u32 v1, v1, 2, v2
	ds_write_b32 v1, v27
	s_waitcnt lgkmcnt(0)
	s_barrier
	ds_read_b32 v27, v22
	s_cbranch_scc1 .LBB40_34
.LBB40_2:                               ; =>This Inner Loop Header: Depth=1
	s_waitcnt lgkmcnt(0)
	v_and_b32_e32 v1, 1, v27
	v_add_co_u32_e64 v2, s[26:27], -1, v1
	v_addc_co_u32_e64 v4, s[26:27], 0, -1, s[26:27]
	v_cmp_ne_u32_e64 s[26:27], 0, v1
	v_lshlrev_b32_e32 v6, 30, v27
	v_xor_b32_e32 v1, s27, v4
	v_xor_b32_e32 v2, s26, v2
	v_cmp_gt_i64_e64 s[26:27], 0, v[5:6]
	v_not_b32_e32 v4, v6
	v_ashrrev_i32_e32 v4, 31, v4
	v_and_b32_e32 v1, exec_hi, v1
	v_xor_b32_e32 v6, s27, v4
	v_and_b32_e32 v2, exec_lo, v2
	v_xor_b32_e32 v4, s26, v4
	v_and_b32_e32 v1, v1, v6
	v_lshlrev_b32_e32 v6, 29, v27
	v_and_b32_e32 v2, v2, v4
	v_cmp_gt_i64_e64 s[26:27], 0, v[5:6]
	v_not_b32_e32 v4, v6
	v_ashrrev_i32_e32 v4, 31, v4
	v_xor_b32_e32 v6, s27, v4
	v_xor_b32_e32 v4, s26, v4
	v_and_b32_e32 v1, v1, v6
	v_lshlrev_b32_e32 v6, 28, v27
	v_and_b32_e32 v2, v2, v4
	v_cmp_gt_i64_e64 s[26:27], 0, v[5:6]
	v_not_b32_e32 v4, v6
	v_ashrrev_i32_e32 v4, 31, v4
	v_xor_b32_e32 v6, s27, v4
	;; [unrolled: 8-line block ×6, first 2 shown]
	v_xor_b32_e32 v28, s26, v2
	v_and_b32_e32 v2, v1, v6
	v_and_b32_e32 v1, v4, v28
	v_mbcnt_lo_u32_b32 v4, v1, 0
	v_mbcnt_hi_u32_b32 v6, v2, v4
	v_cmp_ne_u64_e64 s[26:27], 0, v[1:2]
	v_lshlrev_b32_sdwa v3, v11, v27 dst_sel:DWORD dst_unused:UNUSED_PAD src0_sel:DWORD src1_sel:BYTE_0
	v_cmp_eq_u32_e64 s[28:29], 0, v6
	s_and_b64 s[28:29], s[26:27], s[28:29]
	v_add_u32_e32 v28, v26, v3
	ds_write2_b64 v20, v[7:8], v[9:10] offset0:4 offset1:5
	s_waitcnt lgkmcnt(0)
	s_barrier
	; wave barrier
	s_and_saveexec_b64 s[26:27], s[28:29]
; %bb.3:                                ;   in Loop: Header=BB40_2 Depth=1
	v_bcnt_u32_b32 v1, v1, 0
	v_bcnt_u32_b32 v1, v2, v1
	ds_write_b32 v28, v1 offset:32
; %bb.4:                                ;   in Loop: Header=BB40_2 Depth=1
	s_or_b64 exec, exec, s[26:27]
	; wave barrier
	s_waitcnt lgkmcnt(0)
	s_barrier
	ds_read2_b64 v[1:4], v20 offset0:4 offset1:5
	s_waitcnt lgkmcnt(0)
	v_add_u32_e32 v29, v2, v1
	v_add3_u32 v4, v29, v3, v4
	s_nop 1
	v_mov_b32_dpp v29, v4 row_shr:1 row_mask:0xf bank_mask:0xf
	v_cndmask_b32_e64 v29, v29, 0, s[8:9]
	v_add_u32_e32 v4, v29, v4
	s_nop 1
	v_mov_b32_dpp v29, v4 row_shr:2 row_mask:0xf bank_mask:0xf
	v_cndmask_b32_e64 v29, 0, v29, s[10:11]
	v_add_u32_e32 v4, v4, v29
	;; [unrolled: 4-line block ×4, first 2 shown]
	s_nop 1
	v_mov_b32_dpp v29, v4 row_bcast:15 row_mask:0xf bank_mask:0xf
	v_cndmask_b32_e64 v29, v29, 0, s[16:17]
	v_add_u32_e32 v4, v4, v29
	s_nop 1
	v_mov_b32_dpp v29, v4 row_bcast:31 row_mask:0xf bank_mask:0xf
	v_cndmask_b32_e64 v29, 0, v29, s[6:7]
	v_add_u32_e32 v4, v4, v29
	s_and_saveexec_b64 s[26:27], s[18:19]
; %bb.5:                                ;   in Loop: Header=BB40_2 Depth=1
	ds_write_b32 v21, v4
; %bb.6:                                ;   in Loop: Header=BB40_2 Depth=1
	s_or_b64 exec, exec, s[26:27]
	s_waitcnt lgkmcnt(0)
	s_barrier
	s_and_saveexec_b64 s[26:27], vcc
	s_cbranch_execz .LBB40_8
; %bb.7:                                ;   in Loop: Header=BB40_2 Depth=1
	ds_read_b32 v29, v22
	s_waitcnt lgkmcnt(0)
	s_nop 0
	v_mov_b32_dpp v30, v29 row_shr:1 row_mask:0xf bank_mask:0xf
	v_cndmask_b32_e64 v30, v30, 0, s[20:21]
	v_add_u32_e32 v29, v30, v29
	s_nop 1
	v_mov_b32_dpp v30, v29 row_shr:2 row_mask:0xf bank_mask:0xf
	v_cndmask_b32_e64 v30, 0, v30, s[22:23]
	v_add_u32_e32 v29, v29, v30
	;; [unrolled: 4-line block ×3, first 2 shown]
	ds_write_b32 v22, v29
.LBB40_8:                               ;   in Loop: Header=BB40_2 Depth=1
	s_or_b64 exec, exec, s[26:27]
	v_mov_b32_e32 v29, 0
	s_waitcnt lgkmcnt(0)
	s_barrier
	s_and_saveexec_b64 s[26:27], s[0:1]
; %bb.9:                                ;   in Loop: Header=BB40_2 Depth=1
	ds_read_b32 v29, v24
; %bb.10:                               ;   in Loop: Header=BB40_2 Depth=1
	s_or_b64 exec, exec, s[26:27]
	s_waitcnt lgkmcnt(0)
	v_add_u32_e32 v4, v29, v4
	ds_bpermute_b32 v4, v25, v4
	s_waitcnt lgkmcnt(0)
	v_cndmask_b32_e64 v4, v4, v29, s[4:5]
	v_cndmask_b32_e64 v29, v4, 0, s[2:3]
	v_add_u32_e32 v30, v29, v1
	v_add_u32_e32 v1, v30, v2
	;; [unrolled: 1-line block ×3, first 2 shown]
	ds_write2_b64 v20, v[29:30], v[1:2] offset0:4 offset1:5
	s_waitcnt lgkmcnt(0)
	s_barrier
	ds_read_b32 v1, v28 offset:32
	v_lshlrev_b32_e32 v2, 2, v6
	s_waitcnt lgkmcnt(0)
	s_barrier
	v_lshl_add_u32 v1, v1, 2, v2
	ds_write_b32 v1, v27
	s_waitcnt lgkmcnt(0)
	s_barrier
	ds_read_b32 v27, v23
	s_waitcnt lgkmcnt(0)
	s_barrier
	ds_write2_b64 v20, v[7:8], v[9:10] offset0:4 offset1:5
	v_lshrrev_b32_e32 v1, 8, v27
	v_and_b32_e32 v2, 1, v1
	v_add_co_u32_e64 v4, s[26:27], -1, v2
	v_addc_co_u32_e64 v6, s[26:27], 0, -1, s[26:27]
	v_cmp_ne_u32_e64 s[26:27], 0, v2
	v_xor_b32_e32 v2, s27, v6
	v_lshlrev_b32_e32 v6, 30, v1
	v_xor_b32_e32 v4, s26, v4
	v_cmp_gt_i64_e64 s[26:27], 0, v[5:6]
	v_not_b32_e32 v6, v6
	v_ashrrev_i32_e32 v6, 31, v6
	v_and_b32_e32 v4, exec_lo, v4
	v_xor_b32_e32 v28, s27, v6
	v_xor_b32_e32 v6, s26, v6
	v_and_b32_e32 v4, v4, v6
	v_lshlrev_b32_e32 v6, 29, v1
	v_cmp_gt_i64_e64 s[26:27], 0, v[5:6]
	v_not_b32_e32 v6, v6
	v_and_b32_e32 v2, exec_hi, v2
	v_ashrrev_i32_e32 v6, 31, v6
	v_and_b32_e32 v2, v2, v28
	v_xor_b32_e32 v28, s27, v6
	v_xor_b32_e32 v6, s26, v6
	v_and_b32_e32 v4, v4, v6
	v_lshlrev_b32_e32 v6, 28, v1
	v_cmp_gt_i64_e64 s[26:27], 0, v[5:6]
	v_not_b32_e32 v6, v6
	v_ashrrev_i32_e32 v6, 31, v6
	v_and_b32_e32 v2, v2, v28
	v_xor_b32_e32 v28, s27, v6
	v_xor_b32_e32 v6, s26, v6
	v_and_b32_e32 v4, v4, v6
	v_lshlrev_b32_e32 v6, 27, v1
	v_cmp_gt_i64_e64 s[26:27], 0, v[5:6]
	v_not_b32_e32 v6, v6
	;; [unrolled: 8-line block ×4, first 2 shown]
	v_ashrrev_i32_e32 v6, 31, v6
	v_and_b32_e32 v2, v2, v28
	v_xor_b32_e32 v28, s27, v6
	v_xor_b32_e32 v6, s26, v6
	v_and_b32_e32 v4, v4, v6
	v_lshlrev_b32_e32 v6, 24, v1
	v_lshlrev_b32_sdwa v3, v11, v1 dst_sel:DWORD dst_unused:UNUSED_PAD src0_sel:DWORD src1_sel:BYTE_0
	v_cmp_gt_i64_e64 s[26:27], 0, v[5:6]
	v_not_b32_e32 v1, v6
	v_ashrrev_i32_e32 v1, 31, v1
	v_xor_b32_e32 v6, s27, v1
	v_xor_b32_e32 v1, s26, v1
	v_and_b32_e32 v2, v2, v28
	v_and_b32_e32 v1, v4, v1
	;; [unrolled: 1-line block ×3, first 2 shown]
	v_mbcnt_lo_u32_b32 v4, v1, 0
	v_mbcnt_hi_u32_b32 v6, v2, v4
	v_cmp_ne_u64_e64 s[26:27], 0, v[1:2]
	v_cmp_eq_u32_e64 s[28:29], 0, v6
	s_and_b64 s[28:29], s[26:27], s[28:29]
	v_add_u32_e32 v28, v26, v3
	s_waitcnt lgkmcnt(0)
	s_barrier
	; wave barrier
	s_and_saveexec_b64 s[26:27], s[28:29]
; %bb.11:                               ;   in Loop: Header=BB40_2 Depth=1
	v_bcnt_u32_b32 v1, v1, 0
	v_bcnt_u32_b32 v1, v2, v1
	ds_write_b32 v28, v1 offset:32
; %bb.12:                               ;   in Loop: Header=BB40_2 Depth=1
	s_or_b64 exec, exec, s[26:27]
	; wave barrier
	s_waitcnt lgkmcnt(0)
	s_barrier
	ds_read2_b64 v[1:4], v20 offset0:4 offset1:5
	s_waitcnt lgkmcnt(0)
	v_add_u32_e32 v29, v2, v1
	v_add3_u32 v4, v29, v3, v4
	s_nop 1
	v_mov_b32_dpp v29, v4 row_shr:1 row_mask:0xf bank_mask:0xf
	v_cndmask_b32_e64 v29, v29, 0, s[8:9]
	v_add_u32_e32 v4, v29, v4
	s_nop 1
	v_mov_b32_dpp v29, v4 row_shr:2 row_mask:0xf bank_mask:0xf
	v_cndmask_b32_e64 v29, 0, v29, s[10:11]
	v_add_u32_e32 v4, v4, v29
	;; [unrolled: 4-line block ×4, first 2 shown]
	s_nop 1
	v_mov_b32_dpp v29, v4 row_bcast:15 row_mask:0xf bank_mask:0xf
	v_cndmask_b32_e64 v29, v29, 0, s[16:17]
	v_add_u32_e32 v4, v4, v29
	s_nop 1
	v_mov_b32_dpp v29, v4 row_bcast:31 row_mask:0xf bank_mask:0xf
	v_cndmask_b32_e64 v29, 0, v29, s[6:7]
	v_add_u32_e32 v4, v4, v29
	s_and_saveexec_b64 s[26:27], s[18:19]
; %bb.13:                               ;   in Loop: Header=BB40_2 Depth=1
	ds_write_b32 v21, v4
; %bb.14:                               ;   in Loop: Header=BB40_2 Depth=1
	s_or_b64 exec, exec, s[26:27]
	s_waitcnt lgkmcnt(0)
	s_barrier
	s_and_saveexec_b64 s[26:27], vcc
	s_cbranch_execz .LBB40_16
; %bb.15:                               ;   in Loop: Header=BB40_2 Depth=1
	ds_read_b32 v29, v22
	s_waitcnt lgkmcnt(0)
	s_nop 0
	v_mov_b32_dpp v30, v29 row_shr:1 row_mask:0xf bank_mask:0xf
	v_cndmask_b32_e64 v30, v30, 0, s[20:21]
	v_add_u32_e32 v29, v30, v29
	s_nop 1
	v_mov_b32_dpp v30, v29 row_shr:2 row_mask:0xf bank_mask:0xf
	v_cndmask_b32_e64 v30, 0, v30, s[22:23]
	v_add_u32_e32 v29, v29, v30
	;; [unrolled: 4-line block ×3, first 2 shown]
	ds_write_b32 v22, v29
.LBB40_16:                              ;   in Loop: Header=BB40_2 Depth=1
	s_or_b64 exec, exec, s[26:27]
	v_mov_b32_e32 v29, 0
	s_waitcnt lgkmcnt(0)
	s_barrier
	s_and_saveexec_b64 s[26:27], s[0:1]
; %bb.17:                               ;   in Loop: Header=BB40_2 Depth=1
	ds_read_b32 v29, v24
; %bb.18:                               ;   in Loop: Header=BB40_2 Depth=1
	s_or_b64 exec, exec, s[26:27]
	s_waitcnt lgkmcnt(0)
	v_add_u32_e32 v4, v29, v4
	ds_bpermute_b32 v4, v25, v4
	s_waitcnt lgkmcnt(0)
	v_cndmask_b32_e64 v4, v4, v29, s[4:5]
	v_cndmask_b32_e64 v29, v4, 0, s[2:3]
	v_add_u32_e32 v30, v29, v1
	v_add_u32_e32 v1, v30, v2
	;; [unrolled: 1-line block ×3, first 2 shown]
	ds_write2_b64 v20, v[29:30], v[1:2] offset0:4 offset1:5
	s_waitcnt lgkmcnt(0)
	s_barrier
	ds_read_b32 v1, v28 offset:32
	v_lshlrev_b32_e32 v2, 2, v6
	s_waitcnt lgkmcnt(0)
	s_barrier
	v_lshl_add_u32 v1, v1, 2, v2
	ds_write_b32 v1, v27
	s_waitcnt lgkmcnt(0)
	s_barrier
	ds_read_b32 v27, v23
	s_waitcnt lgkmcnt(0)
	s_barrier
	ds_write2_b64 v20, v[7:8], v[9:10] offset0:4 offset1:5
	v_and_b32_sdwa v1, v27, s40 dst_sel:DWORD dst_unused:UNUSED_PAD src0_sel:WORD_1 src1_sel:DWORD
	v_lshlrev_b32_e32 v3, 5, v1
	v_and_b32_sdwa v1, v27, v12 dst_sel:DWORD dst_unused:UNUSED_PAD src0_sel:WORD_1 src1_sel:DWORD
	v_add_co_u32_e64 v2, s[26:27], -1, v1
	v_addc_co_u32_e64 v4, s[26:27], 0, -1, s[26:27]
	v_cmp_ne_u32_e64 s[26:27], 0, v1
	v_lshlrev_b32_sdwa v6, v13, v27 dst_sel:DWORD dst_unused:UNUSED_PAD src0_sel:DWORD src1_sel:WORD_1
	v_xor_b32_e32 v1, s27, v4
	v_xor_b32_e32 v2, s26, v2
	v_cmp_gt_i64_e64 s[26:27], 0, v[5:6]
	v_not_b32_e32 v4, v6
	v_ashrrev_i32_e32 v4, 31, v4
	v_and_b32_e32 v1, exec_hi, v1
	v_xor_b32_e32 v6, s27, v4
	v_and_b32_e32 v2, exec_lo, v2
	v_xor_b32_e32 v4, s26, v4
	v_and_b32_e32 v1, v1, v6
	v_lshlrev_b32_sdwa v6, v14, v27 dst_sel:DWORD dst_unused:UNUSED_PAD src0_sel:DWORD src1_sel:WORD_1
	v_and_b32_e32 v2, v2, v4
	v_cmp_gt_i64_e64 s[26:27], 0, v[5:6]
	v_not_b32_e32 v4, v6
	v_ashrrev_i32_e32 v4, 31, v4
	v_xor_b32_e32 v6, s27, v4
	v_xor_b32_e32 v4, s26, v4
	v_and_b32_e32 v1, v1, v6
	v_lshlrev_b32_sdwa v6, v15, v27 dst_sel:DWORD dst_unused:UNUSED_PAD src0_sel:DWORD src1_sel:WORD_1
	v_and_b32_e32 v2, v2, v4
	v_cmp_gt_i64_e64 s[26:27], 0, v[5:6]
	v_not_b32_e32 v4, v6
	v_ashrrev_i32_e32 v4, 31, v4
	v_xor_b32_e32 v6, s27, v4
	;; [unrolled: 8-line block ×6, first 2 shown]
	v_xor_b32_e32 v28, s26, v2
	v_and_b32_e32 v2, v1, v6
	v_and_b32_e32 v1, v4, v28
	v_mbcnt_lo_u32_b32 v4, v1, 0
	v_mbcnt_hi_u32_b32 v6, v2, v4
	v_cmp_ne_u64_e64 s[26:27], 0, v[1:2]
	v_cmp_eq_u32_e64 s[28:29], 0, v6
	s_and_b64 s[28:29], s[26:27], s[28:29]
	v_add_u32_e32 v28, v26, v3
	s_waitcnt lgkmcnt(0)
	s_barrier
	; wave barrier
	s_and_saveexec_b64 s[26:27], s[28:29]
; %bb.19:                               ;   in Loop: Header=BB40_2 Depth=1
	v_bcnt_u32_b32 v1, v1, 0
	v_bcnt_u32_b32 v1, v2, v1
	ds_write_b32 v28, v1 offset:32
; %bb.20:                               ;   in Loop: Header=BB40_2 Depth=1
	s_or_b64 exec, exec, s[26:27]
	; wave barrier
	s_waitcnt lgkmcnt(0)
	s_barrier
	ds_read2_b64 v[1:4], v20 offset0:4 offset1:5
	s_waitcnt lgkmcnt(0)
	v_add_u32_e32 v29, v2, v1
	v_add3_u32 v4, v29, v3, v4
	s_nop 1
	v_mov_b32_dpp v29, v4 row_shr:1 row_mask:0xf bank_mask:0xf
	v_cndmask_b32_e64 v29, v29, 0, s[8:9]
	v_add_u32_e32 v4, v29, v4
	s_nop 1
	v_mov_b32_dpp v29, v4 row_shr:2 row_mask:0xf bank_mask:0xf
	v_cndmask_b32_e64 v29, 0, v29, s[10:11]
	v_add_u32_e32 v4, v4, v29
	;; [unrolled: 4-line block ×4, first 2 shown]
	s_nop 1
	v_mov_b32_dpp v29, v4 row_bcast:15 row_mask:0xf bank_mask:0xf
	v_cndmask_b32_e64 v29, v29, 0, s[16:17]
	v_add_u32_e32 v4, v4, v29
	s_nop 1
	v_mov_b32_dpp v29, v4 row_bcast:31 row_mask:0xf bank_mask:0xf
	v_cndmask_b32_e64 v29, 0, v29, s[6:7]
	v_add_u32_e32 v4, v4, v29
	s_and_saveexec_b64 s[26:27], s[18:19]
; %bb.21:                               ;   in Loop: Header=BB40_2 Depth=1
	ds_write_b32 v21, v4
; %bb.22:                               ;   in Loop: Header=BB40_2 Depth=1
	s_or_b64 exec, exec, s[26:27]
	s_waitcnt lgkmcnt(0)
	s_barrier
	s_and_saveexec_b64 s[26:27], vcc
	s_cbranch_execz .LBB40_24
; %bb.23:                               ;   in Loop: Header=BB40_2 Depth=1
	ds_read_b32 v29, v22
	s_waitcnt lgkmcnt(0)
	s_nop 0
	v_mov_b32_dpp v30, v29 row_shr:1 row_mask:0xf bank_mask:0xf
	v_cndmask_b32_e64 v30, v30, 0, s[20:21]
	v_add_u32_e32 v29, v30, v29
	s_nop 1
	v_mov_b32_dpp v30, v29 row_shr:2 row_mask:0xf bank_mask:0xf
	v_cndmask_b32_e64 v30, 0, v30, s[22:23]
	v_add_u32_e32 v29, v29, v30
	;; [unrolled: 4-line block ×3, first 2 shown]
	ds_write_b32 v22, v29
.LBB40_24:                              ;   in Loop: Header=BB40_2 Depth=1
	s_or_b64 exec, exec, s[26:27]
	v_mov_b32_e32 v29, 0
	s_waitcnt lgkmcnt(0)
	s_barrier
	s_and_saveexec_b64 s[26:27], s[0:1]
; %bb.25:                               ;   in Loop: Header=BB40_2 Depth=1
	ds_read_b32 v29, v24
; %bb.26:                               ;   in Loop: Header=BB40_2 Depth=1
	s_or_b64 exec, exec, s[26:27]
	s_waitcnt lgkmcnt(0)
	v_add_u32_e32 v4, v29, v4
	ds_bpermute_b32 v4, v25, v4
	s_waitcnt lgkmcnt(0)
	v_cndmask_b32_e64 v4, v4, v29, s[4:5]
	v_cndmask_b32_e64 v29, v4, 0, s[2:3]
	v_add_u32_e32 v30, v29, v1
	v_add_u32_e32 v1, v30, v2
	;; [unrolled: 1-line block ×3, first 2 shown]
	ds_write2_b64 v20, v[29:30], v[1:2] offset0:4 offset1:5
	s_waitcnt lgkmcnt(0)
	s_barrier
	ds_read_b32 v1, v28 offset:32
	v_lshlrev_b32_e32 v2, 2, v6
	s_waitcnt lgkmcnt(0)
	s_barrier
	v_lshl_add_u32 v1, v1, 2, v2
	ds_write_b32 v1, v27
	s_waitcnt lgkmcnt(0)
	s_barrier
	ds_read_b32 v27, v23
	v_mov_b32_e32 v1, s34
	v_mov_b32_e32 v3, s38
	;; [unrolled: 1-line block ×4, first 2 shown]
	s_waitcnt lgkmcnt(0)
	s_barrier
	ds_write2_b64 v20, v[1:2], v[3:4] offset0:4 offset1:5
	v_and_b32_sdwa v1, v27, v12 dst_sel:DWORD dst_unused:UNUSED_PAD src0_sel:BYTE_3 src1_sel:DWORD
	v_add_co_u32_e64 v2, s[26:27], -1, v1
	v_addc_co_u32_e64 v4, s[26:27], 0, -1, s[26:27]
	v_cmp_ne_u32_e64 s[26:27], 0, v1
	v_lshlrev_b32_sdwa v6, v13, v27 dst_sel:DWORD dst_unused:UNUSED_PAD src0_sel:DWORD src1_sel:BYTE_3
	v_xor_b32_e32 v1, s27, v4
	v_xor_b32_e32 v2, s26, v2
	v_cmp_gt_i64_e64 s[26:27], 0, v[5:6]
	v_not_b32_e32 v4, v6
	v_ashrrev_i32_e32 v4, 31, v4
	v_and_b32_e32 v1, exec_hi, v1
	v_xor_b32_e32 v6, s27, v4
	v_and_b32_e32 v2, exec_lo, v2
	v_xor_b32_e32 v4, s26, v4
	v_and_b32_e32 v1, v1, v6
	v_lshlrev_b32_sdwa v6, v14, v27 dst_sel:DWORD dst_unused:UNUSED_PAD src0_sel:DWORD src1_sel:BYTE_3
	v_and_b32_e32 v2, v2, v4
	v_cmp_gt_i64_e64 s[26:27], 0, v[5:6]
	v_not_b32_e32 v4, v6
	v_ashrrev_i32_e32 v4, 31, v4
	v_xor_b32_e32 v6, s27, v4
	v_xor_b32_e32 v4, s26, v4
	v_and_b32_e32 v1, v1, v6
	v_lshlrev_b32_sdwa v6, v15, v27 dst_sel:DWORD dst_unused:UNUSED_PAD src0_sel:DWORD src1_sel:BYTE_3
	v_and_b32_e32 v2, v2, v4
	v_cmp_gt_i64_e64 s[26:27], 0, v[5:6]
	v_not_b32_e32 v4, v6
	v_ashrrev_i32_e32 v4, 31, v4
	v_xor_b32_e32 v6, s27, v4
	v_xor_b32_e32 v4, s26, v4
	v_and_b32_e32 v1, v1, v6
	v_lshlrev_b32_sdwa v6, v16, v27 dst_sel:DWORD dst_unused:UNUSED_PAD src0_sel:DWORD src1_sel:BYTE_3
	v_and_b32_e32 v2, v2, v4
	v_cmp_gt_i64_e64 s[26:27], 0, v[5:6]
	v_not_b32_e32 v4, v6
	v_ashrrev_i32_e32 v4, 31, v4
	v_xor_b32_e32 v6, s27, v4
	v_xor_b32_e32 v4, s26, v4
	v_and_b32_e32 v1, v1, v6
	v_lshlrev_b32_sdwa v6, v17, v27 dst_sel:DWORD dst_unused:UNUSED_PAD src0_sel:DWORD src1_sel:BYTE_3
	v_and_b32_e32 v2, v2, v4
	v_cmp_gt_i64_e64 s[26:27], 0, v[5:6]
	v_not_b32_e32 v4, v6
	v_ashrrev_i32_e32 v4, 31, v4
	v_xor_b32_e32 v6, s27, v4
	v_xor_b32_e32 v4, s26, v4
	v_and_b32_e32 v1, v1, v6
	v_lshlrev_b32_sdwa v6, v18, v27 dst_sel:DWORD dst_unused:UNUSED_PAD src0_sel:DWORD src1_sel:BYTE_3
	v_and_b32_e32 v2, v2, v4
	v_cmp_gt_i64_e64 s[26:27], 0, v[5:6]
	v_not_b32_e32 v4, v6
	v_ashrrev_i32_e32 v4, 31, v4
	v_xor_b32_e32 v6, s27, v4
	v_xor_b32_e32 v4, s26, v4
	v_and_b32_e32 v1, v1, v6
	v_lshlrev_b32_sdwa v6, v19, v27 dst_sel:DWORD dst_unused:UNUSED_PAD src0_sel:DWORD src1_sel:BYTE_3
	v_and_b32_e32 v4, v2, v4
	v_cmp_gt_i64_e64 s[26:27], 0, v[5:6]
	v_not_b32_e32 v2, v6
	v_ashrrev_i32_e32 v2, 31, v2
	v_xor_b32_e32 v6, s27, v2
	v_xor_b32_e32 v28, s26, v2
	v_and_b32_e32 v2, v1, v6
	v_and_b32_e32 v1, v4, v28
	v_mbcnt_lo_u32_b32 v4, v1, 0
	v_mbcnt_hi_u32_b32 v6, v2, v4
	v_cmp_ne_u64_e64 s[26:27], 0, v[1:2]
	v_lshlrev_b32_sdwa v3, v11, v27 dst_sel:DWORD dst_unused:UNUSED_PAD src0_sel:DWORD src1_sel:BYTE_3
	v_cmp_eq_u32_e64 s[28:29], 0, v6
	s_and_b64 s[28:29], s[26:27], s[28:29]
	v_add_u32_e32 v28, v26, v3
	s_waitcnt lgkmcnt(0)
	s_barrier
	; wave barrier
	s_and_saveexec_b64 s[26:27], s[28:29]
; %bb.27:                               ;   in Loop: Header=BB40_2 Depth=1
	v_bcnt_u32_b32 v1, v1, 0
	v_bcnt_u32_b32 v1, v2, v1
	ds_write_b32 v28, v1 offset:32
; %bb.28:                               ;   in Loop: Header=BB40_2 Depth=1
	s_or_b64 exec, exec, s[26:27]
	; wave barrier
	s_waitcnt lgkmcnt(0)
	s_barrier
	ds_read2_b64 v[1:4], v20 offset0:4 offset1:5
	s_waitcnt lgkmcnt(0)
	v_add_u32_e32 v29, v2, v1
	v_add3_u32 v4, v29, v3, v4
	s_nop 1
	v_mov_b32_dpp v29, v4 row_shr:1 row_mask:0xf bank_mask:0xf
	v_cndmask_b32_e64 v29, v29, 0, s[8:9]
	v_add_u32_e32 v4, v29, v4
	s_nop 1
	v_mov_b32_dpp v29, v4 row_shr:2 row_mask:0xf bank_mask:0xf
	v_cndmask_b32_e64 v29, 0, v29, s[10:11]
	v_add_u32_e32 v4, v4, v29
	;; [unrolled: 4-line block ×4, first 2 shown]
	s_nop 1
	v_mov_b32_dpp v29, v4 row_bcast:15 row_mask:0xf bank_mask:0xf
	v_cndmask_b32_e64 v29, v29, 0, s[16:17]
	v_add_u32_e32 v4, v4, v29
	s_nop 1
	v_mov_b32_dpp v29, v4 row_bcast:31 row_mask:0xf bank_mask:0xf
	v_cndmask_b32_e64 v29, 0, v29, s[6:7]
	v_add_u32_e32 v4, v4, v29
	s_and_saveexec_b64 s[26:27], s[18:19]
; %bb.29:                               ;   in Loop: Header=BB40_2 Depth=1
	ds_write_b32 v21, v4
; %bb.30:                               ;   in Loop: Header=BB40_2 Depth=1
	s_or_b64 exec, exec, s[26:27]
	s_waitcnt lgkmcnt(0)
	s_barrier
	s_and_saveexec_b64 s[26:27], vcc
	s_cbranch_execz .LBB40_32
; %bb.31:                               ;   in Loop: Header=BB40_2 Depth=1
	ds_read_b32 v29, v22
	s_waitcnt lgkmcnt(0)
	s_nop 0
	v_mov_b32_dpp v30, v29 row_shr:1 row_mask:0xf bank_mask:0xf
	v_cndmask_b32_e64 v30, v30, 0, s[20:21]
	v_add_u32_e32 v29, v30, v29
	s_nop 1
	v_mov_b32_dpp v30, v29 row_shr:2 row_mask:0xf bank_mask:0xf
	v_cndmask_b32_e64 v30, 0, v30, s[22:23]
	v_add_u32_e32 v29, v29, v30
	;; [unrolled: 4-line block ×3, first 2 shown]
	ds_write_b32 v22, v29
.LBB40_32:                              ;   in Loop: Header=BB40_2 Depth=1
	s_or_b64 exec, exec, s[26:27]
	v_mov_b32_e32 v29, 0
	s_waitcnt lgkmcnt(0)
	s_barrier
	s_and_saveexec_b64 s[26:27], s[0:1]
	s_cbranch_execz .LBB40_1
; %bb.33:                               ;   in Loop: Header=BB40_2 Depth=1
	ds_read_b32 v29, v24
	s_branch .LBB40_1
.LBB40_34:
	s_add_u32 s0, s30, s36
	s_waitcnt lgkmcnt(0)
	v_xor_b32_e32 v1, 0x80000000, v27
	s_addc_u32 s1, s31, s37
	v_lshlrev_b32_e32 v0, 2, v0
	global_store_dword v0, v1, s[0:1]
	s_endpgm
	.section	.rodata,"a",@progbits
	.p2align	6, 0x0
	.amdhsa_kernel _Z16sort_keys_kernelI22helper_blocked_blockediLj512ELj1ELj10EEvPKT0_PS1_
		.amdhsa_group_segment_fixed_size 8224
		.amdhsa_private_segment_fixed_size 0
		.amdhsa_kernarg_size 272
		.amdhsa_user_sgpr_count 6
		.amdhsa_user_sgpr_private_segment_buffer 1
		.amdhsa_user_sgpr_dispatch_ptr 0
		.amdhsa_user_sgpr_queue_ptr 0
		.amdhsa_user_sgpr_kernarg_segment_ptr 1
		.amdhsa_user_sgpr_dispatch_id 0
		.amdhsa_user_sgpr_flat_scratch_init 0
		.amdhsa_user_sgpr_private_segment_size 0
		.amdhsa_uses_dynamic_stack 0
		.amdhsa_system_sgpr_private_segment_wavefront_offset 0
		.amdhsa_system_sgpr_workgroup_id_x 1
		.amdhsa_system_sgpr_workgroup_id_y 0
		.amdhsa_system_sgpr_workgroup_id_z 0
		.amdhsa_system_sgpr_workgroup_info 0
		.amdhsa_system_vgpr_workitem_id 2
		.amdhsa_next_free_vgpr 31
		.amdhsa_next_free_sgpr 42
		.amdhsa_reserve_vcc 1
		.amdhsa_reserve_flat_scratch 0
		.amdhsa_float_round_mode_32 0
		.amdhsa_float_round_mode_16_64 0
		.amdhsa_float_denorm_mode_32 3
		.amdhsa_float_denorm_mode_16_64 3
		.amdhsa_dx10_clamp 1
		.amdhsa_ieee_mode 1
		.amdhsa_fp16_overflow 0
		.amdhsa_exception_fp_ieee_invalid_op 0
		.amdhsa_exception_fp_denorm_src 0
		.amdhsa_exception_fp_ieee_div_zero 0
		.amdhsa_exception_fp_ieee_overflow 0
		.amdhsa_exception_fp_ieee_underflow 0
		.amdhsa_exception_fp_ieee_inexact 0
		.amdhsa_exception_int_div_zero 0
	.end_amdhsa_kernel
	.section	.text._Z16sort_keys_kernelI22helper_blocked_blockediLj512ELj1ELj10EEvPKT0_PS1_,"axG",@progbits,_Z16sort_keys_kernelI22helper_blocked_blockediLj512ELj1ELj10EEvPKT0_PS1_,comdat
.Lfunc_end40:
	.size	_Z16sort_keys_kernelI22helper_blocked_blockediLj512ELj1ELj10EEvPKT0_PS1_, .Lfunc_end40-_Z16sort_keys_kernelI22helper_blocked_blockediLj512ELj1ELj10EEvPKT0_PS1_
                                        ; -- End function
	.set _Z16sort_keys_kernelI22helper_blocked_blockediLj512ELj1ELj10EEvPKT0_PS1_.num_vgpr, 31
	.set _Z16sort_keys_kernelI22helper_blocked_blockediLj512ELj1ELj10EEvPKT0_PS1_.num_agpr, 0
	.set _Z16sort_keys_kernelI22helper_blocked_blockediLj512ELj1ELj10EEvPKT0_PS1_.numbered_sgpr, 42
	.set _Z16sort_keys_kernelI22helper_blocked_blockediLj512ELj1ELj10EEvPKT0_PS1_.num_named_barrier, 0
	.set _Z16sort_keys_kernelI22helper_blocked_blockediLj512ELj1ELj10EEvPKT0_PS1_.private_seg_size, 0
	.set _Z16sort_keys_kernelI22helper_blocked_blockediLj512ELj1ELj10EEvPKT0_PS1_.uses_vcc, 1
	.set _Z16sort_keys_kernelI22helper_blocked_blockediLj512ELj1ELj10EEvPKT0_PS1_.uses_flat_scratch, 0
	.set _Z16sort_keys_kernelI22helper_blocked_blockediLj512ELj1ELj10EEvPKT0_PS1_.has_dyn_sized_stack, 0
	.set _Z16sort_keys_kernelI22helper_blocked_blockediLj512ELj1ELj10EEvPKT0_PS1_.has_recursion, 0
	.set _Z16sort_keys_kernelI22helper_blocked_blockediLj512ELj1ELj10EEvPKT0_PS1_.has_indirect_call, 0
	.section	.AMDGPU.csdata,"",@progbits
; Kernel info:
; codeLenInByte = 3924
; TotalNumSgprs: 46
; NumVgprs: 31
; ScratchSize: 0
; MemoryBound: 0
; FloatMode: 240
; IeeeMode: 1
; LDSByteSize: 8224 bytes/workgroup (compile time only)
; SGPRBlocks: 5
; VGPRBlocks: 7
; NumSGPRsForWavesPerEU: 46
; NumVGPRsForWavesPerEU: 31
; Occupancy: 8
; WaveLimiterHint : 0
; COMPUTE_PGM_RSRC2:SCRATCH_EN: 0
; COMPUTE_PGM_RSRC2:USER_SGPR: 6
; COMPUTE_PGM_RSRC2:TRAP_HANDLER: 0
; COMPUTE_PGM_RSRC2:TGID_X_EN: 1
; COMPUTE_PGM_RSRC2:TGID_Y_EN: 0
; COMPUTE_PGM_RSRC2:TGID_Z_EN: 0
; COMPUTE_PGM_RSRC2:TIDIG_COMP_CNT: 2
	.section	.text._Z17sort_pairs_kernelI22helper_blocked_blockediLj512ELj1ELj10EEvPKT0_PS1_,"axG",@progbits,_Z17sort_pairs_kernelI22helper_blocked_blockediLj512ELj1ELj10EEvPKT0_PS1_,comdat
	.protected	_Z17sort_pairs_kernelI22helper_blocked_blockediLj512ELj1ELj10EEvPKT0_PS1_ ; -- Begin function _Z17sort_pairs_kernelI22helper_blocked_blockediLj512ELj1ELj10EEvPKT0_PS1_
	.globl	_Z17sort_pairs_kernelI22helper_blocked_blockediLj512ELj1ELj10EEvPKT0_PS1_
	.p2align	8
	.type	_Z17sort_pairs_kernelI22helper_blocked_blockediLj512ELj1ELj10EEvPKT0_PS1_,@function
_Z17sort_pairs_kernelI22helper_blocked_blockediLj512ELj1ELj10EEvPKT0_PS1_: ; @_Z17sort_pairs_kernelI22helper_blocked_blockediLj512ELj1ELj10EEvPKT0_PS1_
; %bb.0:
	s_load_dwordx4 s[28:31], s[4:5], 0x0
	s_load_dword s41, s[4:5], 0x1c
	s_lshl_b32 s36, s6, 9
	s_mov_b32 s37, 0
	s_lshl_b64 s[34:35], s[36:37], 2
	s_waitcnt lgkmcnt(0)
	s_add_u32 s0, s28, s34
	s_addc_u32 s1, s29, s35
	v_lshlrev_b32_e32 v3, 2, v0
	global_load_dword v3, v3, s[0:1]
	v_mbcnt_lo_u32_b32 v4, -1, 0
	v_mbcnt_hi_u32_b32 v4, -1, v4
	v_subrev_co_u32_e64 v24, s[4:5], 1, v4
	v_and_b32_e32 v25, 64, v4
	v_and_b32_e32 v9, 15, v4
	v_cmp_lt_i32_e64 s[26:27], v24, v25
	v_cmp_eq_u32_e64 s[8:9], 0, v9
	v_cmp_lt_u32_e64 s[10:11], 1, v9
	v_cmp_lt_u32_e64 s[12:13], 3, v9
	;; [unrolled: 1-line block ×3, first 2 shown]
	v_cndmask_b32_e64 v9, v24, v4, s[26:27]
	s_lshr_b32 s26, s41, 16
	s_and_b32 s27, s41, 0xffff
	v_mad_u32_u24 v1, v2, s26, v1
	v_mad_u64_u32 v[1:2], s[26:27], v1, s27, v[0:1]
	v_lshlrev_b32_e32 v20, 4, v0
	v_and_b32_e32 v6, 0x1c0, v0
	v_lshrrev_b32_e32 v7, 4, v0
	v_mul_i32_i24_e32 v8, -12, v0
	s_mov_b32 s38, s37
	v_and_b32_e32 v10, 16, v4
	s_mov_b32 s36, s37
	s_mov_b32 s39, s37
	v_or_b32_e32 v23, 63, v6
	v_and_b32_e32 v26, 7, v4
	v_and_b32_e32 v21, 28, v7
	v_lshlrev_b32_e32 v6, 2, v6
	v_add_u32_e32 v22, v20, v8
	v_cmp_eq_u32_e64 s[16:17], 0, v10
	v_mov_b32_e32 v7, s36
	v_lshlrev_b32_e32 v25, 2, v9
	v_lshrrev_b32_e32 v1, 4, v1
	v_mov_b32_e32 v9, s38
	s_mov_b32 s33, 10
	s_movk_i32 s40, 0xff
	v_mov_b32_e32 v11, 5
	v_mov_b32_e32 v12, 1
	;; [unrolled: 1-line block ×10, first 2 shown]
	v_cmp_gt_u32_e32 vcc, 8, v0
	v_cmp_lt_u32_e64 s[0:1], 63, v0
	v_cmp_eq_u32_e64 s[2:3], 0, v0
	v_cmp_lt_u32_e64 s[6:7], 31, v4
	v_cmp_eq_u32_e64 s[18:19], v0, v23
	v_cmp_eq_u32_e64 s[20:21], 0, v26
	v_cmp_lt_u32_e64 s[22:23], 1, v26
	v_cmp_lt_u32_e64 s[24:25], 3, v26
	v_lshl_add_u32 v23, v4, 2, v6
	v_add_u32_e32 v24, -4, v21
	v_mov_b32_e32 v8, s37
	v_and_b32_e32 v26, 0xffffffc, v1
	v_mov_b32_e32 v10, s39
	s_waitcnt vmcnt(0)
	v_add_u32_e32 v27, 1, v3
	v_xor_b32_e32 v28, 0x80000000, v3
	s_branch .LBB41_2
.LBB41_1:                               ;   in Loop: Header=BB41_2 Depth=1
	s_or_b64 exec, exec, s[26:27]
	s_waitcnt lgkmcnt(0)
	v_add_u32_e32 v4, v30, v4
	ds_bpermute_b32 v4, v25, v4
	s_add_i32 s33, s33, -1
	s_cmp_eq_u32 s33, 0
	s_waitcnt lgkmcnt(0)
	v_cndmask_b32_e64 v4, v4, v30, s[4:5]
	v_cndmask_b32_e64 v30, v4, 0, s[2:3]
	v_add_u32_e32 v31, v30, v1
	v_add_u32_e32 v1, v31, v2
	;; [unrolled: 1-line block ×3, first 2 shown]
	ds_write2_b64 v20, v[30:31], v[1:2] offset0:4 offset1:5
	s_waitcnt lgkmcnt(0)
	s_barrier
	ds_read_b32 v1, v28 offset:32
	v_lshlrev_b32_e32 v2, 2, v6
	s_waitcnt lgkmcnt(0)
	s_barrier
	v_lshl_add_u32 v1, v1, 2, v2
	ds_write_b32 v1, v27
	s_waitcnt lgkmcnt(0)
	s_barrier
	ds_read_b32 v28, v22
	s_waitcnt lgkmcnt(0)
	s_barrier
	ds_write_b32 v1, v29
	s_waitcnt lgkmcnt(0)
	s_barrier
	ds_read_b32 v27, v22
	s_cbranch_scc1 .LBB41_34
.LBB41_2:                               ; =>This Inner Loop Header: Depth=1
	v_and_b32_e32 v1, 1, v28
	v_add_co_u32_e64 v2, s[26:27], -1, v1
	v_addc_co_u32_e64 v4, s[26:27], 0, -1, s[26:27]
	v_cmp_ne_u32_e64 s[26:27], 0, v1
	v_lshlrev_b32_e32 v6, 30, v28
	v_xor_b32_e32 v1, s27, v4
	v_xor_b32_e32 v2, s26, v2
	v_cmp_gt_i64_e64 s[26:27], 0, v[5:6]
	v_not_b32_e32 v4, v6
	v_ashrrev_i32_e32 v4, 31, v4
	v_and_b32_e32 v1, exec_hi, v1
	v_xor_b32_e32 v6, s27, v4
	v_and_b32_e32 v2, exec_lo, v2
	v_xor_b32_e32 v4, s26, v4
	v_and_b32_e32 v1, v1, v6
	v_lshlrev_b32_e32 v6, 29, v28
	v_and_b32_e32 v2, v2, v4
	v_cmp_gt_i64_e64 s[26:27], 0, v[5:6]
	v_not_b32_e32 v4, v6
	v_ashrrev_i32_e32 v4, 31, v4
	v_xor_b32_e32 v6, s27, v4
	v_xor_b32_e32 v4, s26, v4
	v_and_b32_e32 v1, v1, v6
	v_lshlrev_b32_e32 v6, 28, v28
	v_and_b32_e32 v2, v2, v4
	v_cmp_gt_i64_e64 s[26:27], 0, v[5:6]
	v_not_b32_e32 v4, v6
	v_ashrrev_i32_e32 v4, 31, v4
	v_xor_b32_e32 v6, s27, v4
	;; [unrolled: 8-line block ×6, first 2 shown]
	v_xor_b32_e32 v29, s26, v2
	v_and_b32_e32 v2, v1, v6
	v_and_b32_e32 v1, v4, v29
	v_mbcnt_lo_u32_b32 v4, v1, 0
	v_mbcnt_hi_u32_b32 v6, v2, v4
	v_cmp_ne_u64_e64 s[26:27], 0, v[1:2]
	v_lshlrev_b32_sdwa v3, v11, v28 dst_sel:DWORD dst_unused:UNUSED_PAD src0_sel:DWORD src1_sel:BYTE_0
	v_cmp_eq_u32_e64 s[28:29], 0, v6
	s_and_b64 s[28:29], s[26:27], s[28:29]
	v_add_u32_e32 v29, v26, v3
	ds_write2_b64 v20, v[7:8], v[9:10] offset0:4 offset1:5
	s_waitcnt lgkmcnt(0)
	s_barrier
	; wave barrier
	s_and_saveexec_b64 s[26:27], s[28:29]
; %bb.3:                                ;   in Loop: Header=BB41_2 Depth=1
	v_bcnt_u32_b32 v1, v1, 0
	v_bcnt_u32_b32 v1, v2, v1
	ds_write_b32 v29, v1 offset:32
; %bb.4:                                ;   in Loop: Header=BB41_2 Depth=1
	s_or_b64 exec, exec, s[26:27]
	; wave barrier
	s_waitcnt lgkmcnt(0)
	s_barrier
	ds_read2_b64 v[1:4], v20 offset0:4 offset1:5
	s_waitcnt lgkmcnt(0)
	v_add_u32_e32 v30, v2, v1
	v_add3_u32 v4, v30, v3, v4
	s_nop 1
	v_mov_b32_dpp v30, v4 row_shr:1 row_mask:0xf bank_mask:0xf
	v_cndmask_b32_e64 v30, v30, 0, s[8:9]
	v_add_u32_e32 v4, v30, v4
	s_nop 1
	v_mov_b32_dpp v30, v4 row_shr:2 row_mask:0xf bank_mask:0xf
	v_cndmask_b32_e64 v30, 0, v30, s[10:11]
	v_add_u32_e32 v4, v4, v30
	;; [unrolled: 4-line block ×4, first 2 shown]
	s_nop 1
	v_mov_b32_dpp v30, v4 row_bcast:15 row_mask:0xf bank_mask:0xf
	v_cndmask_b32_e64 v30, v30, 0, s[16:17]
	v_add_u32_e32 v4, v4, v30
	s_nop 1
	v_mov_b32_dpp v30, v4 row_bcast:31 row_mask:0xf bank_mask:0xf
	v_cndmask_b32_e64 v30, 0, v30, s[6:7]
	v_add_u32_e32 v4, v4, v30
	s_and_saveexec_b64 s[26:27], s[18:19]
; %bb.5:                                ;   in Loop: Header=BB41_2 Depth=1
	ds_write_b32 v21, v4
; %bb.6:                                ;   in Loop: Header=BB41_2 Depth=1
	s_or_b64 exec, exec, s[26:27]
	s_waitcnt lgkmcnt(0)
	s_barrier
	s_and_saveexec_b64 s[26:27], vcc
	s_cbranch_execz .LBB41_8
; %bb.7:                                ;   in Loop: Header=BB41_2 Depth=1
	ds_read_b32 v30, v22
	s_waitcnt lgkmcnt(0)
	s_nop 0
	v_mov_b32_dpp v31, v30 row_shr:1 row_mask:0xf bank_mask:0xf
	v_cndmask_b32_e64 v31, v31, 0, s[20:21]
	v_add_u32_e32 v30, v31, v30
	s_nop 1
	v_mov_b32_dpp v31, v30 row_shr:2 row_mask:0xf bank_mask:0xf
	v_cndmask_b32_e64 v31, 0, v31, s[22:23]
	v_add_u32_e32 v30, v30, v31
	;; [unrolled: 4-line block ×3, first 2 shown]
	ds_write_b32 v22, v30
.LBB41_8:                               ;   in Loop: Header=BB41_2 Depth=1
	s_or_b64 exec, exec, s[26:27]
	v_mov_b32_e32 v30, 0
	s_waitcnt lgkmcnt(0)
	s_barrier
	s_and_saveexec_b64 s[26:27], s[0:1]
; %bb.9:                                ;   in Loop: Header=BB41_2 Depth=1
	ds_read_b32 v30, v24
; %bb.10:                               ;   in Loop: Header=BB41_2 Depth=1
	s_or_b64 exec, exec, s[26:27]
	s_waitcnt lgkmcnt(0)
	v_add_u32_e32 v4, v30, v4
	ds_bpermute_b32 v4, v25, v4
	s_waitcnt lgkmcnt(0)
	v_cndmask_b32_e64 v4, v4, v30, s[4:5]
	v_cndmask_b32_e64 v30, v4, 0, s[2:3]
	v_add_u32_e32 v31, v30, v1
	v_add_u32_e32 v1, v31, v2
	;; [unrolled: 1-line block ×3, first 2 shown]
	ds_write2_b64 v20, v[30:31], v[1:2] offset0:4 offset1:5
	s_waitcnt lgkmcnt(0)
	s_barrier
	ds_read_b32 v1, v29 offset:32
	v_lshlrev_b32_e32 v2, 2, v6
	s_waitcnt lgkmcnt(0)
	s_barrier
	v_lshl_add_u32 v1, v1, 2, v2
	ds_write_b32 v1, v28
	s_waitcnt lgkmcnt(0)
	s_barrier
	ds_read_b32 v28, v23
	s_waitcnt lgkmcnt(0)
	s_barrier
	ds_write_b32 v1, v27
	v_lshrrev_b32_e32 v1, 8, v28
	v_and_b32_e32 v2, 1, v1
	v_add_co_u32_e64 v4, s[26:27], -1, v2
	v_addc_co_u32_e64 v6, s[26:27], 0, -1, s[26:27]
	v_cmp_ne_u32_e64 s[26:27], 0, v2
	v_xor_b32_e32 v2, s27, v6
	v_lshlrev_b32_e32 v6, 30, v1
	v_xor_b32_e32 v4, s26, v4
	v_cmp_gt_i64_e64 s[26:27], 0, v[5:6]
	v_not_b32_e32 v6, v6
	v_ashrrev_i32_e32 v6, 31, v6
	v_and_b32_e32 v4, exec_lo, v4
	v_xor_b32_e32 v29, s27, v6
	v_xor_b32_e32 v6, s26, v6
	v_and_b32_e32 v4, v4, v6
	v_lshlrev_b32_e32 v6, 29, v1
	v_cmp_gt_i64_e64 s[26:27], 0, v[5:6]
	v_not_b32_e32 v6, v6
	v_and_b32_e32 v2, exec_hi, v2
	v_ashrrev_i32_e32 v6, 31, v6
	v_and_b32_e32 v2, v2, v29
	v_xor_b32_e32 v29, s27, v6
	v_xor_b32_e32 v6, s26, v6
	v_and_b32_e32 v4, v4, v6
	v_lshlrev_b32_e32 v6, 28, v1
	v_cmp_gt_i64_e64 s[26:27], 0, v[5:6]
	v_not_b32_e32 v6, v6
	v_ashrrev_i32_e32 v6, 31, v6
	v_and_b32_e32 v2, v2, v29
	v_xor_b32_e32 v29, s27, v6
	v_xor_b32_e32 v6, s26, v6
	v_and_b32_e32 v4, v4, v6
	v_lshlrev_b32_e32 v6, 27, v1
	v_cmp_gt_i64_e64 s[26:27], 0, v[5:6]
	v_not_b32_e32 v6, v6
	;; [unrolled: 8-line block ×4, first 2 shown]
	v_ashrrev_i32_e32 v6, 31, v6
	v_and_b32_e32 v2, v2, v29
	v_xor_b32_e32 v29, s27, v6
	v_xor_b32_e32 v6, s26, v6
	v_and_b32_e32 v4, v4, v6
	v_lshlrev_b32_e32 v6, 24, v1
	v_lshlrev_b32_sdwa v3, v11, v1 dst_sel:DWORD dst_unused:UNUSED_PAD src0_sel:DWORD src1_sel:BYTE_0
	v_cmp_gt_i64_e64 s[26:27], 0, v[5:6]
	v_not_b32_e32 v1, v6
	v_ashrrev_i32_e32 v1, 31, v1
	v_xor_b32_e32 v6, s27, v1
	v_xor_b32_e32 v1, s26, v1
	s_waitcnt lgkmcnt(0)
	s_barrier
	ds_read_b32 v27, v23
	v_and_b32_e32 v2, v2, v29
	v_and_b32_e32 v1, v4, v1
	;; [unrolled: 1-line block ×3, first 2 shown]
	v_mbcnt_lo_u32_b32 v4, v1, 0
	v_mbcnt_hi_u32_b32 v6, v2, v4
	v_cmp_ne_u64_e64 s[26:27], 0, v[1:2]
	v_cmp_eq_u32_e64 s[28:29], 0, v6
	s_and_b64 s[28:29], s[26:27], s[28:29]
	v_add_u32_e32 v29, v26, v3
	s_waitcnt lgkmcnt(0)
	s_barrier
	ds_write2_b64 v20, v[7:8], v[9:10] offset0:4 offset1:5
	s_waitcnt lgkmcnt(0)
	s_barrier
	; wave barrier
	s_and_saveexec_b64 s[26:27], s[28:29]
; %bb.11:                               ;   in Loop: Header=BB41_2 Depth=1
	v_bcnt_u32_b32 v1, v1, 0
	v_bcnt_u32_b32 v1, v2, v1
	ds_write_b32 v29, v1 offset:32
; %bb.12:                               ;   in Loop: Header=BB41_2 Depth=1
	s_or_b64 exec, exec, s[26:27]
	; wave barrier
	s_waitcnt lgkmcnt(0)
	s_barrier
	ds_read2_b64 v[1:4], v20 offset0:4 offset1:5
	s_waitcnt lgkmcnt(0)
	v_add_u32_e32 v30, v2, v1
	v_add3_u32 v4, v30, v3, v4
	s_nop 1
	v_mov_b32_dpp v30, v4 row_shr:1 row_mask:0xf bank_mask:0xf
	v_cndmask_b32_e64 v30, v30, 0, s[8:9]
	v_add_u32_e32 v4, v30, v4
	s_nop 1
	v_mov_b32_dpp v30, v4 row_shr:2 row_mask:0xf bank_mask:0xf
	v_cndmask_b32_e64 v30, 0, v30, s[10:11]
	v_add_u32_e32 v4, v4, v30
	;; [unrolled: 4-line block ×4, first 2 shown]
	s_nop 1
	v_mov_b32_dpp v30, v4 row_bcast:15 row_mask:0xf bank_mask:0xf
	v_cndmask_b32_e64 v30, v30, 0, s[16:17]
	v_add_u32_e32 v4, v4, v30
	s_nop 1
	v_mov_b32_dpp v30, v4 row_bcast:31 row_mask:0xf bank_mask:0xf
	v_cndmask_b32_e64 v30, 0, v30, s[6:7]
	v_add_u32_e32 v4, v4, v30
	s_and_saveexec_b64 s[26:27], s[18:19]
; %bb.13:                               ;   in Loop: Header=BB41_2 Depth=1
	ds_write_b32 v21, v4
; %bb.14:                               ;   in Loop: Header=BB41_2 Depth=1
	s_or_b64 exec, exec, s[26:27]
	s_waitcnt lgkmcnt(0)
	s_barrier
	s_and_saveexec_b64 s[26:27], vcc
	s_cbranch_execz .LBB41_16
; %bb.15:                               ;   in Loop: Header=BB41_2 Depth=1
	ds_read_b32 v30, v22
	s_waitcnt lgkmcnt(0)
	s_nop 0
	v_mov_b32_dpp v31, v30 row_shr:1 row_mask:0xf bank_mask:0xf
	v_cndmask_b32_e64 v31, v31, 0, s[20:21]
	v_add_u32_e32 v30, v31, v30
	s_nop 1
	v_mov_b32_dpp v31, v30 row_shr:2 row_mask:0xf bank_mask:0xf
	v_cndmask_b32_e64 v31, 0, v31, s[22:23]
	v_add_u32_e32 v30, v30, v31
	s_nop 1
	v_mov_b32_dpp v31, v30 row_shr:4 row_mask:0xf bank_mask:0xf
	v_cndmask_b32_e64 v31, 0, v31, s[24:25]
	v_add_u32_e32 v30, v30, v31
	ds_write_b32 v22, v30
.LBB41_16:                              ;   in Loop: Header=BB41_2 Depth=1
	s_or_b64 exec, exec, s[26:27]
	v_mov_b32_e32 v30, 0
	s_waitcnt lgkmcnt(0)
	s_barrier
	s_and_saveexec_b64 s[26:27], s[0:1]
; %bb.17:                               ;   in Loop: Header=BB41_2 Depth=1
	ds_read_b32 v30, v24
; %bb.18:                               ;   in Loop: Header=BB41_2 Depth=1
	s_or_b64 exec, exec, s[26:27]
	s_waitcnt lgkmcnt(0)
	v_add_u32_e32 v4, v30, v4
	ds_bpermute_b32 v4, v25, v4
	s_waitcnt lgkmcnt(0)
	v_cndmask_b32_e64 v4, v4, v30, s[4:5]
	v_cndmask_b32_e64 v30, v4, 0, s[2:3]
	v_add_u32_e32 v31, v30, v1
	v_add_u32_e32 v1, v31, v2
	;; [unrolled: 1-line block ×3, first 2 shown]
	ds_write2_b64 v20, v[30:31], v[1:2] offset0:4 offset1:5
	s_waitcnt lgkmcnt(0)
	s_barrier
	ds_read_b32 v1, v29 offset:32
	v_lshlrev_b32_e32 v2, 2, v6
	s_waitcnt lgkmcnt(0)
	s_barrier
	v_lshl_add_u32 v1, v1, 2, v2
	ds_write_b32 v1, v28
	s_waitcnt lgkmcnt(0)
	s_barrier
	ds_read_b32 v28, v23
	s_waitcnt lgkmcnt(0)
	s_barrier
	ds_write_b32 v1, v27
	v_and_b32_sdwa v1, v28, s40 dst_sel:DWORD dst_unused:UNUSED_PAD src0_sel:WORD_1 src1_sel:DWORD
	v_lshlrev_b32_e32 v3, 5, v1
	v_and_b32_sdwa v1, v28, v12 dst_sel:DWORD dst_unused:UNUSED_PAD src0_sel:WORD_1 src1_sel:DWORD
	v_add_co_u32_e64 v2, s[26:27], -1, v1
	v_addc_co_u32_e64 v4, s[26:27], 0, -1, s[26:27]
	v_cmp_ne_u32_e64 s[26:27], 0, v1
	v_lshlrev_b32_sdwa v6, v13, v28 dst_sel:DWORD dst_unused:UNUSED_PAD src0_sel:DWORD src1_sel:WORD_1
	v_xor_b32_e32 v1, s27, v4
	v_xor_b32_e32 v2, s26, v2
	v_cmp_gt_i64_e64 s[26:27], 0, v[5:6]
	v_not_b32_e32 v4, v6
	v_ashrrev_i32_e32 v4, 31, v4
	v_and_b32_e32 v1, exec_hi, v1
	v_xor_b32_e32 v6, s27, v4
	v_and_b32_e32 v2, exec_lo, v2
	v_xor_b32_e32 v4, s26, v4
	v_and_b32_e32 v1, v1, v6
	v_lshlrev_b32_sdwa v6, v14, v28 dst_sel:DWORD dst_unused:UNUSED_PAD src0_sel:DWORD src1_sel:WORD_1
	v_and_b32_e32 v2, v2, v4
	v_cmp_gt_i64_e64 s[26:27], 0, v[5:6]
	v_not_b32_e32 v4, v6
	v_ashrrev_i32_e32 v4, 31, v4
	v_xor_b32_e32 v6, s27, v4
	v_xor_b32_e32 v4, s26, v4
	v_and_b32_e32 v1, v1, v6
	v_lshlrev_b32_sdwa v6, v15, v28 dst_sel:DWORD dst_unused:UNUSED_PAD src0_sel:DWORD src1_sel:WORD_1
	v_and_b32_e32 v2, v2, v4
	v_cmp_gt_i64_e64 s[26:27], 0, v[5:6]
	v_not_b32_e32 v4, v6
	v_ashrrev_i32_e32 v4, 31, v4
	v_xor_b32_e32 v6, s27, v4
	;; [unrolled: 8-line block ×6, first 2 shown]
	v_xor_b32_e32 v27, s26, v2
	s_waitcnt lgkmcnt(0)
	s_barrier
	ds_read_b32 v29, v23
	v_and_b32_e32 v2, v1, v6
	v_and_b32_e32 v1, v4, v27
	v_mbcnt_lo_u32_b32 v4, v1, 0
	v_mbcnt_hi_u32_b32 v6, v2, v4
	v_cmp_ne_u64_e64 s[26:27], 0, v[1:2]
	v_cmp_eq_u32_e64 s[28:29], 0, v6
	s_and_b64 s[28:29], s[26:27], s[28:29]
	v_add_u32_e32 v27, v26, v3
	s_waitcnt lgkmcnt(0)
	s_barrier
	ds_write2_b64 v20, v[7:8], v[9:10] offset0:4 offset1:5
	s_waitcnt lgkmcnt(0)
	s_barrier
	; wave barrier
	s_and_saveexec_b64 s[26:27], s[28:29]
; %bb.19:                               ;   in Loop: Header=BB41_2 Depth=1
	v_bcnt_u32_b32 v1, v1, 0
	v_bcnt_u32_b32 v1, v2, v1
	ds_write_b32 v27, v1 offset:32
; %bb.20:                               ;   in Loop: Header=BB41_2 Depth=1
	s_or_b64 exec, exec, s[26:27]
	; wave barrier
	s_waitcnt lgkmcnt(0)
	s_barrier
	ds_read2_b64 v[1:4], v20 offset0:4 offset1:5
	s_waitcnt lgkmcnt(0)
	v_add_u32_e32 v30, v2, v1
	v_add3_u32 v4, v30, v3, v4
	s_nop 1
	v_mov_b32_dpp v30, v4 row_shr:1 row_mask:0xf bank_mask:0xf
	v_cndmask_b32_e64 v30, v30, 0, s[8:9]
	v_add_u32_e32 v4, v30, v4
	s_nop 1
	v_mov_b32_dpp v30, v4 row_shr:2 row_mask:0xf bank_mask:0xf
	v_cndmask_b32_e64 v30, 0, v30, s[10:11]
	v_add_u32_e32 v4, v4, v30
	;; [unrolled: 4-line block ×4, first 2 shown]
	s_nop 1
	v_mov_b32_dpp v30, v4 row_bcast:15 row_mask:0xf bank_mask:0xf
	v_cndmask_b32_e64 v30, v30, 0, s[16:17]
	v_add_u32_e32 v4, v4, v30
	s_nop 1
	v_mov_b32_dpp v30, v4 row_bcast:31 row_mask:0xf bank_mask:0xf
	v_cndmask_b32_e64 v30, 0, v30, s[6:7]
	v_add_u32_e32 v4, v4, v30
	s_and_saveexec_b64 s[26:27], s[18:19]
; %bb.21:                               ;   in Loop: Header=BB41_2 Depth=1
	ds_write_b32 v21, v4
; %bb.22:                               ;   in Loop: Header=BB41_2 Depth=1
	s_or_b64 exec, exec, s[26:27]
	s_waitcnt lgkmcnt(0)
	s_barrier
	s_and_saveexec_b64 s[26:27], vcc
	s_cbranch_execz .LBB41_24
; %bb.23:                               ;   in Loop: Header=BB41_2 Depth=1
	ds_read_b32 v30, v22
	s_waitcnt lgkmcnt(0)
	s_nop 0
	v_mov_b32_dpp v31, v30 row_shr:1 row_mask:0xf bank_mask:0xf
	v_cndmask_b32_e64 v31, v31, 0, s[20:21]
	v_add_u32_e32 v30, v31, v30
	s_nop 1
	v_mov_b32_dpp v31, v30 row_shr:2 row_mask:0xf bank_mask:0xf
	v_cndmask_b32_e64 v31, 0, v31, s[22:23]
	v_add_u32_e32 v30, v30, v31
	;; [unrolled: 4-line block ×3, first 2 shown]
	ds_write_b32 v22, v30
.LBB41_24:                              ;   in Loop: Header=BB41_2 Depth=1
	s_or_b64 exec, exec, s[26:27]
	v_mov_b32_e32 v30, 0
	s_waitcnt lgkmcnt(0)
	s_barrier
	s_and_saveexec_b64 s[26:27], s[0:1]
; %bb.25:                               ;   in Loop: Header=BB41_2 Depth=1
	ds_read_b32 v30, v24
; %bb.26:                               ;   in Loop: Header=BB41_2 Depth=1
	s_or_b64 exec, exec, s[26:27]
	s_waitcnt lgkmcnt(0)
	v_add_u32_e32 v4, v30, v4
	ds_bpermute_b32 v4, v25, v4
	s_waitcnt lgkmcnt(0)
	v_cndmask_b32_e64 v4, v4, v30, s[4:5]
	v_cndmask_b32_e64 v30, v4, 0, s[2:3]
	v_add_u32_e32 v31, v30, v1
	v_add_u32_e32 v1, v31, v2
	;; [unrolled: 1-line block ×3, first 2 shown]
	ds_write2_b64 v20, v[30:31], v[1:2] offset0:4 offset1:5
	s_waitcnt lgkmcnt(0)
	s_barrier
	ds_read_b32 v1, v27 offset:32
	v_lshlrev_b32_e32 v2, 2, v6
	s_waitcnt lgkmcnt(0)
	s_barrier
	v_lshl_add_u32 v1, v1, 2, v2
	ds_write_b32 v1, v28
	s_waitcnt lgkmcnt(0)
	s_barrier
	ds_read_b32 v27, v23
	s_waitcnt lgkmcnt(0)
	s_barrier
	ds_write_b32 v1, v29
	v_mov_b32_e32 v1, s36
	v_mov_b32_e32 v3, s38
	;; [unrolled: 1-line block ×4, first 2 shown]
	s_waitcnt lgkmcnt(0)
	s_barrier
	ds_read_b32 v29, v23
	s_waitcnt lgkmcnt(0)
	s_barrier
	ds_write2_b64 v20, v[1:2], v[3:4] offset0:4 offset1:5
	v_and_b32_sdwa v1, v27, v12 dst_sel:DWORD dst_unused:UNUSED_PAD src0_sel:BYTE_3 src1_sel:DWORD
	v_add_co_u32_e64 v2, s[26:27], -1, v1
	v_addc_co_u32_e64 v4, s[26:27], 0, -1, s[26:27]
	v_cmp_ne_u32_e64 s[26:27], 0, v1
	v_lshlrev_b32_sdwa v6, v13, v27 dst_sel:DWORD dst_unused:UNUSED_PAD src0_sel:DWORD src1_sel:BYTE_3
	v_xor_b32_e32 v1, s27, v4
	v_xor_b32_e32 v2, s26, v2
	v_cmp_gt_i64_e64 s[26:27], 0, v[5:6]
	v_not_b32_e32 v4, v6
	v_ashrrev_i32_e32 v4, 31, v4
	v_and_b32_e32 v1, exec_hi, v1
	v_xor_b32_e32 v6, s27, v4
	v_and_b32_e32 v2, exec_lo, v2
	v_xor_b32_e32 v4, s26, v4
	v_and_b32_e32 v1, v1, v6
	v_lshlrev_b32_sdwa v6, v14, v27 dst_sel:DWORD dst_unused:UNUSED_PAD src0_sel:DWORD src1_sel:BYTE_3
	v_and_b32_e32 v2, v2, v4
	v_cmp_gt_i64_e64 s[26:27], 0, v[5:6]
	v_not_b32_e32 v4, v6
	v_ashrrev_i32_e32 v4, 31, v4
	v_xor_b32_e32 v6, s27, v4
	v_xor_b32_e32 v4, s26, v4
	v_and_b32_e32 v1, v1, v6
	v_lshlrev_b32_sdwa v6, v15, v27 dst_sel:DWORD dst_unused:UNUSED_PAD src0_sel:DWORD src1_sel:BYTE_3
	v_and_b32_e32 v2, v2, v4
	v_cmp_gt_i64_e64 s[26:27], 0, v[5:6]
	v_not_b32_e32 v4, v6
	v_ashrrev_i32_e32 v4, 31, v4
	v_xor_b32_e32 v6, s27, v4
	;; [unrolled: 8-line block ×6, first 2 shown]
	v_xor_b32_e32 v28, s26, v2
	v_and_b32_e32 v2, v1, v6
	v_and_b32_e32 v1, v4, v28
	v_mbcnt_lo_u32_b32 v4, v1, 0
	v_mbcnt_hi_u32_b32 v6, v2, v4
	v_cmp_ne_u64_e64 s[26:27], 0, v[1:2]
	v_lshlrev_b32_sdwa v3, v11, v27 dst_sel:DWORD dst_unused:UNUSED_PAD src0_sel:DWORD src1_sel:BYTE_3
	v_cmp_eq_u32_e64 s[28:29], 0, v6
	s_and_b64 s[28:29], s[26:27], s[28:29]
	v_add_u32_e32 v28, v26, v3
	s_waitcnt lgkmcnt(0)
	s_barrier
	; wave barrier
	s_and_saveexec_b64 s[26:27], s[28:29]
; %bb.27:                               ;   in Loop: Header=BB41_2 Depth=1
	v_bcnt_u32_b32 v1, v1, 0
	v_bcnt_u32_b32 v1, v2, v1
	ds_write_b32 v28, v1 offset:32
; %bb.28:                               ;   in Loop: Header=BB41_2 Depth=1
	s_or_b64 exec, exec, s[26:27]
	; wave barrier
	s_waitcnt lgkmcnt(0)
	s_barrier
	ds_read2_b64 v[1:4], v20 offset0:4 offset1:5
	s_waitcnt lgkmcnt(0)
	v_add_u32_e32 v30, v2, v1
	v_add3_u32 v4, v30, v3, v4
	s_nop 1
	v_mov_b32_dpp v30, v4 row_shr:1 row_mask:0xf bank_mask:0xf
	v_cndmask_b32_e64 v30, v30, 0, s[8:9]
	v_add_u32_e32 v4, v30, v4
	s_nop 1
	v_mov_b32_dpp v30, v4 row_shr:2 row_mask:0xf bank_mask:0xf
	v_cndmask_b32_e64 v30, 0, v30, s[10:11]
	v_add_u32_e32 v4, v4, v30
	;; [unrolled: 4-line block ×4, first 2 shown]
	s_nop 1
	v_mov_b32_dpp v30, v4 row_bcast:15 row_mask:0xf bank_mask:0xf
	v_cndmask_b32_e64 v30, v30, 0, s[16:17]
	v_add_u32_e32 v4, v4, v30
	s_nop 1
	v_mov_b32_dpp v30, v4 row_bcast:31 row_mask:0xf bank_mask:0xf
	v_cndmask_b32_e64 v30, 0, v30, s[6:7]
	v_add_u32_e32 v4, v4, v30
	s_and_saveexec_b64 s[26:27], s[18:19]
; %bb.29:                               ;   in Loop: Header=BB41_2 Depth=1
	ds_write_b32 v21, v4
; %bb.30:                               ;   in Loop: Header=BB41_2 Depth=1
	s_or_b64 exec, exec, s[26:27]
	s_waitcnt lgkmcnt(0)
	s_barrier
	s_and_saveexec_b64 s[26:27], vcc
	s_cbranch_execz .LBB41_32
; %bb.31:                               ;   in Loop: Header=BB41_2 Depth=1
	ds_read_b32 v30, v22
	s_waitcnt lgkmcnt(0)
	s_nop 0
	v_mov_b32_dpp v31, v30 row_shr:1 row_mask:0xf bank_mask:0xf
	v_cndmask_b32_e64 v31, v31, 0, s[20:21]
	v_add_u32_e32 v30, v31, v30
	s_nop 1
	v_mov_b32_dpp v31, v30 row_shr:2 row_mask:0xf bank_mask:0xf
	v_cndmask_b32_e64 v31, 0, v31, s[22:23]
	v_add_u32_e32 v30, v30, v31
	;; [unrolled: 4-line block ×3, first 2 shown]
	ds_write_b32 v22, v30
.LBB41_32:                              ;   in Loop: Header=BB41_2 Depth=1
	s_or_b64 exec, exec, s[26:27]
	v_mov_b32_e32 v30, 0
	s_waitcnt lgkmcnt(0)
	s_barrier
	s_and_saveexec_b64 s[26:27], s[0:1]
	s_cbranch_execz .LBB41_1
; %bb.33:                               ;   in Loop: Header=BB41_2 Depth=1
	ds_read_b32 v30, v24
	s_branch .LBB41_1
.LBB41_34:
	s_brev_b32 s0, 1
	s_waitcnt lgkmcnt(0)
	v_add3_u32 v1, v27, v28, s0
	s_add_u32 s0, s30, s34
	s_addc_u32 s1, s31, s35
	v_lshlrev_b32_e32 v0, 2, v0
	global_store_dword v0, v1, s[0:1]
	s_endpgm
	.section	.rodata,"a",@progbits
	.p2align	6, 0x0
	.amdhsa_kernel _Z17sort_pairs_kernelI22helper_blocked_blockediLj512ELj1ELj10EEvPKT0_PS1_
		.amdhsa_group_segment_fixed_size 8224
		.amdhsa_private_segment_fixed_size 0
		.amdhsa_kernarg_size 272
		.amdhsa_user_sgpr_count 6
		.amdhsa_user_sgpr_private_segment_buffer 1
		.amdhsa_user_sgpr_dispatch_ptr 0
		.amdhsa_user_sgpr_queue_ptr 0
		.amdhsa_user_sgpr_kernarg_segment_ptr 1
		.amdhsa_user_sgpr_dispatch_id 0
		.amdhsa_user_sgpr_flat_scratch_init 0
		.amdhsa_user_sgpr_private_segment_size 0
		.amdhsa_uses_dynamic_stack 0
		.amdhsa_system_sgpr_private_segment_wavefront_offset 0
		.amdhsa_system_sgpr_workgroup_id_x 1
		.amdhsa_system_sgpr_workgroup_id_y 0
		.amdhsa_system_sgpr_workgroup_id_z 0
		.amdhsa_system_sgpr_workgroup_info 0
		.amdhsa_system_vgpr_workitem_id 2
		.amdhsa_next_free_vgpr 32
		.amdhsa_next_free_sgpr 42
		.amdhsa_reserve_vcc 1
		.amdhsa_reserve_flat_scratch 0
		.amdhsa_float_round_mode_32 0
		.amdhsa_float_round_mode_16_64 0
		.amdhsa_float_denorm_mode_32 3
		.amdhsa_float_denorm_mode_16_64 3
		.amdhsa_dx10_clamp 1
		.amdhsa_ieee_mode 1
		.amdhsa_fp16_overflow 0
		.amdhsa_exception_fp_ieee_invalid_op 0
		.amdhsa_exception_fp_denorm_src 0
		.amdhsa_exception_fp_ieee_div_zero 0
		.amdhsa_exception_fp_ieee_overflow 0
		.amdhsa_exception_fp_ieee_underflow 0
		.amdhsa_exception_fp_ieee_inexact 0
		.amdhsa_exception_int_div_zero 0
	.end_amdhsa_kernel
	.section	.text._Z17sort_pairs_kernelI22helper_blocked_blockediLj512ELj1ELj10EEvPKT0_PS1_,"axG",@progbits,_Z17sort_pairs_kernelI22helper_blocked_blockediLj512ELj1ELj10EEvPKT0_PS1_,comdat
.Lfunc_end41:
	.size	_Z17sort_pairs_kernelI22helper_blocked_blockediLj512ELj1ELj10EEvPKT0_PS1_, .Lfunc_end41-_Z17sort_pairs_kernelI22helper_blocked_blockediLj512ELj1ELj10EEvPKT0_PS1_
                                        ; -- End function
	.set _Z17sort_pairs_kernelI22helper_blocked_blockediLj512ELj1ELj10EEvPKT0_PS1_.num_vgpr, 32
	.set _Z17sort_pairs_kernelI22helper_blocked_blockediLj512ELj1ELj10EEvPKT0_PS1_.num_agpr, 0
	.set _Z17sort_pairs_kernelI22helper_blocked_blockediLj512ELj1ELj10EEvPKT0_PS1_.numbered_sgpr, 42
	.set _Z17sort_pairs_kernelI22helper_blocked_blockediLj512ELj1ELj10EEvPKT0_PS1_.num_named_barrier, 0
	.set _Z17sort_pairs_kernelI22helper_blocked_blockediLj512ELj1ELj10EEvPKT0_PS1_.private_seg_size, 0
	.set _Z17sort_pairs_kernelI22helper_blocked_blockediLj512ELj1ELj10EEvPKT0_PS1_.uses_vcc, 1
	.set _Z17sort_pairs_kernelI22helper_blocked_blockediLj512ELj1ELj10EEvPKT0_PS1_.uses_flat_scratch, 0
	.set _Z17sort_pairs_kernelI22helper_blocked_blockediLj512ELj1ELj10EEvPKT0_PS1_.has_dyn_sized_stack, 0
	.set _Z17sort_pairs_kernelI22helper_blocked_blockediLj512ELj1ELj10EEvPKT0_PS1_.has_recursion, 0
	.set _Z17sort_pairs_kernelI22helper_blocked_blockediLj512ELj1ELj10EEvPKT0_PS1_.has_indirect_call, 0
	.section	.AMDGPU.csdata,"",@progbits
; Kernel info:
; codeLenInByte = 4056
; TotalNumSgprs: 46
; NumVgprs: 32
; ScratchSize: 0
; MemoryBound: 0
; FloatMode: 240
; IeeeMode: 1
; LDSByteSize: 8224 bytes/workgroup (compile time only)
; SGPRBlocks: 5
; VGPRBlocks: 7
; NumSGPRsForWavesPerEU: 46
; NumVGPRsForWavesPerEU: 32
; Occupancy: 8
; WaveLimiterHint : 0
; COMPUTE_PGM_RSRC2:SCRATCH_EN: 0
; COMPUTE_PGM_RSRC2:USER_SGPR: 6
; COMPUTE_PGM_RSRC2:TRAP_HANDLER: 0
; COMPUTE_PGM_RSRC2:TGID_X_EN: 1
; COMPUTE_PGM_RSRC2:TGID_Y_EN: 0
; COMPUTE_PGM_RSRC2:TGID_Z_EN: 0
; COMPUTE_PGM_RSRC2:TIDIG_COMP_CNT: 2
	.section	.text._Z16sort_keys_kernelI22helper_blocked_blockediLj512ELj3ELj10EEvPKT0_PS1_,"axG",@progbits,_Z16sort_keys_kernelI22helper_blocked_blockediLj512ELj3ELj10EEvPKT0_PS1_,comdat
	.protected	_Z16sort_keys_kernelI22helper_blocked_blockediLj512ELj3ELj10EEvPKT0_PS1_ ; -- Begin function _Z16sort_keys_kernelI22helper_blocked_blockediLj512ELj3ELj10EEvPKT0_PS1_
	.globl	_Z16sort_keys_kernelI22helper_blocked_blockediLj512ELj3ELj10EEvPKT0_PS1_
	.p2align	8
	.type	_Z16sort_keys_kernelI22helper_blocked_blockediLj512ELj3ELj10EEvPKT0_PS1_,@function
_Z16sort_keys_kernelI22helper_blocked_blockediLj512ELj3ELj10EEvPKT0_PS1_: ; @_Z16sort_keys_kernelI22helper_blocked_blockediLj512ELj3ELj10EEvPKT0_PS1_
; %bb.0:
	s_load_dwordx4 s[28:31], s[4:5], 0x0
	s_load_dword s2, s[4:5], 0x1c
	s_mul_i32 s34, s6, 0x600
	s_mov_b32 s35, 0
	s_lshl_b64 s[36:37], s[34:35], 2
	s_waitcnt lgkmcnt(0)
	s_add_u32 s0, s28, s36
	s_addc_u32 s1, s29, s37
	v_lshlrev_b32_e32 v5, 2, v0
	v_mov_b32_e32 v3, s1
	v_add_co_u32_e32 v4, vcc, s0, v5
	v_addc_co_u32_e32 v3, vcc, 0, v3, vcc
	s_movk_i32 s3, 0x1000
	v_add_co_u32_e32 v7, vcc, s3, v4
	v_addc_co_u32_e32 v8, vcc, 0, v3, vcc
	global_load_dword v4, v5, s[0:1]
	global_load_dword v6, v5, s[0:1] offset:2048
	global_load_dword v3, v[7:8], off
	s_lshr_b32 s0, s2, 16
	v_mbcnt_lo_u32_b32 v7, -1, 0
	s_and_b32 s1, s2, 0xffff
	v_mad_u32_u24 v1, v2, s0, v1
	v_mbcnt_hi_u32_b32 v7, -1, v7
	v_mad_u64_u32 v[1:2], s[0:1], v1, s1, v[0:1]
	v_lshrrev_b32_e32 v8, 6, v0
	v_and_b32_e32 v2, 15, v7
	v_mul_u32_u24_e32 v9, 0xc0, v8
	v_cmp_eq_u32_e64 s[0:1], 0, v2
	v_cmp_lt_u32_e64 s[2:3], 1, v2
	v_cmp_lt_u32_e64 s[4:5], 3, v2
	;; [unrolled: 1-line block ×3, first 2 shown]
	v_and_b32_e32 v2, 16, v7
	v_lshlrev_b32_e32 v9, 2, v9
	v_lshlrev_b32_e32 v10, 2, v7
	v_cmp_eq_u32_e64 s[8:9], 0, v2
	v_and_b32_e32 v2, 0x1c0, v0
	v_mad_u32_u24 v11, v7, 12, v9
	v_add_u32_e32 v12, v10, v9
	v_or_b32_e32 v9, 63, v2
	v_cmp_eq_u32_e64 s[12:13], v0, v9
	v_subrev_co_u32_e64 v9, s[18:19], 1, v7
	v_and_b32_e32 v14, 64, v7
	v_cmp_lt_i32_e32 vcc, v9, v14
	v_lshlrev_b32_e32 v13, 4, v0
	v_cmp_lt_u32_e64 s[10:11], 31, v7
	v_cndmask_b32_e32 v9, v9, v7, vcc
	v_and_b32_e32 v7, 7, v7
	v_mul_u32_u24_e32 v2, 12, v2
	v_lshrrev_b32_e32 v1, 4, v1
	s_mov_b32 s34, s35
	s_mov_b32 s28, s35
	v_lshlrev_b32_e32 v14, 2, v9
	v_lshlrev_b32_e32 v15, 2, v8
	v_mad_i32_i24 v16, v0, -12, v13
	v_cmp_eq_u32_e64 s[22:23], 0, v7
	v_cmp_lt_u32_e64 s[24:25], 1, v7
	v_cmp_lt_u32_e64 s[26:27], 3, v7
	v_and_b32_e32 v18, 0xffffffc, v1
	v_lshlrev_b32_e32 v1, 3, v0
	s_mov_b32 s29, s35
	v_mov_b32_e32 v7, s34
	v_add_u32_e32 v19, v10, v2
	v_mov_b32_e32 v9, s28
	v_mov_b32_e32 v5, 0
	v_cmp_gt_u32_e64 s[14:15], 8, v0
	v_cmp_lt_u32_e64 s[16:17], 63, v0
	v_cmp_eq_u32_e64 s[20:21], 0, v0
	v_add_u32_e32 v17, -4, v15
	v_mov_b32_e32 v8, s35
	v_add_u32_e32 v20, v16, v1
	v_mov_b32_e32 v21, 5
	v_mov_b32_e32 v10, s29
	s_branch .LBB42_2
.LBB42_1:                               ;   in Loop: Header=BB42_2 Depth=1
	v_lshlrev_b32_e32 v1, 2, v26
	s_barrier
	ds_write_b32 v1, v25
	v_lshlrev_b32_e32 v1, 2, v4
	ds_write_b32 v1, v23
	v_lshlrev_b32_e32 v1, 2, v3
	ds_write_b32 v1, v22
	s_waitcnt lgkmcnt(0)
	s_barrier
	ds_read2_b32 v[1:2], v20 offset1:1
	ds_read_b32 v3, v20 offset:8
	s_add_i32 s35, s35, 1
	s_cmp_eq_u32 s35, 10
	s_waitcnt lgkmcnt(1)
	v_xor_b32_e32 v4, 0x80000000, v1
	v_xor_b32_e32 v6, 0x80000000, v2
	s_waitcnt lgkmcnt(0)
	v_xor_b32_e32 v3, 0x80000000, v3
	s_cbranch_scc1 .LBB42_18
.LBB42_2:                               ; =>This Loop Header: Depth=1
                                        ;     Child Loop BB42_4 Depth 2
	s_waitcnt vmcnt(2)
	v_xor_b32_e32 v1, 0x80000000, v4
	s_waitcnt vmcnt(1)
	v_xor_b32_e32 v2, 0x80000000, v6
	;; [unrolled: 2-line block ×3, first 2 shown]
	ds_write2_b32 v11, v1, v2 offset1:1
	ds_write_b32 v11, v3 offset:8
	; wave barrier
	ds_read2st64_b32 v[1:2], v12 offset1:1
	ds_read_b32 v6, v12 offset:512
	v_mov_b32_e32 v24, v5
	s_waitcnt lgkmcnt(0)
	s_barrier
	; wave barrier
	s_barrier
	s_branch .LBB42_4
.LBB42_3:                               ;   in Loop: Header=BB42_4 Depth=2
	s_andn2_b64 vcc, exec, s[28:29]
	s_cbranch_vccz .LBB42_1
.LBB42_4:                               ;   Parent Loop BB42_2 Depth=1
                                        ; =>  This Inner Loop Header: Depth=2
	v_mov_b32_e32 v25, v1
	v_lshrrev_b32_e32 v1, v24, v25
	v_mov_b32_e32 v23, v2
	v_and_b32_e32 v2, 1, v1
	v_add_co_u32_e32 v4, vcc, -1, v2
	v_mov_b32_e32 v22, v6
	v_addc_co_u32_e64 v6, s[28:29], 0, -1, vcc
	v_cmp_ne_u32_e32 vcc, 0, v2
	v_xor_b32_e32 v2, vcc_hi, v6
	v_lshlrev_b32_e32 v6, 30, v1
	v_xor_b32_e32 v4, vcc_lo, v4
	v_cmp_gt_i64_e32 vcc, 0, v[5:6]
	v_not_b32_e32 v6, v6
	v_ashrrev_i32_e32 v6, 31, v6
	v_and_b32_e32 v4, exec_lo, v4
	v_xor_b32_e32 v26, vcc_hi, v6
	v_xor_b32_e32 v6, vcc_lo, v6
	v_and_b32_e32 v4, v4, v6
	v_lshlrev_b32_e32 v6, 29, v1
	v_cmp_gt_i64_e32 vcc, 0, v[5:6]
	v_not_b32_e32 v6, v6
	v_and_b32_e32 v2, exec_hi, v2
	v_ashrrev_i32_e32 v6, 31, v6
	v_and_b32_e32 v2, v2, v26
	v_xor_b32_e32 v26, vcc_hi, v6
	v_xor_b32_e32 v6, vcc_lo, v6
	v_and_b32_e32 v4, v4, v6
	v_lshlrev_b32_e32 v6, 28, v1
	v_cmp_gt_i64_e32 vcc, 0, v[5:6]
	v_not_b32_e32 v6, v6
	v_ashrrev_i32_e32 v6, 31, v6
	v_and_b32_e32 v2, v2, v26
	v_xor_b32_e32 v26, vcc_hi, v6
	v_xor_b32_e32 v6, vcc_lo, v6
	v_and_b32_e32 v4, v4, v6
	v_lshlrev_b32_e32 v6, 27, v1
	v_cmp_gt_i64_e32 vcc, 0, v[5:6]
	v_not_b32_e32 v6, v6
	;; [unrolled: 8-line block ×4, first 2 shown]
	v_ashrrev_i32_e32 v6, 31, v6
	v_and_b32_e32 v2, v2, v26
	v_xor_b32_e32 v26, vcc_hi, v6
	v_xor_b32_e32 v6, vcc_lo, v6
	v_and_b32_e32 v4, v4, v6
	v_lshlrev_b32_e32 v6, 24, v1
	v_lshlrev_b32_sdwa v3, v21, v1 dst_sel:DWORD dst_unused:UNUSED_PAD src0_sel:DWORD src1_sel:BYTE_0
	v_cmp_gt_i64_e32 vcc, 0, v[5:6]
	v_not_b32_e32 v1, v6
	v_ashrrev_i32_e32 v1, 31, v1
	v_xor_b32_e32 v6, vcc_hi, v1
	v_xor_b32_e32 v1, vcc_lo, v1
	v_and_b32_e32 v2, v2, v26
	v_and_b32_e32 v1, v4, v1
	;; [unrolled: 1-line block ×3, first 2 shown]
	v_mbcnt_lo_u32_b32 v4, v1, 0
	v_mbcnt_hi_u32_b32 v26, v2, v4
	v_cmp_ne_u64_e32 vcc, 0, v[1:2]
	v_cmp_eq_u32_e64 s[28:29], 0, v26
	s_and_b64 s[38:39], vcc, s[28:29]
	v_add_u32_e32 v27, v18, v3
	ds_write2_b64 v13, v[7:8], v[9:10] offset0:4 offset1:5
	s_waitcnt lgkmcnt(0)
	s_barrier
	; wave barrier
	s_and_saveexec_b64 s[28:29], s[38:39]
; %bb.5:                                ;   in Loop: Header=BB42_4 Depth=2
	v_bcnt_u32_b32 v1, v1, 0
	v_bcnt_u32_b32 v1, v2, v1
	ds_write_b32 v27, v1 offset:32
; %bb.6:                                ;   in Loop: Header=BB42_4 Depth=2
	s_or_b64 exec, exec, s[28:29]
	v_lshrrev_b32_e32 v1, v24, v23
	v_lshlrev_b32_sdwa v2, v21, v1 dst_sel:DWORD dst_unused:UNUSED_PAD src0_sel:DWORD src1_sel:BYTE_0
	v_add_u32_e32 v29, v18, v2
	v_and_b32_e32 v2, 1, v1
	v_add_co_u32_e32 v3, vcc, -1, v2
	v_addc_co_u32_e64 v4, s[28:29], 0, -1, vcc
	v_cmp_ne_u32_e32 vcc, 0, v2
	v_lshlrev_b32_e32 v6, 30, v1
	v_xor_b32_e32 v2, vcc_hi, v4
	v_xor_b32_e32 v3, vcc_lo, v3
	v_cmp_gt_i64_e32 vcc, 0, v[5:6]
	v_not_b32_e32 v4, v6
	v_ashrrev_i32_e32 v4, 31, v4
	v_and_b32_e32 v2, exec_hi, v2
	v_xor_b32_e32 v6, vcc_hi, v4
	v_and_b32_e32 v3, exec_lo, v3
	v_xor_b32_e32 v4, vcc_lo, v4
	v_and_b32_e32 v2, v2, v6
	v_lshlrev_b32_e32 v6, 29, v1
	v_and_b32_e32 v3, v3, v4
	v_cmp_gt_i64_e32 vcc, 0, v[5:6]
	v_not_b32_e32 v4, v6
	v_ashrrev_i32_e32 v4, 31, v4
	v_xor_b32_e32 v6, vcc_hi, v4
	v_xor_b32_e32 v4, vcc_lo, v4
	v_and_b32_e32 v2, v2, v6
	v_lshlrev_b32_e32 v6, 28, v1
	v_and_b32_e32 v3, v3, v4
	v_cmp_gt_i64_e32 vcc, 0, v[5:6]
	v_not_b32_e32 v4, v6
	v_ashrrev_i32_e32 v4, 31, v4
	v_xor_b32_e32 v6, vcc_hi, v4
	;; [unrolled: 8-line block ×5, first 2 shown]
	v_and_b32_e32 v2, v2, v6
	v_lshlrev_b32_e32 v6, 24, v1
	v_xor_b32_e32 v4, vcc_lo, v4
	v_cmp_gt_i64_e32 vcc, 0, v[5:6]
	v_not_b32_e32 v1, v6
	v_ashrrev_i32_e32 v1, 31, v1
	v_and_b32_e32 v3, v3, v4
	v_xor_b32_e32 v4, vcc_hi, v1
	v_xor_b32_e32 v1, vcc_lo, v1
	; wave barrier
	ds_read_b32 v28, v29 offset:32
	v_and_b32_e32 v1, v3, v1
	v_and_b32_e32 v2, v2, v4
	v_mbcnt_lo_u32_b32 v3, v1, 0
	v_mbcnt_hi_u32_b32 v30, v2, v3
	v_cmp_ne_u64_e32 vcc, 0, v[1:2]
	v_cmp_eq_u32_e64 s[28:29], 0, v30
	s_and_b64 s[38:39], vcc, s[28:29]
	; wave barrier
	s_and_saveexec_b64 s[28:29], s[38:39]
	s_cbranch_execz .LBB42_8
; %bb.7:                                ;   in Loop: Header=BB42_4 Depth=2
	v_bcnt_u32_b32 v1, v1, 0
	v_bcnt_u32_b32 v1, v2, v1
	s_waitcnt lgkmcnt(0)
	v_add_u32_e32 v1, v28, v1
	ds_write_b32 v29, v1 offset:32
.LBB42_8:                               ;   in Loop: Header=BB42_4 Depth=2
	s_or_b64 exec, exec, s[28:29]
	v_lshrrev_b32_e32 v1, v24, v22
	v_lshlrev_b32_sdwa v2, v21, v1 dst_sel:DWORD dst_unused:UNUSED_PAD src0_sel:DWORD src1_sel:BYTE_0
	v_add_u32_e32 v32, v18, v2
	v_and_b32_e32 v2, 1, v1
	v_add_co_u32_e32 v3, vcc, -1, v2
	v_addc_co_u32_e64 v4, s[28:29], 0, -1, vcc
	v_cmp_ne_u32_e32 vcc, 0, v2
	v_lshlrev_b32_e32 v6, 30, v1
	v_xor_b32_e32 v2, vcc_hi, v4
	v_xor_b32_e32 v3, vcc_lo, v3
	v_cmp_gt_i64_e32 vcc, 0, v[5:6]
	v_not_b32_e32 v4, v6
	v_ashrrev_i32_e32 v4, 31, v4
	v_and_b32_e32 v2, exec_hi, v2
	v_xor_b32_e32 v6, vcc_hi, v4
	v_and_b32_e32 v3, exec_lo, v3
	v_xor_b32_e32 v4, vcc_lo, v4
	v_and_b32_e32 v2, v2, v6
	v_lshlrev_b32_e32 v6, 29, v1
	v_and_b32_e32 v3, v3, v4
	v_cmp_gt_i64_e32 vcc, 0, v[5:6]
	v_not_b32_e32 v4, v6
	v_ashrrev_i32_e32 v4, 31, v4
	v_xor_b32_e32 v6, vcc_hi, v4
	v_xor_b32_e32 v4, vcc_lo, v4
	v_and_b32_e32 v2, v2, v6
	v_lshlrev_b32_e32 v6, 28, v1
	v_and_b32_e32 v3, v3, v4
	v_cmp_gt_i64_e32 vcc, 0, v[5:6]
	v_not_b32_e32 v4, v6
	v_ashrrev_i32_e32 v4, 31, v4
	v_xor_b32_e32 v6, vcc_hi, v4
	;; [unrolled: 8-line block ×5, first 2 shown]
	v_and_b32_e32 v2, v2, v6
	v_lshlrev_b32_e32 v6, 24, v1
	v_xor_b32_e32 v4, vcc_lo, v4
	v_cmp_gt_i64_e32 vcc, 0, v[5:6]
	v_not_b32_e32 v1, v6
	v_ashrrev_i32_e32 v1, 31, v1
	v_and_b32_e32 v3, v3, v4
	v_xor_b32_e32 v4, vcc_hi, v1
	v_xor_b32_e32 v1, vcc_lo, v1
	; wave barrier
	ds_read_b32 v31, v32 offset:32
	v_and_b32_e32 v1, v3, v1
	v_and_b32_e32 v2, v2, v4
	v_mbcnt_lo_u32_b32 v3, v1, 0
	v_mbcnt_hi_u32_b32 v6, v2, v3
	v_cmp_ne_u64_e32 vcc, 0, v[1:2]
	v_cmp_eq_u32_e64 s[28:29], 0, v6
	s_and_b64 s[38:39], vcc, s[28:29]
	; wave barrier
	s_and_saveexec_b64 s[28:29], s[38:39]
	s_cbranch_execz .LBB42_10
; %bb.9:                                ;   in Loop: Header=BB42_4 Depth=2
	v_bcnt_u32_b32 v1, v1, 0
	v_bcnt_u32_b32 v1, v2, v1
	s_waitcnt lgkmcnt(0)
	v_add_u32_e32 v1, v31, v1
	ds_write_b32 v32, v1 offset:32
.LBB42_10:                              ;   in Loop: Header=BB42_4 Depth=2
	s_or_b64 exec, exec, s[28:29]
	; wave barrier
	s_waitcnt lgkmcnt(0)
	s_barrier
	ds_read2_b64 v[1:4], v13 offset0:4 offset1:5
	s_waitcnt lgkmcnt(0)
	v_add_u32_e32 v33, v2, v1
	v_add3_u32 v4, v33, v3, v4
	s_nop 1
	v_mov_b32_dpp v33, v4 row_shr:1 row_mask:0xf bank_mask:0xf
	v_cndmask_b32_e64 v33, v33, 0, s[0:1]
	v_add_u32_e32 v4, v33, v4
	s_nop 1
	v_mov_b32_dpp v33, v4 row_shr:2 row_mask:0xf bank_mask:0xf
	v_cndmask_b32_e64 v33, 0, v33, s[2:3]
	v_add_u32_e32 v4, v4, v33
	;; [unrolled: 4-line block ×4, first 2 shown]
	s_nop 1
	v_mov_b32_dpp v33, v4 row_bcast:15 row_mask:0xf bank_mask:0xf
	v_cndmask_b32_e64 v33, v33, 0, s[8:9]
	v_add_u32_e32 v4, v4, v33
	s_nop 1
	v_mov_b32_dpp v33, v4 row_bcast:31 row_mask:0xf bank_mask:0xf
	v_cndmask_b32_e64 v33, 0, v33, s[10:11]
	v_add_u32_e32 v4, v4, v33
	s_and_saveexec_b64 s[28:29], s[12:13]
; %bb.11:                               ;   in Loop: Header=BB42_4 Depth=2
	ds_write_b32 v15, v4
; %bb.12:                               ;   in Loop: Header=BB42_4 Depth=2
	s_or_b64 exec, exec, s[28:29]
	s_waitcnt lgkmcnt(0)
	s_barrier
	s_and_saveexec_b64 s[28:29], s[14:15]
	s_cbranch_execz .LBB42_14
; %bb.13:                               ;   in Loop: Header=BB42_4 Depth=2
	ds_read_b32 v33, v16
	s_waitcnt lgkmcnt(0)
	s_nop 0
	v_mov_b32_dpp v34, v33 row_shr:1 row_mask:0xf bank_mask:0xf
	v_cndmask_b32_e64 v34, v34, 0, s[22:23]
	v_add_u32_e32 v33, v34, v33
	s_nop 1
	v_mov_b32_dpp v34, v33 row_shr:2 row_mask:0xf bank_mask:0xf
	v_cndmask_b32_e64 v34, 0, v34, s[24:25]
	v_add_u32_e32 v33, v33, v34
	;; [unrolled: 4-line block ×3, first 2 shown]
	ds_write_b32 v16, v33
.LBB42_14:                              ;   in Loop: Header=BB42_4 Depth=2
	s_or_b64 exec, exec, s[28:29]
	v_mov_b32_e32 v33, 0
	s_waitcnt lgkmcnt(0)
	s_barrier
	s_and_saveexec_b64 s[28:29], s[16:17]
; %bb.15:                               ;   in Loop: Header=BB42_4 Depth=2
	ds_read_b32 v33, v17
; %bb.16:                               ;   in Loop: Header=BB42_4 Depth=2
	s_or_b64 exec, exec, s[28:29]
	s_waitcnt lgkmcnt(0)
	v_add_u32_e32 v4, v33, v4
	ds_bpermute_b32 v4, v14, v4
	v_cmp_lt_u32_e32 vcc, 23, v24
	s_and_b64 vcc, exec, vcc
	s_mov_b64 s[28:29], -1
	s_waitcnt lgkmcnt(0)
	v_cndmask_b32_e64 v4, v4, v33, s[18:19]
	v_cndmask_b32_e64 v33, v4, 0, s[20:21]
	v_add_u32_e32 v34, v33, v1
	v_add_u32_e32 v1, v34, v2
	;; [unrolled: 1-line block ×3, first 2 shown]
	ds_write2_b64 v13, v[33:34], v[1:2] offset0:4 offset1:5
	s_waitcnt lgkmcnt(0)
	s_barrier
	ds_read_b32 v1, v27 offset:32
	ds_read_b32 v2, v29 offset:32
	;; [unrolled: 1-line block ×3, first 2 shown]
	s_waitcnt lgkmcnt(2)
	v_add_u32_e32 v26, v1, v26
	s_waitcnt lgkmcnt(1)
	v_add3_u32 v4, v30, v28, v2
	s_waitcnt lgkmcnt(0)
	v_add3_u32 v3, v6, v31, v3
                                        ; implicit-def: $vgpr6
                                        ; implicit-def: $vgpr2
	s_cbranch_vccnz .LBB42_3
; %bb.17:                               ;   in Loop: Header=BB42_4 Depth=2
	v_lshlrev_b32_e32 v1, 2, v26
	s_barrier
	ds_write_b32 v1, v25
	v_lshlrev_b32_e32 v1, 2, v4
	ds_write_b32 v1, v23
	v_lshlrev_b32_e32 v1, 2, v3
	ds_write_b32 v1, v22
	s_waitcnt lgkmcnt(0)
	s_barrier
	ds_read2st64_b32 v[1:2], v19 offset1:1
	ds_read_b32 v6, v19 offset:512
	v_add_u32_e32 v24, 8, v24
	s_mov_b64 s[28:29], 0
	s_waitcnt lgkmcnt(0)
	s_barrier
	s_branch .LBB42_3
.LBB42_18:
	s_add_u32 s0, s30, s36
	s_addc_u32 s1, s31, s37
	v_lshlrev_b32_e32 v0, 2, v0
	v_mov_b32_e32 v1, s1
	v_add_co_u32_e32 v2, vcc, s0, v0
	v_addc_co_u32_e32 v1, vcc, 0, v1, vcc
	global_store_dword v0, v4, s[0:1]
	global_store_dword v0, v6, s[0:1] offset:2048
	v_add_co_u32_e32 v0, vcc, 0x1000, v2
	v_addc_co_u32_e32 v1, vcc, 0, v1, vcc
	global_store_dword v[0:1], v3, off
	s_endpgm
	.section	.rodata,"a",@progbits
	.p2align	6, 0x0
	.amdhsa_kernel _Z16sort_keys_kernelI22helper_blocked_blockediLj512ELj3ELj10EEvPKT0_PS1_
		.amdhsa_group_segment_fixed_size 8224
		.amdhsa_private_segment_fixed_size 0
		.amdhsa_kernarg_size 272
		.amdhsa_user_sgpr_count 6
		.amdhsa_user_sgpr_private_segment_buffer 1
		.amdhsa_user_sgpr_dispatch_ptr 0
		.amdhsa_user_sgpr_queue_ptr 0
		.amdhsa_user_sgpr_kernarg_segment_ptr 1
		.amdhsa_user_sgpr_dispatch_id 0
		.amdhsa_user_sgpr_flat_scratch_init 0
		.amdhsa_user_sgpr_private_segment_size 0
		.amdhsa_uses_dynamic_stack 0
		.amdhsa_system_sgpr_private_segment_wavefront_offset 0
		.amdhsa_system_sgpr_workgroup_id_x 1
		.amdhsa_system_sgpr_workgroup_id_y 0
		.amdhsa_system_sgpr_workgroup_id_z 0
		.amdhsa_system_sgpr_workgroup_info 0
		.amdhsa_system_vgpr_workitem_id 2
		.amdhsa_next_free_vgpr 35
		.amdhsa_next_free_sgpr 40
		.amdhsa_reserve_vcc 1
		.amdhsa_reserve_flat_scratch 0
		.amdhsa_float_round_mode_32 0
		.amdhsa_float_round_mode_16_64 0
		.amdhsa_float_denorm_mode_32 3
		.amdhsa_float_denorm_mode_16_64 3
		.amdhsa_dx10_clamp 1
		.amdhsa_ieee_mode 1
		.amdhsa_fp16_overflow 0
		.amdhsa_exception_fp_ieee_invalid_op 0
		.amdhsa_exception_fp_denorm_src 0
		.amdhsa_exception_fp_ieee_div_zero 0
		.amdhsa_exception_fp_ieee_overflow 0
		.amdhsa_exception_fp_ieee_underflow 0
		.amdhsa_exception_fp_ieee_inexact 0
		.amdhsa_exception_int_div_zero 0
	.end_amdhsa_kernel
	.section	.text._Z16sort_keys_kernelI22helper_blocked_blockediLj512ELj3ELj10EEvPKT0_PS1_,"axG",@progbits,_Z16sort_keys_kernelI22helper_blocked_blockediLj512ELj3ELj10EEvPKT0_PS1_,comdat
.Lfunc_end42:
	.size	_Z16sort_keys_kernelI22helper_blocked_blockediLj512ELj3ELj10EEvPKT0_PS1_, .Lfunc_end42-_Z16sort_keys_kernelI22helper_blocked_blockediLj512ELj3ELj10EEvPKT0_PS1_
                                        ; -- End function
	.set _Z16sort_keys_kernelI22helper_blocked_blockediLj512ELj3ELj10EEvPKT0_PS1_.num_vgpr, 35
	.set _Z16sort_keys_kernelI22helper_blocked_blockediLj512ELj3ELj10EEvPKT0_PS1_.num_agpr, 0
	.set _Z16sort_keys_kernelI22helper_blocked_blockediLj512ELj3ELj10EEvPKT0_PS1_.numbered_sgpr, 40
	.set _Z16sort_keys_kernelI22helper_blocked_blockediLj512ELj3ELj10EEvPKT0_PS1_.num_named_barrier, 0
	.set _Z16sort_keys_kernelI22helper_blocked_blockediLj512ELj3ELj10EEvPKT0_PS1_.private_seg_size, 0
	.set _Z16sort_keys_kernelI22helper_blocked_blockediLj512ELj3ELj10EEvPKT0_PS1_.uses_vcc, 1
	.set _Z16sort_keys_kernelI22helper_blocked_blockediLj512ELj3ELj10EEvPKT0_PS1_.uses_flat_scratch, 0
	.set _Z16sort_keys_kernelI22helper_blocked_blockediLj512ELj3ELj10EEvPKT0_PS1_.has_dyn_sized_stack, 0
	.set _Z16sort_keys_kernelI22helper_blocked_blockediLj512ELj3ELj10EEvPKT0_PS1_.has_recursion, 0
	.set _Z16sort_keys_kernelI22helper_blocked_blockediLj512ELj3ELj10EEvPKT0_PS1_.has_indirect_call, 0
	.section	.AMDGPU.csdata,"",@progbits
; Kernel info:
; codeLenInByte = 2320
; TotalNumSgprs: 44
; NumVgprs: 35
; ScratchSize: 0
; MemoryBound: 0
; FloatMode: 240
; IeeeMode: 1
; LDSByteSize: 8224 bytes/workgroup (compile time only)
; SGPRBlocks: 5
; VGPRBlocks: 8
; NumSGPRsForWavesPerEU: 44
; NumVGPRsForWavesPerEU: 35
; Occupancy: 7
; WaveLimiterHint : 1
; COMPUTE_PGM_RSRC2:SCRATCH_EN: 0
; COMPUTE_PGM_RSRC2:USER_SGPR: 6
; COMPUTE_PGM_RSRC2:TRAP_HANDLER: 0
; COMPUTE_PGM_RSRC2:TGID_X_EN: 1
; COMPUTE_PGM_RSRC2:TGID_Y_EN: 0
; COMPUTE_PGM_RSRC2:TGID_Z_EN: 0
; COMPUTE_PGM_RSRC2:TIDIG_COMP_CNT: 2
	.section	.text._Z17sort_pairs_kernelI22helper_blocked_blockediLj512ELj3ELj10EEvPKT0_PS1_,"axG",@progbits,_Z17sort_pairs_kernelI22helper_blocked_blockediLj512ELj3ELj10EEvPKT0_PS1_,comdat
	.protected	_Z17sort_pairs_kernelI22helper_blocked_blockediLj512ELj3ELj10EEvPKT0_PS1_ ; -- Begin function _Z17sort_pairs_kernelI22helper_blocked_blockediLj512ELj3ELj10EEvPKT0_PS1_
	.globl	_Z17sort_pairs_kernelI22helper_blocked_blockediLj512ELj3ELj10EEvPKT0_PS1_
	.p2align	8
	.type	_Z17sort_pairs_kernelI22helper_blocked_blockediLj512ELj3ELj10EEvPKT0_PS1_,@function
_Z17sort_pairs_kernelI22helper_blocked_blockediLj512ELj3ELj10EEvPKT0_PS1_: ; @_Z17sort_pairs_kernelI22helper_blocked_blockediLj512ELj3ELj10EEvPKT0_PS1_
; %bb.0:
	s_load_dwordx4 s[28:31], s[4:5], 0x0
	s_load_dword s33, s[4:5], 0x1c
	s_mul_i32 s36, s6, 0x600
	s_mov_b32 s37, 0
	s_lshl_b64 s[34:35], s[36:37], 2
	s_waitcnt lgkmcnt(0)
	s_add_u32 s0, s28, s34
	s_addc_u32 s1, s29, s35
	v_lshlrev_b32_e32 v5, 2, v0
	v_mov_b32_e32 v3, s1
	v_add_co_u32_e32 v4, vcc, s0, v5
	v_addc_co_u32_e32 v6, vcc, 0, v3, vcc
	s_movk_i32 s2, 0x1000
	v_add_co_u32_e32 v3, vcc, s2, v4
	v_addc_co_u32_e32 v4, vcc, 0, v6, vcc
	global_load_dword v6, v5, s[0:1]
	global_load_dword v11, v5, s[0:1] offset:2048
	global_load_dword v12, v[3:4], off
	v_mbcnt_lo_u32_b32 v3, -1, 0
	v_mbcnt_hi_u32_b32 v3, -1, v3
	v_lshlrev_b32_e32 v14, 4, v0
	v_and_b32_e32 v7, 0x1c0, v0
	v_lshlrev_b32_e32 v8, 3, v0
	v_lshlrev_b32_e32 v10, 2, v3
	v_and_b32_e32 v18, 16, v3
	v_or_b32_e32 v19, 63, v7
	v_mad_i32_i24 v16, v0, -12, v14
	v_mul_u32_u24_e32 v7, 12, v7
	s_mov_b32 s36, s37
	v_cmp_eq_u32_e64 s[18:19], 0, v18
	v_cmp_eq_u32_e64 s[20:21], v0, v19
	v_add_u32_e32 v18, v10, v7
	v_add_u32_e32 v19, v16, v8
	v_mov_b32_e32 v7, s36
	v_mov_b32_e32 v8, s37
	s_lshr_b32 s36, s33, 16
	s_and_b32 s33, s33, 0xffff
	v_mad_u32_u24 v1, v2, s36, v1
	v_mad_u64_u32 v[1:2], s[38:39], v1, s33, v[0:1]
	v_lshrrev_b32_e32 v4, 6, v0
	v_mul_u32_u24_e32 v9, 0xc0, v4
	v_subrev_co_u32_e64 v20, s[8:9], 1, v3
	v_and_b32_e32 v21, 64, v3
	s_mov_b32 s28, s37
	v_lshlrev_b32_e32 v9, 2, v9
	v_cmp_lt_i32_e32 vcc, v20, v21
	s_mov_b32 s29, s37
	v_and_b32_e32 v17, 15, v3
	v_lshlrev_b32_e32 v15, 2, v4
	v_and_b32_e32 v4, 7, v3
	v_cndmask_b32_e32 v22, v20, v3, vcc
	v_mad_u32_u24 v20, v3, 12, v9
	v_add_u32_e32 v21, v10, v9
	v_lshrrev_b32_e32 v1, 4, v1
	v_mov_b32_e32 v9, s28
	v_mov_b32_e32 v5, 0
	;; [unrolled: 1-line block ×3, first 2 shown]
	v_cmp_gt_u32_e64 s[0:1], 8, v0
	v_cmp_lt_u32_e64 s[2:3], 63, v0
	v_cmp_eq_u32_e64 s[4:5], 0, v0
	v_cmp_lt_u32_e64 s[6:7], 31, v3
	v_cmp_eq_u32_e64 s[10:11], 0, v17
	v_cmp_lt_u32_e64 s[12:13], 1, v17
	v_cmp_lt_u32_e64 s[14:15], 3, v17
	;; [unrolled: 1-line block ×3, first 2 shown]
	v_cmp_eq_u32_e64 s[22:23], 0, v4
	v_cmp_lt_u32_e64 s[24:25], 1, v4
	v_cmp_lt_u32_e64 s[26:27], 3, v4
	v_add_u32_e32 v17, -4, v15
	v_lshlrev_b32_e32 v22, 2, v22
	v_and_b32_e32 v23, 0xffffffc, v1
	v_mov_b32_e32 v10, s29
	s_waitcnt vmcnt(2)
	v_add_u32_e32 v3, 1, v6
	s_waitcnt vmcnt(1)
	v_add_u32_e32 v4, 1, v11
	;; [unrolled: 2-line block ×3, first 2 shown]
	s_branch .LBB43_2
.LBB43_1:                               ;   in Loop: Header=BB43_2 Depth=1
	v_lshlrev_b32_e32 v3, 2, v12
	v_lshlrev_b32_e32 v4, 2, v11
	v_lshlrev_b32_e32 v6, 2, v6
	s_barrier
	ds_write_b32 v3, v25
	ds_write_b32 v4, v30
	;; [unrolled: 1-line block ×3, first 2 shown]
	s_waitcnt lgkmcnt(0)
	s_barrier
	ds_read2_b32 v[1:2], v19 offset1:1
	ds_read_b32 v12, v19 offset:8
	s_waitcnt lgkmcnt(0)
	s_barrier
	ds_write_b32 v3, v28
	ds_write_b32 v4, v27
	;; [unrolled: 1-line block ×3, first 2 shown]
	s_waitcnt lgkmcnt(0)
	s_barrier
	ds_read2_b32 v[3:4], v19 offset1:1
	ds_read_b32 v24, v19 offset:8
	s_add_i32 s37, s37, 1
	v_xor_b32_e32 v6, 0x80000000, v1
	v_xor_b32_e32 v11, 0x80000000, v2
	s_cmp_eq_u32 s37, 10
	v_xor_b32_e32 v12, 0x80000000, v12
	s_cbranch_scc1 .LBB43_18
.LBB43_2:                               ; =>This Loop Header: Depth=1
                                        ;     Child Loop BB43_4 Depth 2
	v_xor_b32_e32 v1, 0x80000000, v6
	v_xor_b32_e32 v2, 0x80000000, v11
	;; [unrolled: 1-line block ×3, first 2 shown]
	ds_write2_b32 v20, v1, v2 offset1:1
	ds_write_b32 v20, v6 offset:8
	; wave barrier
	ds_read2st64_b32 v[1:2], v21 offset1:1
	ds_read_b32 v31, v21 offset:512
	; wave barrier
	s_waitcnt lgkmcnt(5)
	ds_write2_b32 v20, v3, v4 offset1:1
	s_waitcnt lgkmcnt(5)
	ds_write_b32 v20, v24 offset:8
	; wave barrier
	ds_read2st64_b32 v[3:4], v21 offset1:1
	ds_read_b32 v32, v21 offset:512
	v_mov_b32_e32 v24, v5
	s_waitcnt lgkmcnt(0)
	s_barrier
	s_branch .LBB43_4
.LBB43_3:                               ;   in Loop: Header=BB43_4 Depth=2
	s_andn2_b64 vcc, exec, s[28:29]
	s_cbranch_vccz .LBB43_1
.LBB43_4:                               ;   Parent Loop BB43_2 Depth=1
                                        ; =>  This Inner Loop Header: Depth=2
	v_mov_b32_e32 v25, v1
	v_lshrrev_b32_e32 v1, v24, v25
	v_and_b32_e32 v6, 1, v1
	v_add_co_u32_e64 v11, s[28:29], -1, v6
	v_cmp_ne_u32_e32 vcc, 0, v6
	v_addc_co_u32_e64 v6, s[28:29], 0, -1, s[28:29]
	v_xor_b32_e32 v6, vcc_hi, v6
	v_and_b32_e32 v12, exec_hi, v6
	v_lshlrev_b32_e32 v6, 30, v1
	v_cmp_gt_i64_e64 s[28:29], 0, v[5:6]
	v_not_b32_e32 v6, v6
	v_ashrrev_i32_e32 v6, 31, v6
	v_xor_b32_e32 v11, vcc_lo, v11
	v_xor_b32_e32 v26, s29, v6
	v_and_b32_e32 v11, exec_lo, v11
	v_xor_b32_e32 v6, s28, v6
	v_and_b32_e32 v11, v11, v6
	v_lshlrev_b32_e32 v6, 29, v1
	v_cmp_gt_i64_e32 vcc, 0, v[5:6]
	v_not_b32_e32 v6, v6
	v_ashrrev_i32_e32 v6, 31, v6
	v_and_b32_e32 v12, v12, v26
	v_xor_b32_e32 v26, vcc_hi, v6
	v_xor_b32_e32 v6, vcc_lo, v6
	v_and_b32_e32 v11, v11, v6
	v_lshlrev_b32_e32 v6, 28, v1
	v_cmp_gt_i64_e32 vcc, 0, v[5:6]
	v_not_b32_e32 v6, v6
	v_ashrrev_i32_e32 v6, 31, v6
	v_and_b32_e32 v12, v12, v26
	v_xor_b32_e32 v26, vcc_hi, v6
	v_xor_b32_e32 v6, vcc_lo, v6
	v_and_b32_e32 v11, v11, v6
	v_lshlrev_b32_e32 v6, 27, v1
	v_cmp_gt_i64_e32 vcc, 0, v[5:6]
	v_not_b32_e32 v6, v6
	v_ashrrev_i32_e32 v6, 31, v6
	v_and_b32_e32 v12, v12, v26
	v_xor_b32_e32 v26, vcc_hi, v6
	v_xor_b32_e32 v6, vcc_lo, v6
	v_and_b32_e32 v11, v11, v6
	v_lshlrev_b32_e32 v6, 26, v1
	v_cmp_gt_i64_e32 vcc, 0, v[5:6]
	v_not_b32_e32 v6, v6
	v_ashrrev_i32_e32 v6, 31, v6
	v_and_b32_e32 v12, v12, v26
	v_xor_b32_e32 v26, vcc_hi, v6
	v_xor_b32_e32 v6, vcc_lo, v6
	v_and_b32_e32 v11, v11, v6
	v_lshlrev_b32_e32 v6, 25, v1
	v_cmp_gt_i64_e32 vcc, 0, v[5:6]
	v_not_b32_e32 v6, v6
	v_ashrrev_i32_e32 v6, 31, v6
	v_and_b32_e32 v12, v12, v26
	v_xor_b32_e32 v26, vcc_hi, v6
	v_xor_b32_e32 v6, vcc_lo, v6
	v_and_b32_e32 v11, v11, v6
	v_lshlrev_b32_e32 v6, 24, v1
	v_cmp_gt_i64_e32 vcc, 0, v[5:6]
	v_not_b32_e32 v6, v6
	v_ashrrev_i32_e32 v6, 31, v6
	v_and_b32_e32 v12, v12, v26
	v_xor_b32_e32 v26, vcc_hi, v6
	v_xor_b32_e32 v6, vcc_lo, v6
	v_and_b32_e32 v11, v11, v6
	v_and_b32_e32 v12, v12, v26
	v_mov_b32_e32 v30, v2
	v_mbcnt_lo_u32_b32 v2, v11, 0
	v_mov_b32_e32 v29, v31
	v_mbcnt_hi_u32_b32 v31, v12, v2
	v_cmp_ne_u64_e32 vcc, 0, v[11:12]
	v_lshlrev_b32_sdwa v1, v13, v1 dst_sel:DWORD dst_unused:UNUSED_PAD src0_sel:DWORD src1_sel:BYTE_0
	v_cmp_eq_u32_e64 s[28:29], 0, v31
	v_mov_b32_e32 v26, v32
	v_mov_b32_e32 v27, v4
	;; [unrolled: 1-line block ×3, first 2 shown]
	s_and_b64 s[38:39], vcc, s[28:29]
	v_add_u32_e32 v32, v23, v1
	ds_write2_b64 v14, v[7:8], v[9:10] offset0:4 offset1:5
	s_waitcnt lgkmcnt(0)
	s_barrier
	; wave barrier
	s_and_saveexec_b64 s[28:29], s[38:39]
; %bb.5:                                ;   in Loop: Header=BB43_4 Depth=2
	v_bcnt_u32_b32 v1, v11, 0
	v_bcnt_u32_b32 v1, v12, v1
	ds_write_b32 v32, v1 offset:32
; %bb.6:                                ;   in Loop: Header=BB43_4 Depth=2
	s_or_b64 exec, exec, s[28:29]
	v_lshrrev_b32_e32 v1, v24, v30
	v_lshlrev_b32_sdwa v2, v13, v1 dst_sel:DWORD dst_unused:UNUSED_PAD src0_sel:DWORD src1_sel:BYTE_0
	v_add_u32_e32 v12, v23, v2
	v_and_b32_e32 v2, 1, v1
	v_add_co_u32_e32 v3, vcc, -1, v2
	v_addc_co_u32_e64 v4, s[28:29], 0, -1, vcc
	v_cmp_ne_u32_e32 vcc, 0, v2
	v_lshlrev_b32_e32 v6, 30, v1
	v_xor_b32_e32 v2, vcc_hi, v4
	v_xor_b32_e32 v3, vcc_lo, v3
	v_cmp_gt_i64_e32 vcc, 0, v[5:6]
	v_not_b32_e32 v4, v6
	v_ashrrev_i32_e32 v4, 31, v4
	v_and_b32_e32 v2, exec_hi, v2
	v_xor_b32_e32 v6, vcc_hi, v4
	v_and_b32_e32 v3, exec_lo, v3
	v_xor_b32_e32 v4, vcc_lo, v4
	v_and_b32_e32 v2, v2, v6
	v_lshlrev_b32_e32 v6, 29, v1
	v_and_b32_e32 v3, v3, v4
	v_cmp_gt_i64_e32 vcc, 0, v[5:6]
	v_not_b32_e32 v4, v6
	v_ashrrev_i32_e32 v4, 31, v4
	v_xor_b32_e32 v6, vcc_hi, v4
	v_xor_b32_e32 v4, vcc_lo, v4
	v_and_b32_e32 v2, v2, v6
	v_lshlrev_b32_e32 v6, 28, v1
	v_and_b32_e32 v3, v3, v4
	v_cmp_gt_i64_e32 vcc, 0, v[5:6]
	v_not_b32_e32 v4, v6
	v_ashrrev_i32_e32 v4, 31, v4
	v_xor_b32_e32 v6, vcc_hi, v4
	;; [unrolled: 8-line block ×5, first 2 shown]
	v_and_b32_e32 v2, v2, v6
	v_lshlrev_b32_e32 v6, 24, v1
	v_xor_b32_e32 v4, vcc_lo, v4
	v_cmp_gt_i64_e32 vcc, 0, v[5:6]
	v_not_b32_e32 v1, v6
	v_ashrrev_i32_e32 v1, 31, v1
	v_and_b32_e32 v3, v3, v4
	v_xor_b32_e32 v4, vcc_hi, v1
	v_xor_b32_e32 v1, vcc_lo, v1
	; wave barrier
	ds_read_b32 v11, v12 offset:32
	v_and_b32_e32 v1, v3, v1
	v_and_b32_e32 v2, v2, v4
	v_mbcnt_lo_u32_b32 v3, v1, 0
	v_mbcnt_hi_u32_b32 v33, v2, v3
	v_cmp_ne_u64_e32 vcc, 0, v[1:2]
	v_cmp_eq_u32_e64 s[28:29], 0, v33
	s_and_b64 s[38:39], vcc, s[28:29]
	; wave barrier
	s_and_saveexec_b64 s[28:29], s[38:39]
	s_cbranch_execz .LBB43_8
; %bb.7:                                ;   in Loop: Header=BB43_4 Depth=2
	v_bcnt_u32_b32 v1, v1, 0
	v_bcnt_u32_b32 v1, v2, v1
	s_waitcnt lgkmcnt(0)
	v_add_u32_e32 v1, v11, v1
	ds_write_b32 v12, v1 offset:32
.LBB43_8:                               ;   in Loop: Header=BB43_4 Depth=2
	s_or_b64 exec, exec, s[28:29]
	v_lshrrev_b32_e32 v1, v24, v29
	v_lshlrev_b32_sdwa v2, v13, v1 dst_sel:DWORD dst_unused:UNUSED_PAD src0_sel:DWORD src1_sel:BYTE_0
	v_add_u32_e32 v35, v23, v2
	v_and_b32_e32 v2, 1, v1
	v_add_co_u32_e32 v3, vcc, -1, v2
	v_addc_co_u32_e64 v4, s[28:29], 0, -1, vcc
	v_cmp_ne_u32_e32 vcc, 0, v2
	v_lshlrev_b32_e32 v6, 30, v1
	v_xor_b32_e32 v2, vcc_hi, v4
	v_xor_b32_e32 v3, vcc_lo, v3
	v_cmp_gt_i64_e32 vcc, 0, v[5:6]
	v_not_b32_e32 v4, v6
	v_ashrrev_i32_e32 v4, 31, v4
	v_and_b32_e32 v2, exec_hi, v2
	v_xor_b32_e32 v6, vcc_hi, v4
	v_and_b32_e32 v3, exec_lo, v3
	v_xor_b32_e32 v4, vcc_lo, v4
	v_and_b32_e32 v2, v2, v6
	v_lshlrev_b32_e32 v6, 29, v1
	v_and_b32_e32 v3, v3, v4
	v_cmp_gt_i64_e32 vcc, 0, v[5:6]
	v_not_b32_e32 v4, v6
	v_ashrrev_i32_e32 v4, 31, v4
	v_xor_b32_e32 v6, vcc_hi, v4
	v_xor_b32_e32 v4, vcc_lo, v4
	v_and_b32_e32 v2, v2, v6
	v_lshlrev_b32_e32 v6, 28, v1
	v_and_b32_e32 v3, v3, v4
	v_cmp_gt_i64_e32 vcc, 0, v[5:6]
	v_not_b32_e32 v4, v6
	v_ashrrev_i32_e32 v4, 31, v4
	v_xor_b32_e32 v6, vcc_hi, v4
	;; [unrolled: 8-line block ×5, first 2 shown]
	v_and_b32_e32 v2, v2, v6
	v_lshlrev_b32_e32 v6, 24, v1
	v_xor_b32_e32 v4, vcc_lo, v4
	v_cmp_gt_i64_e32 vcc, 0, v[5:6]
	v_not_b32_e32 v1, v6
	v_ashrrev_i32_e32 v1, 31, v1
	v_and_b32_e32 v3, v3, v4
	v_xor_b32_e32 v4, vcc_hi, v1
	v_xor_b32_e32 v1, vcc_lo, v1
	; wave barrier
	ds_read_b32 v34, v35 offset:32
	v_and_b32_e32 v1, v3, v1
	v_and_b32_e32 v2, v2, v4
	v_mbcnt_lo_u32_b32 v3, v1, 0
	v_mbcnt_hi_u32_b32 v6, v2, v3
	v_cmp_ne_u64_e32 vcc, 0, v[1:2]
	v_cmp_eq_u32_e64 s[28:29], 0, v6
	s_and_b64 s[38:39], vcc, s[28:29]
	; wave barrier
	s_and_saveexec_b64 s[28:29], s[38:39]
	s_cbranch_execz .LBB43_10
; %bb.9:                                ;   in Loop: Header=BB43_4 Depth=2
	v_bcnt_u32_b32 v1, v1, 0
	v_bcnt_u32_b32 v1, v2, v1
	s_waitcnt lgkmcnt(0)
	v_add_u32_e32 v1, v34, v1
	ds_write_b32 v35, v1 offset:32
.LBB43_10:                              ;   in Loop: Header=BB43_4 Depth=2
	s_or_b64 exec, exec, s[28:29]
	; wave barrier
	s_waitcnt lgkmcnt(0)
	s_barrier
	ds_read2_b64 v[1:4], v14 offset0:4 offset1:5
	s_waitcnt lgkmcnt(0)
	v_add_u32_e32 v36, v2, v1
	v_add3_u32 v4, v36, v3, v4
	s_nop 1
	v_mov_b32_dpp v36, v4 row_shr:1 row_mask:0xf bank_mask:0xf
	v_cndmask_b32_e64 v36, v36, 0, s[10:11]
	v_add_u32_e32 v4, v36, v4
	s_nop 1
	v_mov_b32_dpp v36, v4 row_shr:2 row_mask:0xf bank_mask:0xf
	v_cndmask_b32_e64 v36, 0, v36, s[12:13]
	v_add_u32_e32 v4, v4, v36
	;; [unrolled: 4-line block ×4, first 2 shown]
	s_nop 1
	v_mov_b32_dpp v36, v4 row_bcast:15 row_mask:0xf bank_mask:0xf
	v_cndmask_b32_e64 v36, v36, 0, s[18:19]
	v_add_u32_e32 v4, v4, v36
	s_nop 1
	v_mov_b32_dpp v36, v4 row_bcast:31 row_mask:0xf bank_mask:0xf
	v_cndmask_b32_e64 v36, 0, v36, s[6:7]
	v_add_u32_e32 v4, v4, v36
	s_and_saveexec_b64 s[28:29], s[20:21]
; %bb.11:                               ;   in Loop: Header=BB43_4 Depth=2
	ds_write_b32 v15, v4
; %bb.12:                               ;   in Loop: Header=BB43_4 Depth=2
	s_or_b64 exec, exec, s[28:29]
	s_waitcnt lgkmcnt(0)
	s_barrier
	s_and_saveexec_b64 s[28:29], s[0:1]
	s_cbranch_execz .LBB43_14
; %bb.13:                               ;   in Loop: Header=BB43_4 Depth=2
	ds_read_b32 v36, v16
	s_waitcnt lgkmcnt(0)
	s_nop 0
	v_mov_b32_dpp v37, v36 row_shr:1 row_mask:0xf bank_mask:0xf
	v_cndmask_b32_e64 v37, v37, 0, s[22:23]
	v_add_u32_e32 v36, v37, v36
	s_nop 1
	v_mov_b32_dpp v37, v36 row_shr:2 row_mask:0xf bank_mask:0xf
	v_cndmask_b32_e64 v37, 0, v37, s[24:25]
	v_add_u32_e32 v36, v36, v37
	;; [unrolled: 4-line block ×3, first 2 shown]
	ds_write_b32 v16, v36
.LBB43_14:                              ;   in Loop: Header=BB43_4 Depth=2
	s_or_b64 exec, exec, s[28:29]
	v_mov_b32_e32 v36, 0
	s_waitcnt lgkmcnt(0)
	s_barrier
	s_and_saveexec_b64 s[28:29], s[2:3]
; %bb.15:                               ;   in Loop: Header=BB43_4 Depth=2
	ds_read_b32 v36, v17
; %bb.16:                               ;   in Loop: Header=BB43_4 Depth=2
	s_or_b64 exec, exec, s[28:29]
	s_waitcnt lgkmcnt(0)
	v_add_u32_e32 v4, v36, v4
	ds_bpermute_b32 v4, v22, v4
	v_cmp_lt_u32_e32 vcc, 23, v24
	s_and_b64 vcc, exec, vcc
	s_mov_b64 s[28:29], -1
	s_waitcnt lgkmcnt(0)
	v_cndmask_b32_e64 v4, v4, v36, s[8:9]
	v_cndmask_b32_e64 v36, v4, 0, s[4:5]
	v_add_u32_e32 v37, v36, v1
	v_add_u32_e32 v1, v37, v2
	v_add_u32_e32 v2, v1, v3
	ds_write2_b64 v14, v[36:37], v[1:2] offset0:4 offset1:5
	s_waitcnt lgkmcnt(0)
	s_barrier
	ds_read_b32 v1, v32 offset:32
	ds_read_b32 v2, v12 offset:32
	;; [unrolled: 1-line block ×3, first 2 shown]
                                        ; implicit-def: $vgpr32
	s_waitcnt lgkmcnt(2)
	v_add_u32_e32 v12, v1, v31
	s_waitcnt lgkmcnt(1)
	v_add3_u32 v11, v33, v11, v2
	s_waitcnt lgkmcnt(0)
	v_add3_u32 v6, v6, v34, v3
                                        ; implicit-def: $vgpr31
                                        ; implicit-def: $vgpr2
                                        ; implicit-def: $vgpr4
	s_cbranch_vccnz .LBB43_3
; %bb.17:                               ;   in Loop: Header=BB43_4 Depth=2
	v_lshlrev_b32_e32 v3, 2, v12
	v_lshlrev_b32_e32 v4, 2, v11
	;; [unrolled: 1-line block ×3, first 2 shown]
	s_barrier
	ds_write_b32 v3, v25
	ds_write_b32 v4, v30
	;; [unrolled: 1-line block ×3, first 2 shown]
	s_waitcnt lgkmcnt(0)
	s_barrier
	ds_read2st64_b32 v[1:2], v18 offset1:1
	ds_read_b32 v31, v18 offset:512
	s_waitcnt lgkmcnt(0)
	s_barrier
	ds_write_b32 v3, v28
	ds_write_b32 v4, v27
	ds_write_b32 v32, v26
	s_waitcnt lgkmcnt(0)
	s_barrier
	ds_read2st64_b32 v[3:4], v18 offset1:1
	ds_read_b32 v32, v18 offset:512
	v_add_u32_e32 v24, 8, v24
	s_mov_b64 s[28:29], 0
	s_waitcnt lgkmcnt(0)
	s_barrier
	s_branch .LBB43_3
.LBB43_18:
	s_add_u32 s0, s30, s34
	s_addc_u32 s1, s31, s35
	v_lshlrev_b32_e32 v0, 2, v0
	s_waitcnt lgkmcnt(1)
	v_add_u32_e32 v2, v11, v4
	v_mov_b32_e32 v4, s1
	v_add_co_u32_e32 v5, vcc, s0, v0
	v_add_u32_e32 v1, v6, v3
	v_addc_co_u32_e32 v4, vcc, 0, v4, vcc
	global_store_dword v0, v1, s[0:1]
	global_store_dword v0, v2, s[0:1] offset:2048
	v_add_co_u32_e32 v0, vcc, 0x1000, v5
	s_waitcnt lgkmcnt(0)
	v_add_u32_e32 v3, v12, v24
	v_addc_co_u32_e32 v1, vcc, 0, v4, vcc
	global_store_dword v[0:1], v3, off
	s_endpgm
	.section	.rodata,"a",@progbits
	.p2align	6, 0x0
	.amdhsa_kernel _Z17sort_pairs_kernelI22helper_blocked_blockediLj512ELj3ELj10EEvPKT0_PS1_
		.amdhsa_group_segment_fixed_size 8224
		.amdhsa_private_segment_fixed_size 0
		.amdhsa_kernarg_size 272
		.amdhsa_user_sgpr_count 6
		.amdhsa_user_sgpr_private_segment_buffer 1
		.amdhsa_user_sgpr_dispatch_ptr 0
		.amdhsa_user_sgpr_queue_ptr 0
		.amdhsa_user_sgpr_kernarg_segment_ptr 1
		.amdhsa_user_sgpr_dispatch_id 0
		.amdhsa_user_sgpr_flat_scratch_init 0
		.amdhsa_user_sgpr_private_segment_size 0
		.amdhsa_uses_dynamic_stack 0
		.amdhsa_system_sgpr_private_segment_wavefront_offset 0
		.amdhsa_system_sgpr_workgroup_id_x 1
		.amdhsa_system_sgpr_workgroup_id_y 0
		.amdhsa_system_sgpr_workgroup_id_z 0
		.amdhsa_system_sgpr_workgroup_info 0
		.amdhsa_system_vgpr_workitem_id 2
		.amdhsa_next_free_vgpr 38
		.amdhsa_next_free_sgpr 40
		.amdhsa_reserve_vcc 1
		.amdhsa_reserve_flat_scratch 0
		.amdhsa_float_round_mode_32 0
		.amdhsa_float_round_mode_16_64 0
		.amdhsa_float_denorm_mode_32 3
		.amdhsa_float_denorm_mode_16_64 3
		.amdhsa_dx10_clamp 1
		.amdhsa_ieee_mode 1
		.amdhsa_fp16_overflow 0
		.amdhsa_exception_fp_ieee_invalid_op 0
		.amdhsa_exception_fp_denorm_src 0
		.amdhsa_exception_fp_ieee_div_zero 0
		.amdhsa_exception_fp_ieee_overflow 0
		.amdhsa_exception_fp_ieee_underflow 0
		.amdhsa_exception_fp_ieee_inexact 0
		.amdhsa_exception_int_div_zero 0
	.end_amdhsa_kernel
	.section	.text._Z17sort_pairs_kernelI22helper_blocked_blockediLj512ELj3ELj10EEvPKT0_PS1_,"axG",@progbits,_Z17sort_pairs_kernelI22helper_blocked_blockediLj512ELj3ELj10EEvPKT0_PS1_,comdat
.Lfunc_end43:
	.size	_Z17sort_pairs_kernelI22helper_blocked_blockediLj512ELj3ELj10EEvPKT0_PS1_, .Lfunc_end43-_Z17sort_pairs_kernelI22helper_blocked_blockediLj512ELj3ELj10EEvPKT0_PS1_
                                        ; -- End function
	.set _Z17sort_pairs_kernelI22helper_blocked_blockediLj512ELj3ELj10EEvPKT0_PS1_.num_vgpr, 38
	.set _Z17sort_pairs_kernelI22helper_blocked_blockediLj512ELj3ELj10EEvPKT0_PS1_.num_agpr, 0
	.set _Z17sort_pairs_kernelI22helper_blocked_blockediLj512ELj3ELj10EEvPKT0_PS1_.numbered_sgpr, 40
	.set _Z17sort_pairs_kernelI22helper_blocked_blockediLj512ELj3ELj10EEvPKT0_PS1_.num_named_barrier, 0
	.set _Z17sort_pairs_kernelI22helper_blocked_blockediLj512ELj3ELj10EEvPKT0_PS1_.private_seg_size, 0
	.set _Z17sort_pairs_kernelI22helper_blocked_blockediLj512ELj3ELj10EEvPKT0_PS1_.uses_vcc, 1
	.set _Z17sort_pairs_kernelI22helper_blocked_blockediLj512ELj3ELj10EEvPKT0_PS1_.uses_flat_scratch, 0
	.set _Z17sort_pairs_kernelI22helper_blocked_blockediLj512ELj3ELj10EEvPKT0_PS1_.has_dyn_sized_stack, 0
	.set _Z17sort_pairs_kernelI22helper_blocked_blockediLj512ELj3ELj10EEvPKT0_PS1_.has_recursion, 0
	.set _Z17sort_pairs_kernelI22helper_blocked_blockediLj512ELj3ELj10EEvPKT0_PS1_.has_indirect_call, 0
	.section	.AMDGPU.csdata,"",@progbits
; Kernel info:
; codeLenInByte = 2512
; TotalNumSgprs: 44
; NumVgprs: 38
; ScratchSize: 0
; MemoryBound: 0
; FloatMode: 240
; IeeeMode: 1
; LDSByteSize: 8224 bytes/workgroup (compile time only)
; SGPRBlocks: 5
; VGPRBlocks: 9
; NumSGPRsForWavesPerEU: 44
; NumVGPRsForWavesPerEU: 38
; Occupancy: 6
; WaveLimiterHint : 1
; COMPUTE_PGM_RSRC2:SCRATCH_EN: 0
; COMPUTE_PGM_RSRC2:USER_SGPR: 6
; COMPUTE_PGM_RSRC2:TRAP_HANDLER: 0
; COMPUTE_PGM_RSRC2:TGID_X_EN: 1
; COMPUTE_PGM_RSRC2:TGID_Y_EN: 0
; COMPUTE_PGM_RSRC2:TGID_Z_EN: 0
; COMPUTE_PGM_RSRC2:TIDIG_COMP_CNT: 2
	.section	.text._Z16sort_keys_kernelI22helper_blocked_blockediLj512ELj4ELj10EEvPKT0_PS1_,"axG",@progbits,_Z16sort_keys_kernelI22helper_blocked_blockediLj512ELj4ELj10EEvPKT0_PS1_,comdat
	.protected	_Z16sort_keys_kernelI22helper_blocked_blockediLj512ELj4ELj10EEvPKT0_PS1_ ; -- Begin function _Z16sort_keys_kernelI22helper_blocked_blockediLj512ELj4ELj10EEvPKT0_PS1_
	.globl	_Z16sort_keys_kernelI22helper_blocked_blockediLj512ELj4ELj10EEvPKT0_PS1_
	.p2align	8
	.type	_Z16sort_keys_kernelI22helper_blocked_blockediLj512ELj4ELj10EEvPKT0_PS1_,@function
_Z16sort_keys_kernelI22helper_blocked_blockediLj512ELj4ELj10EEvPKT0_PS1_: ; @_Z16sort_keys_kernelI22helper_blocked_blockediLj512ELj4ELj10EEvPKT0_PS1_
; %bb.0:
	s_load_dwordx4 s[40:43], s[4:5], 0x0
	s_load_dword s8, s[4:5], 0x1c
	s_lshl_b32 s44, s6, 11
	s_mov_b32 s45, 0
	s_lshl_b64 s[46:47], s[44:45], 2
	s_waitcnt lgkmcnt(0)
	s_add_u32 s0, s40, s46
	s_addc_u32 s1, s41, s47
	v_lshlrev_b32_e32 v5, 2, v0
	v_mov_b32_e32 v3, s1
	v_add_co_u32_e32 v4, vcc, s0, v5
	v_addc_co_u32_e32 v3, vcc, 0, v3, vcc
	s_movk_i32 s2, 0x1000
	v_add_co_u32_e32 v7, vcc, s2, v4
	v_addc_co_u32_e32 v8, vcc, 0, v3, vcc
	global_load_dword v24, v5, s[0:1]
	global_load_dword v4, v5, s[0:1] offset:2048
	global_load_dword v3, v[7:8], off
	global_load_dword v6, v[7:8], off offset:2048
	s_lshr_b32 s9, s8, 16
	v_mbcnt_lo_u32_b32 v7, -1, 0
	s_and_b32 s8, s8, 0xffff
	v_mad_u32_u24 v1, v2, s9, v1
	v_mbcnt_hi_u32_b32 v7, -1, v7
	v_mad_u64_u32 v[1:2], s[8:9], v1, s8, v[0:1]
	v_and_b32_e32 v2, 15, v7
	v_cmp_eq_u32_e64 s[8:9], 0, v2
	v_cmp_lt_u32_e64 s[10:11], 1, v2
	v_cmp_lt_u32_e64 s[12:13], 3, v2
	;; [unrolled: 1-line block ×3, first 2 shown]
	v_and_b32_e32 v2, 16, v7
	v_and_b32_e32 v9, 3, v7
	v_cmp_eq_u32_e64 s[16:17], 0, v2
	v_or_b32_e32 v2, 63, v0
	v_cmp_eq_u32_e64 s[0:1], 3, v9
	v_cmp_eq_u32_e64 s[2:3], 2, v9
	;; [unrolled: 1-line block ×4, first 2 shown]
	v_and_b32_e32 v9, 64, v7
	v_cmp_eq_u32_e64 s[20:21], v0, v2
	v_subrev_co_u32_e64 v2, s[26:27], 1, v7
	v_cmp_lt_i32_e32 vcc, v2, v9
	v_cndmask_b32_e32 v2, v2, v7, vcc
	v_lshrrev_b32_e32 v8, 2, v7
	v_lshlrev_b32_e32 v16, 2, v2
	v_lshrrev_b32_e32 v2, 4, v0
	v_or_b32_e32 v10, v8, v9
	v_add_u32_e32 v8, 48, v8
	v_lshlrev_b32_e32 v15, 4, v0
	v_and_b32_e32 v17, 28, v2
	v_and_b32_e32 v2, 7, v7
	v_and_or_b32 v8, v8, 63, v9
	v_cmp_eq_u32_e64 s[30:31], 0, v2
	v_cmp_lt_u32_e64 s[34:35], 1, v2
	v_cmp_lt_u32_e64 s[36:37], 3, v2
	v_and_b32_e32 v2, 0x1c00, v15
	v_lshrrev_b32_e32 v1, 4, v1
	s_mov_b32 s44, s45
	s_mov_b32 s38, s45
	v_lshlrev_b32_e32 v11, 2, v10
	v_lshlrev_b32_e32 v14, 2, v8
	v_cmp_lt_u32_e64 s[18:19], 31, v7
	v_mad_i32_i24 v18, v0, -12, v15
	v_lshl_or_b32 v19, v7, 2, v2
	v_and_b32_e32 v21, 0xffffffc, v1
	v_mul_u32_u24_e32 v1, 12, v0
	s_mov_b32 s39, s45
	v_mov_b32_e32 v7, s44
	v_mov_b32_e32 v9, s38
	;; [unrolled: 1-line block ×3, first 2 shown]
	v_add_u32_e32 v12, 64, v11
	v_or_b32_e32 v13, 0x80, v11
	v_cmp_gt_u32_e64 s[22:23], 8, v0
	v_cmp_lt_u32_e64 s[24:25], 63, v0
	v_cmp_eq_u32_e64 s[28:29], 0, v0
	v_add_u32_e32 v20, -4, v17
	v_add_u32_e32 v22, v18, v1
	v_mov_b32_e32 v23, 5
	v_mov_b32_e32 v8, s45
	;; [unrolled: 1-line block ×3, first 2 shown]
	s_branch .LBB44_2
.LBB44_1:                               ;   in Loop: Header=BB44_2 Depth=1
	v_lshlrev_b32_e32 v1, 2, v32
	s_barrier
	ds_write_b32 v1, v28
	v_lshlrev_b32_e32 v1, 2, v30
	ds_write_b32 v1, v27
	v_lshlrev_b32_e32 v1, 2, v29
	;; [unrolled: 2-line block ×3, first 2 shown]
	ds_write_b32 v1, v24
	s_waitcnt lgkmcnt(0)
	s_barrier
	ds_read2_b64 v[24:27], v22 offset1:1
	s_add_i32 s45, s45, 1
	s_cmp_eq_u32 s45, 10
	s_waitcnt lgkmcnt(0)
	v_xor_b32_e32 v24, 0x80000000, v24
	v_xor_b32_e32 v4, 0x80000000, v25
	;; [unrolled: 1-line block ×4, first 2 shown]
	s_cbranch_scc1 .LBB44_20
.LBB44_2:                               ; =>This Loop Header: Depth=1
                                        ;     Child Loop BB44_4 Depth 2
	s_waitcnt vmcnt(3)
	v_xor_b32_e32 v24, 0x80000000, v24
	ds_bpermute_b32 v1, v11, v24
	s_waitcnt vmcnt(2)
	v_xor_b32_e32 v4, 0x80000000, v4
	s_waitcnt vmcnt(1)
	v_xor_b32_e32 v3, 0x80000000, v3
	ds_bpermute_b32 v2, v11, v4
	s_waitcnt vmcnt(0)
	v_xor_b32_e32 v6, 0x80000000, v6
	ds_bpermute_b32 v25, v11, v3
	ds_bpermute_b32 v27, v12, v24
	;; [unrolled: 1-line block ×3, first 2 shown]
	s_waitcnt lgkmcnt(4)
	v_cndmask_b32_e64 v1, 0, v1, s[6:7]
	ds_bpermute_b32 v28, v12, v4
	s_waitcnt lgkmcnt(4)
	v_cndmask_b32_e64 v1, v1, v2, s[4:5]
	s_waitcnt lgkmcnt(3)
	v_cndmask_b32_e64 v1, v1, v25, s[2:3]
	;; [unrolled: 2-line block ×3, first 2 shown]
	ds_bpermute_b32 v25, v12, v3
	ds_bpermute_b32 v27, v13, v24
	s_waitcnt lgkmcnt(3)
	v_cndmask_b32_e64 v1, v1, v26, s[0:1]
	ds_bpermute_b32 v26, v12, v6
	ds_bpermute_b32 v24, v14, v24
	s_waitcnt lgkmcnt(4)
	v_cndmask_b32_e64 v2, v2, v28, s[4:5]
	ds_bpermute_b32 v28, v13, v4
	ds_bpermute_b32 v4, v14, v4
	ds_bpermute_b32 v29, v13, v3
	s_waitcnt lgkmcnt(6)
	v_cndmask_b32_e64 v2, v2, v25, s[2:3]
	s_waitcnt lgkmcnt(5)
	v_cndmask_b32_e64 v25, 0, v27, s[6:7]
	ds_bpermute_b32 v27, v14, v3
	s_waitcnt lgkmcnt(5)
	v_cndmask_b32_e64 v2, v2, v26, s[0:1]
	ds_bpermute_b32 v26, v13, v6
	ds_bpermute_b32 v6, v14, v6
	s_waitcnt lgkmcnt(6)
	v_cndmask_b32_e64 v24, 0, v24, s[6:7]
	s_waitcnt lgkmcnt(5)
	v_cndmask_b32_e64 v25, v25, v28, s[4:5]
	;; [unrolled: 2-line block ×7, first 2 shown]
	v_mov_b32_e32 v26, v5
	s_barrier
	s_branch .LBB44_4
.LBB44_3:                               ;   in Loop: Header=BB44_4 Depth=2
	s_andn2_b64 vcc, exec, s[38:39]
	s_cbranch_vccz .LBB44_1
.LBB44_4:                               ;   Parent Loop BB44_2 Depth=1
                                        ; =>  This Inner Loop Header: Depth=2
	v_mov_b32_e32 v28, v1
	v_lshrrev_b32_e32 v1, v26, v28
	v_mov_b32_e32 v27, v2
	v_and_b32_e32 v2, 1, v1
	v_mov_b32_e32 v24, v4
	v_add_co_u32_e32 v4, vcc, -1, v2
	v_addc_co_u32_e64 v6, s[38:39], 0, -1, vcc
	v_cmp_ne_u32_e32 vcc, 0, v2
	v_xor_b32_e32 v2, vcc_hi, v6
	v_lshlrev_b32_e32 v6, 30, v1
	v_xor_b32_e32 v4, vcc_lo, v4
	v_cmp_gt_i64_e32 vcc, 0, v[5:6]
	v_not_b32_e32 v6, v6
	v_ashrrev_i32_e32 v6, 31, v6
	v_and_b32_e32 v4, exec_lo, v4
	v_xor_b32_e32 v29, vcc_hi, v6
	v_xor_b32_e32 v6, vcc_lo, v6
	v_and_b32_e32 v4, v4, v6
	v_lshlrev_b32_e32 v6, 29, v1
	v_cmp_gt_i64_e32 vcc, 0, v[5:6]
	v_not_b32_e32 v6, v6
	v_and_b32_e32 v2, exec_hi, v2
	v_ashrrev_i32_e32 v6, 31, v6
	v_and_b32_e32 v2, v2, v29
	v_xor_b32_e32 v29, vcc_hi, v6
	v_xor_b32_e32 v6, vcc_lo, v6
	v_and_b32_e32 v4, v4, v6
	v_lshlrev_b32_e32 v6, 28, v1
	v_cmp_gt_i64_e32 vcc, 0, v[5:6]
	v_not_b32_e32 v6, v6
	v_ashrrev_i32_e32 v6, 31, v6
	v_and_b32_e32 v2, v2, v29
	v_xor_b32_e32 v29, vcc_hi, v6
	v_xor_b32_e32 v6, vcc_lo, v6
	v_and_b32_e32 v4, v4, v6
	v_lshlrev_b32_e32 v6, 27, v1
	v_cmp_gt_i64_e32 vcc, 0, v[5:6]
	v_not_b32_e32 v6, v6
	;; [unrolled: 8-line block ×4, first 2 shown]
	v_ashrrev_i32_e32 v6, 31, v6
	v_and_b32_e32 v2, v2, v29
	v_xor_b32_e32 v29, vcc_hi, v6
	v_xor_b32_e32 v6, vcc_lo, v6
	v_and_b32_e32 v4, v4, v6
	v_lshlrev_b32_e32 v6, 24, v1
	v_mov_b32_e32 v25, v3
	v_lshlrev_b32_sdwa v3, v23, v1 dst_sel:DWORD dst_unused:UNUSED_PAD src0_sel:DWORD src1_sel:BYTE_0
	v_cmp_gt_i64_e32 vcc, 0, v[5:6]
	v_not_b32_e32 v1, v6
	v_ashrrev_i32_e32 v1, 31, v1
	v_xor_b32_e32 v6, vcc_hi, v1
	v_xor_b32_e32 v1, vcc_lo, v1
	v_and_b32_e32 v2, v2, v29
	v_and_b32_e32 v1, v4, v1
	v_and_b32_e32 v2, v2, v6
	v_mbcnt_lo_u32_b32 v4, v1, 0
	v_mbcnt_hi_u32_b32 v29, v2, v4
	v_cmp_ne_u64_e32 vcc, 0, v[1:2]
	v_cmp_eq_u32_e64 s[38:39], 0, v29
	s_and_b64 s[40:41], vcc, s[38:39]
	v_add_u32_e32 v30, v21, v3
	ds_write2_b64 v15, v[7:8], v[9:10] offset0:4 offset1:5
	s_waitcnt lgkmcnt(0)
	s_barrier
	; wave barrier
	s_and_saveexec_b64 s[38:39], s[40:41]
; %bb.5:                                ;   in Loop: Header=BB44_4 Depth=2
	v_bcnt_u32_b32 v1, v1, 0
	v_bcnt_u32_b32 v1, v2, v1
	ds_write_b32 v30, v1 offset:32
; %bb.6:                                ;   in Loop: Header=BB44_4 Depth=2
	s_or_b64 exec, exec, s[38:39]
	v_lshrrev_b32_e32 v1, v26, v27
	v_lshlrev_b32_sdwa v2, v23, v1 dst_sel:DWORD dst_unused:UNUSED_PAD src0_sel:DWORD src1_sel:BYTE_0
	v_add_u32_e32 v32, v21, v2
	v_and_b32_e32 v2, 1, v1
	v_add_co_u32_e32 v3, vcc, -1, v2
	v_addc_co_u32_e64 v4, s[38:39], 0, -1, vcc
	v_cmp_ne_u32_e32 vcc, 0, v2
	v_lshlrev_b32_e32 v6, 30, v1
	v_xor_b32_e32 v2, vcc_hi, v4
	v_xor_b32_e32 v3, vcc_lo, v3
	v_cmp_gt_i64_e32 vcc, 0, v[5:6]
	v_not_b32_e32 v4, v6
	v_ashrrev_i32_e32 v4, 31, v4
	v_and_b32_e32 v2, exec_hi, v2
	v_xor_b32_e32 v6, vcc_hi, v4
	v_and_b32_e32 v3, exec_lo, v3
	v_xor_b32_e32 v4, vcc_lo, v4
	v_and_b32_e32 v2, v2, v6
	v_lshlrev_b32_e32 v6, 29, v1
	v_and_b32_e32 v3, v3, v4
	v_cmp_gt_i64_e32 vcc, 0, v[5:6]
	v_not_b32_e32 v4, v6
	v_ashrrev_i32_e32 v4, 31, v4
	v_xor_b32_e32 v6, vcc_hi, v4
	v_xor_b32_e32 v4, vcc_lo, v4
	v_and_b32_e32 v2, v2, v6
	v_lshlrev_b32_e32 v6, 28, v1
	v_and_b32_e32 v3, v3, v4
	v_cmp_gt_i64_e32 vcc, 0, v[5:6]
	v_not_b32_e32 v4, v6
	v_ashrrev_i32_e32 v4, 31, v4
	v_xor_b32_e32 v6, vcc_hi, v4
	;; [unrolled: 8-line block ×5, first 2 shown]
	v_and_b32_e32 v2, v2, v6
	v_lshlrev_b32_e32 v6, 24, v1
	v_xor_b32_e32 v4, vcc_lo, v4
	v_cmp_gt_i64_e32 vcc, 0, v[5:6]
	v_not_b32_e32 v1, v6
	v_ashrrev_i32_e32 v1, 31, v1
	v_and_b32_e32 v3, v3, v4
	v_xor_b32_e32 v4, vcc_hi, v1
	v_xor_b32_e32 v1, vcc_lo, v1
	; wave barrier
	ds_read_b32 v31, v32 offset:32
	v_and_b32_e32 v1, v3, v1
	v_and_b32_e32 v2, v2, v4
	v_mbcnt_lo_u32_b32 v3, v1, 0
	v_mbcnt_hi_u32_b32 v33, v2, v3
	v_cmp_ne_u64_e32 vcc, 0, v[1:2]
	v_cmp_eq_u32_e64 s[38:39], 0, v33
	s_and_b64 s[40:41], vcc, s[38:39]
	; wave barrier
	s_and_saveexec_b64 s[38:39], s[40:41]
	s_cbranch_execz .LBB44_8
; %bb.7:                                ;   in Loop: Header=BB44_4 Depth=2
	v_bcnt_u32_b32 v1, v1, 0
	v_bcnt_u32_b32 v1, v2, v1
	s_waitcnt lgkmcnt(0)
	v_add_u32_e32 v1, v31, v1
	ds_write_b32 v32, v1 offset:32
.LBB44_8:                               ;   in Loop: Header=BB44_4 Depth=2
	s_or_b64 exec, exec, s[38:39]
	v_lshrrev_b32_e32 v1, v26, v25
	v_lshlrev_b32_sdwa v2, v23, v1 dst_sel:DWORD dst_unused:UNUSED_PAD src0_sel:DWORD src1_sel:BYTE_0
	v_add_u32_e32 v35, v21, v2
	v_and_b32_e32 v2, 1, v1
	v_add_co_u32_e32 v3, vcc, -1, v2
	v_addc_co_u32_e64 v4, s[38:39], 0, -1, vcc
	v_cmp_ne_u32_e32 vcc, 0, v2
	v_lshlrev_b32_e32 v6, 30, v1
	v_xor_b32_e32 v2, vcc_hi, v4
	v_xor_b32_e32 v3, vcc_lo, v3
	v_cmp_gt_i64_e32 vcc, 0, v[5:6]
	v_not_b32_e32 v4, v6
	v_ashrrev_i32_e32 v4, 31, v4
	v_and_b32_e32 v2, exec_hi, v2
	v_xor_b32_e32 v6, vcc_hi, v4
	v_and_b32_e32 v3, exec_lo, v3
	v_xor_b32_e32 v4, vcc_lo, v4
	v_and_b32_e32 v2, v2, v6
	v_lshlrev_b32_e32 v6, 29, v1
	v_and_b32_e32 v3, v3, v4
	v_cmp_gt_i64_e32 vcc, 0, v[5:6]
	v_not_b32_e32 v4, v6
	v_ashrrev_i32_e32 v4, 31, v4
	v_xor_b32_e32 v6, vcc_hi, v4
	v_xor_b32_e32 v4, vcc_lo, v4
	v_and_b32_e32 v2, v2, v6
	v_lshlrev_b32_e32 v6, 28, v1
	v_and_b32_e32 v3, v3, v4
	v_cmp_gt_i64_e32 vcc, 0, v[5:6]
	v_not_b32_e32 v4, v6
	v_ashrrev_i32_e32 v4, 31, v4
	v_xor_b32_e32 v6, vcc_hi, v4
	;; [unrolled: 8-line block ×5, first 2 shown]
	v_and_b32_e32 v2, v2, v6
	v_lshlrev_b32_e32 v6, 24, v1
	v_xor_b32_e32 v4, vcc_lo, v4
	v_cmp_gt_i64_e32 vcc, 0, v[5:6]
	v_not_b32_e32 v1, v6
	v_ashrrev_i32_e32 v1, 31, v1
	v_and_b32_e32 v3, v3, v4
	v_xor_b32_e32 v4, vcc_hi, v1
	v_xor_b32_e32 v1, vcc_lo, v1
	; wave barrier
	ds_read_b32 v34, v35 offset:32
	v_and_b32_e32 v1, v3, v1
	v_and_b32_e32 v2, v2, v4
	v_mbcnt_lo_u32_b32 v3, v1, 0
	v_mbcnt_hi_u32_b32 v36, v2, v3
	v_cmp_ne_u64_e32 vcc, 0, v[1:2]
	v_cmp_eq_u32_e64 s[38:39], 0, v36
	s_and_b64 s[40:41], vcc, s[38:39]
	; wave barrier
	s_and_saveexec_b64 s[38:39], s[40:41]
	s_cbranch_execz .LBB44_10
; %bb.9:                                ;   in Loop: Header=BB44_4 Depth=2
	v_bcnt_u32_b32 v1, v1, 0
	v_bcnt_u32_b32 v1, v2, v1
	s_waitcnt lgkmcnt(0)
	v_add_u32_e32 v1, v34, v1
	ds_write_b32 v35, v1 offset:32
.LBB44_10:                              ;   in Loop: Header=BB44_4 Depth=2
	s_or_b64 exec, exec, s[38:39]
	v_lshrrev_b32_e32 v1, v26, v24
	v_lshlrev_b32_sdwa v2, v23, v1 dst_sel:DWORD dst_unused:UNUSED_PAD src0_sel:DWORD src1_sel:BYTE_0
	v_add_u32_e32 v38, v21, v2
	v_and_b32_e32 v2, 1, v1
	v_add_co_u32_e32 v3, vcc, -1, v2
	v_addc_co_u32_e64 v4, s[38:39], 0, -1, vcc
	v_cmp_ne_u32_e32 vcc, 0, v2
	v_lshlrev_b32_e32 v6, 30, v1
	v_xor_b32_e32 v2, vcc_hi, v4
	v_xor_b32_e32 v3, vcc_lo, v3
	v_cmp_gt_i64_e32 vcc, 0, v[5:6]
	v_not_b32_e32 v4, v6
	v_ashrrev_i32_e32 v4, 31, v4
	v_and_b32_e32 v2, exec_hi, v2
	v_xor_b32_e32 v6, vcc_hi, v4
	v_and_b32_e32 v3, exec_lo, v3
	v_xor_b32_e32 v4, vcc_lo, v4
	v_and_b32_e32 v2, v2, v6
	v_lshlrev_b32_e32 v6, 29, v1
	v_and_b32_e32 v3, v3, v4
	v_cmp_gt_i64_e32 vcc, 0, v[5:6]
	v_not_b32_e32 v4, v6
	v_ashrrev_i32_e32 v4, 31, v4
	v_xor_b32_e32 v6, vcc_hi, v4
	v_xor_b32_e32 v4, vcc_lo, v4
	v_and_b32_e32 v2, v2, v6
	v_lshlrev_b32_e32 v6, 28, v1
	v_and_b32_e32 v3, v3, v4
	v_cmp_gt_i64_e32 vcc, 0, v[5:6]
	v_not_b32_e32 v4, v6
	v_ashrrev_i32_e32 v4, 31, v4
	v_xor_b32_e32 v6, vcc_hi, v4
	;; [unrolled: 8-line block ×5, first 2 shown]
	v_and_b32_e32 v2, v2, v6
	v_lshlrev_b32_e32 v6, 24, v1
	v_xor_b32_e32 v4, vcc_lo, v4
	v_cmp_gt_i64_e32 vcc, 0, v[5:6]
	v_not_b32_e32 v1, v6
	v_ashrrev_i32_e32 v1, 31, v1
	v_and_b32_e32 v3, v3, v4
	v_xor_b32_e32 v4, vcc_hi, v1
	v_xor_b32_e32 v1, vcc_lo, v1
	; wave barrier
	ds_read_b32 v37, v38 offset:32
	v_and_b32_e32 v1, v3, v1
	v_and_b32_e32 v2, v2, v4
	v_mbcnt_lo_u32_b32 v3, v1, 0
	v_mbcnt_hi_u32_b32 v6, v2, v3
	v_cmp_ne_u64_e32 vcc, 0, v[1:2]
	v_cmp_eq_u32_e64 s[38:39], 0, v6
	s_and_b64 s[40:41], vcc, s[38:39]
	; wave barrier
	s_and_saveexec_b64 s[38:39], s[40:41]
	s_cbranch_execz .LBB44_12
; %bb.11:                               ;   in Loop: Header=BB44_4 Depth=2
	v_bcnt_u32_b32 v1, v1, 0
	v_bcnt_u32_b32 v1, v2, v1
	s_waitcnt lgkmcnt(0)
	v_add_u32_e32 v1, v37, v1
	ds_write_b32 v38, v1 offset:32
.LBB44_12:                              ;   in Loop: Header=BB44_4 Depth=2
	s_or_b64 exec, exec, s[38:39]
	; wave barrier
	s_waitcnt lgkmcnt(0)
	s_barrier
	ds_read2_b64 v[1:4], v15 offset0:4 offset1:5
	s_waitcnt lgkmcnt(0)
	v_add_u32_e32 v39, v2, v1
	v_add3_u32 v4, v39, v3, v4
	s_nop 1
	v_mov_b32_dpp v39, v4 row_shr:1 row_mask:0xf bank_mask:0xf
	v_cndmask_b32_e64 v39, v39, 0, s[8:9]
	v_add_u32_e32 v4, v39, v4
	s_nop 1
	v_mov_b32_dpp v39, v4 row_shr:2 row_mask:0xf bank_mask:0xf
	v_cndmask_b32_e64 v39, 0, v39, s[10:11]
	v_add_u32_e32 v4, v4, v39
	s_nop 1
	v_mov_b32_dpp v39, v4 row_shr:4 row_mask:0xf bank_mask:0xf
	v_cndmask_b32_e64 v39, 0, v39, s[12:13]
	v_add_u32_e32 v4, v4, v39
	s_nop 1
	v_mov_b32_dpp v39, v4 row_shr:8 row_mask:0xf bank_mask:0xf
	v_cndmask_b32_e64 v39, 0, v39, s[14:15]
	v_add_u32_e32 v4, v4, v39
	s_nop 1
	v_mov_b32_dpp v39, v4 row_bcast:15 row_mask:0xf bank_mask:0xf
	v_cndmask_b32_e64 v39, v39, 0, s[16:17]
	v_add_u32_e32 v4, v4, v39
	s_nop 1
	v_mov_b32_dpp v39, v4 row_bcast:31 row_mask:0xf bank_mask:0xf
	v_cndmask_b32_e64 v39, 0, v39, s[18:19]
	v_add_u32_e32 v4, v4, v39
	s_and_saveexec_b64 s[38:39], s[20:21]
; %bb.13:                               ;   in Loop: Header=BB44_4 Depth=2
	ds_write_b32 v17, v4
; %bb.14:                               ;   in Loop: Header=BB44_4 Depth=2
	s_or_b64 exec, exec, s[38:39]
	s_waitcnt lgkmcnt(0)
	s_barrier
	s_and_saveexec_b64 s[38:39], s[22:23]
	s_cbranch_execz .LBB44_16
; %bb.15:                               ;   in Loop: Header=BB44_4 Depth=2
	ds_read_b32 v39, v18
	s_waitcnt lgkmcnt(0)
	s_nop 0
	v_mov_b32_dpp v40, v39 row_shr:1 row_mask:0xf bank_mask:0xf
	v_cndmask_b32_e64 v40, v40, 0, s[30:31]
	v_add_u32_e32 v39, v40, v39
	s_nop 1
	v_mov_b32_dpp v40, v39 row_shr:2 row_mask:0xf bank_mask:0xf
	v_cndmask_b32_e64 v40, 0, v40, s[34:35]
	v_add_u32_e32 v39, v39, v40
	s_nop 1
	v_mov_b32_dpp v40, v39 row_shr:4 row_mask:0xf bank_mask:0xf
	v_cndmask_b32_e64 v40, 0, v40, s[36:37]
	v_add_u32_e32 v39, v39, v40
	ds_write_b32 v18, v39
.LBB44_16:                              ;   in Loop: Header=BB44_4 Depth=2
	s_or_b64 exec, exec, s[38:39]
	v_mov_b32_e32 v39, 0
	s_waitcnt lgkmcnt(0)
	s_barrier
	s_and_saveexec_b64 s[38:39], s[24:25]
; %bb.17:                               ;   in Loop: Header=BB44_4 Depth=2
	ds_read_b32 v39, v20
; %bb.18:                               ;   in Loop: Header=BB44_4 Depth=2
	s_or_b64 exec, exec, s[38:39]
	s_waitcnt lgkmcnt(0)
	v_add_u32_e32 v4, v39, v4
	ds_bpermute_b32 v4, v16, v4
	v_cmp_lt_u32_e32 vcc, 23, v26
	s_and_b64 vcc, exec, vcc
	s_mov_b64 s[38:39], -1
	s_waitcnt lgkmcnt(0)
	v_cndmask_b32_e64 v4, v4, v39, s[26:27]
	v_cndmask_b32_e64 v39, v4, 0, s[28:29]
	v_add_u32_e32 v40, v39, v1
	v_add_u32_e32 v1, v40, v2
	;; [unrolled: 1-line block ×3, first 2 shown]
	ds_write2_b64 v15, v[39:40], v[1:2] offset0:4 offset1:5
	s_waitcnt lgkmcnt(0)
	s_barrier
	ds_read_b32 v1, v30 offset:32
	ds_read_b32 v2, v32 offset:32
	;; [unrolled: 1-line block ×4, first 2 shown]
	s_waitcnt lgkmcnt(3)
	v_add_u32_e32 v32, v1, v29
	s_waitcnt lgkmcnt(2)
	v_add3_u32 v30, v33, v31, v2
	s_waitcnt lgkmcnt(1)
	v_add3_u32 v29, v36, v34, v3
	;; [unrolled: 2-line block ×3, first 2 shown]
                                        ; implicit-def: $vgpr4
                                        ; implicit-def: $vgpr2
	s_cbranch_vccnz .LBB44_3
; %bb.19:                               ;   in Loop: Header=BB44_4 Depth=2
	v_lshlrev_b32_e32 v1, 2, v32
	s_barrier
	ds_write_b32 v1, v28
	v_lshlrev_b32_e32 v1, 2, v30
	ds_write_b32 v1, v27
	v_lshlrev_b32_e32 v1, 2, v29
	;; [unrolled: 2-line block ×3, first 2 shown]
	ds_write_b32 v1, v24
	s_waitcnt lgkmcnt(0)
	s_barrier
	ds_read2st64_b32 v[1:2], v19 offset1:1
	ds_read2st64_b32 v[3:4], v19 offset0:2 offset1:3
	v_add_u32_e32 v26, 8, v26
	s_mov_b64 s[38:39], 0
	s_waitcnt lgkmcnt(0)
	s_barrier
	s_branch .LBB44_3
.LBB44_20:
	s_add_u32 s0, s42, s46
	s_addc_u32 s1, s43, s47
	v_lshlrev_b32_e32 v0, 2, v0
	v_mov_b32_e32 v1, s1
	v_add_co_u32_e32 v2, vcc, s0, v0
	v_addc_co_u32_e32 v1, vcc, 0, v1, vcc
	global_store_dword v0, v24, s[0:1]
	global_store_dword v0, v4, s[0:1] offset:2048
	v_add_co_u32_e32 v0, vcc, 0x1000, v2
	v_addc_co_u32_e32 v1, vcc, 0, v1, vcc
	global_store_dword v[0:1], v3, off
	global_store_dword v[0:1], v6, off offset:2048
	s_endpgm
	.section	.rodata,"a",@progbits
	.p2align	6, 0x0
	.amdhsa_kernel _Z16sort_keys_kernelI22helper_blocked_blockediLj512ELj4ELj10EEvPKT0_PS1_
		.amdhsa_group_segment_fixed_size 8224
		.amdhsa_private_segment_fixed_size 0
		.amdhsa_kernarg_size 272
		.amdhsa_user_sgpr_count 6
		.amdhsa_user_sgpr_private_segment_buffer 1
		.amdhsa_user_sgpr_dispatch_ptr 0
		.amdhsa_user_sgpr_queue_ptr 0
		.amdhsa_user_sgpr_kernarg_segment_ptr 1
		.amdhsa_user_sgpr_dispatch_id 0
		.amdhsa_user_sgpr_flat_scratch_init 0
		.amdhsa_user_sgpr_private_segment_size 0
		.amdhsa_uses_dynamic_stack 0
		.amdhsa_system_sgpr_private_segment_wavefront_offset 0
		.amdhsa_system_sgpr_workgroup_id_x 1
		.amdhsa_system_sgpr_workgroup_id_y 0
		.amdhsa_system_sgpr_workgroup_id_z 0
		.amdhsa_system_sgpr_workgroup_info 0
		.amdhsa_system_vgpr_workitem_id 2
		.amdhsa_next_free_vgpr 41
		.amdhsa_next_free_sgpr 48
		.amdhsa_reserve_vcc 1
		.amdhsa_reserve_flat_scratch 0
		.amdhsa_float_round_mode_32 0
		.amdhsa_float_round_mode_16_64 0
		.amdhsa_float_denorm_mode_32 3
		.amdhsa_float_denorm_mode_16_64 3
		.amdhsa_dx10_clamp 1
		.amdhsa_ieee_mode 1
		.amdhsa_fp16_overflow 0
		.amdhsa_exception_fp_ieee_invalid_op 0
		.amdhsa_exception_fp_denorm_src 0
		.amdhsa_exception_fp_ieee_div_zero 0
		.amdhsa_exception_fp_ieee_overflow 0
		.amdhsa_exception_fp_ieee_underflow 0
		.amdhsa_exception_fp_ieee_inexact 0
		.amdhsa_exception_int_div_zero 0
	.end_amdhsa_kernel
	.section	.text._Z16sort_keys_kernelI22helper_blocked_blockediLj512ELj4ELj10EEvPKT0_PS1_,"axG",@progbits,_Z16sort_keys_kernelI22helper_blocked_blockediLj512ELj4ELj10EEvPKT0_PS1_,comdat
.Lfunc_end44:
	.size	_Z16sort_keys_kernelI22helper_blocked_blockediLj512ELj4ELj10EEvPKT0_PS1_, .Lfunc_end44-_Z16sort_keys_kernelI22helper_blocked_blockediLj512ELj4ELj10EEvPKT0_PS1_
                                        ; -- End function
	.set _Z16sort_keys_kernelI22helper_blocked_blockediLj512ELj4ELj10EEvPKT0_PS1_.num_vgpr, 41
	.set _Z16sort_keys_kernelI22helper_blocked_blockediLj512ELj4ELj10EEvPKT0_PS1_.num_agpr, 0
	.set _Z16sort_keys_kernelI22helper_blocked_blockediLj512ELj4ELj10EEvPKT0_PS1_.numbered_sgpr, 48
	.set _Z16sort_keys_kernelI22helper_blocked_blockediLj512ELj4ELj10EEvPKT0_PS1_.num_named_barrier, 0
	.set _Z16sort_keys_kernelI22helper_blocked_blockediLj512ELj4ELj10EEvPKT0_PS1_.private_seg_size, 0
	.set _Z16sort_keys_kernelI22helper_blocked_blockediLj512ELj4ELj10EEvPKT0_PS1_.uses_vcc, 1
	.set _Z16sort_keys_kernelI22helper_blocked_blockediLj512ELj4ELj10EEvPKT0_PS1_.uses_flat_scratch, 0
	.set _Z16sort_keys_kernelI22helper_blocked_blockediLj512ELj4ELj10EEvPKT0_PS1_.has_dyn_sized_stack, 0
	.set _Z16sort_keys_kernelI22helper_blocked_blockediLj512ELj4ELj10EEvPKT0_PS1_.has_recursion, 0
	.set _Z16sort_keys_kernelI22helper_blocked_blockediLj512ELj4ELj10EEvPKT0_PS1_.has_indirect_call, 0
	.section	.AMDGPU.csdata,"",@progbits
; Kernel info:
; codeLenInByte = 3076
; TotalNumSgprs: 52
; NumVgprs: 41
; ScratchSize: 0
; MemoryBound: 0
; FloatMode: 240
; IeeeMode: 1
; LDSByteSize: 8224 bytes/workgroup (compile time only)
; SGPRBlocks: 6
; VGPRBlocks: 10
; NumSGPRsForWavesPerEU: 52
; NumVGPRsForWavesPerEU: 41
; Occupancy: 5
; WaveLimiterHint : 1
; COMPUTE_PGM_RSRC2:SCRATCH_EN: 0
; COMPUTE_PGM_RSRC2:USER_SGPR: 6
; COMPUTE_PGM_RSRC2:TRAP_HANDLER: 0
; COMPUTE_PGM_RSRC2:TGID_X_EN: 1
; COMPUTE_PGM_RSRC2:TGID_Y_EN: 0
; COMPUTE_PGM_RSRC2:TGID_Z_EN: 0
; COMPUTE_PGM_RSRC2:TIDIG_COMP_CNT: 2
	.section	.text._Z17sort_pairs_kernelI22helper_blocked_blockediLj512ELj4ELj10EEvPKT0_PS1_,"axG",@progbits,_Z17sort_pairs_kernelI22helper_blocked_blockediLj512ELj4ELj10EEvPKT0_PS1_,comdat
	.protected	_Z17sort_pairs_kernelI22helper_blocked_blockediLj512ELj4ELj10EEvPKT0_PS1_ ; -- Begin function _Z17sort_pairs_kernelI22helper_blocked_blockediLj512ELj4ELj10EEvPKT0_PS1_
	.globl	_Z17sort_pairs_kernelI22helper_blocked_blockediLj512ELj4ELj10EEvPKT0_PS1_
	.p2align	8
	.type	_Z17sort_pairs_kernelI22helper_blocked_blockediLj512ELj4ELj10EEvPKT0_PS1_,@function
_Z17sort_pairs_kernelI22helper_blocked_blockediLj512ELj4ELj10EEvPKT0_PS1_: ; @_Z17sort_pairs_kernelI22helper_blocked_blockediLj512ELj4ELj10EEvPKT0_PS1_
; %bb.0:
	s_load_dwordx4 s[40:43], s[4:5], 0x0
	s_load_dword s33, s[4:5], 0x1c
	s_lshl_b32 s46, s6, 11
	s_mov_b32 s47, 0
	s_lshl_b64 s[44:45], s[46:47], 2
	s_waitcnt lgkmcnt(0)
	s_add_u32 s0, s40, s44
	s_addc_u32 s1, s41, s45
	v_lshlrev_b32_e32 v5, 2, v0
	v_mov_b32_e32 v3, s1
	v_add_co_u32_e32 v4, vcc, s0, v5
	v_addc_co_u32_e32 v6, vcc, 0, v3, vcc
	s_movk_i32 s2, 0x1000
	v_add_co_u32_e32 v3, vcc, s2, v4
	v_addc_co_u32_e32 v4, vcc, 0, v6, vcc
	global_load_dword v11, v5, s[0:1]
	global_load_dword v12, v5, s[0:1] offset:2048
	global_load_dword v6, v[3:4], off
	global_load_dword v13, v[3:4], off offset:2048
	s_lshr_b32 s40, s33, 16
	s_and_b32 s33, s33, 0xffff
	v_mad_u32_u24 v1, v2, s40, v1
	v_mbcnt_lo_u32_b32 v3, -1, 0
	v_mad_u64_u32 v[1:2], s[40:41], v1, s33, v[0:1]
	v_mbcnt_hi_u32_b32 v3, -1, v3
	v_or_b32_e32 v4, 63, v0
	v_lshlrev_b32_e32 v18, 4, v0
	v_lshrrev_b32_e32 v7, 4, v0
	v_lshrrev_b32_e32 v9, 2, v3
	v_and_b32_e32 v10, 3, v3
	v_and_b32_e32 v14, 64, v3
	v_cmp_eq_u32_e64 s[8:9], v0, v4
	v_subrev_co_u32_e64 v4, s[10:11], 1, v3
	v_mul_u32_u24_e32 v8, 12, v0
	s_mov_b32 s38, s47
	v_and_b32_e32 v19, 28, v7
	v_mad_i32_i24 v20, v0, -12, v18
	v_and_b32_e32 v7, 7, v3
	v_and_b32_e32 v21, 0x1c00, v18
	s_mov_b32 s46, s47
	v_cmp_eq_u32_e64 s[12:13], 3, v10
	v_cmp_eq_u32_e64 s[14:15], 2, v10
	;; [unrolled: 1-line block ×4, first 2 shown]
	v_or_b32_e32 v10, v9, v14
	v_add_u32_e32 v9, 48, v9
	v_cmp_lt_i32_e32 vcc, v4, v14
	s_mov_b32 s39, s47
	v_and_b32_e32 v15, 15, v3
	v_and_b32_e32 v16, 16, v3
	v_cmp_lt_u32_e64 s[6:7], 31, v3
	v_cndmask_b32_e32 v4, v4, v3, vcc
	v_cmp_eq_u32_e64 s[30:31], 0, v7
	v_cmp_lt_u32_e64 s[34:35], 1, v7
	v_cmp_lt_u32_e64 s[36:37], 3, v7
	v_lshl_or_b32 v21, v3, 2, v21
	v_add_u32_e32 v22, v20, v8
	v_mov_b32_e32 v7, s46
	v_lshlrev_b32_e32 v24, 2, v10
	v_and_or_b32 v3, v9, 63, v14
	v_lshrrev_b32_e32 v1, 4, v1
	v_mov_b32_e32 v9, s38
	v_mov_b32_e32 v17, 5
	;; [unrolled: 1-line block ×3, first 2 shown]
	v_cmp_gt_u32_e64 s[0:1], 8, v0
	v_cmp_lt_u32_e64 s[2:3], 63, v0
	v_cmp_eq_u32_e64 s[4:5], 0, v0
	v_cmp_eq_u32_e64 s[20:21], 0, v15
	v_cmp_lt_u32_e64 s[22:23], 1, v15
	v_cmp_lt_u32_e64 s[24:25], 3, v15
	;; [unrolled: 1-line block ×3, first 2 shown]
	v_cmp_eq_u32_e64 s[28:29], 0, v16
	v_add_u32_e32 v23, -4, v19
	v_mov_b32_e32 v8, s47
	v_lshlrev_b32_e32 v25, 2, v4
	v_lshlrev_b32_e32 v26, 2, v3
	v_add_u32_e32 v27, 64, v24
	v_or_b32_e32 v28, 0x80, v24
	v_and_b32_e32 v29, 0xffffffc, v1
	v_mov_b32_e32 v10, s39
	s_waitcnt vmcnt(3)
	v_add_u32_e32 v1, 1, v11
	s_waitcnt vmcnt(2)
	v_add_u32_e32 v2, 1, v12
	;; [unrolled: 2-line block ×4, first 2 shown]
	s_branch .LBB45_2
.LBB45_1:                               ;   in Loop: Header=BB45_2 Depth=1
	v_lshlrev_b32_e32 v1, 2, v42
	v_lshlrev_b32_e32 v2, 2, v39
	;; [unrolled: 1-line block ×4, first 2 shown]
	s_barrier
	ds_write_b32 v1, v38
	ds_write_b32 v2, v37
	;; [unrolled: 1-line block ×4, first 2 shown]
	s_waitcnt lgkmcnt(0)
	s_barrier
	ds_read2_b64 v[11:14], v22 offset1:1
	s_waitcnt lgkmcnt(0)
	s_barrier
	ds_write_b32 v1, v33
	ds_write_b32 v2, v32
	;; [unrolled: 1-line block ×4, first 2 shown]
	s_waitcnt lgkmcnt(0)
	s_barrier
	ds_read2_b64 v[1:4], v22 offset1:1
	s_add_i32 s47, s47, 1
	v_xor_b32_e32 v11, 0x80000000, v11
	v_xor_b32_e32 v12, 0x80000000, v12
	;; [unrolled: 1-line block ×3, first 2 shown]
	s_cmp_eq_u32 s47, 10
	v_xor_b32_e32 v13, 0x80000000, v14
	s_cbranch_scc1 .LBB45_20
.LBB45_2:                               ; =>This Loop Header: Depth=1
                                        ;     Child Loop BB45_4 Depth 2
	v_xor_b32_e32 v14, 0x80000000, v11
	v_xor_b32_e32 v15, 0x80000000, v12
	ds_bpermute_b32 v11, v24, v14
	ds_bpermute_b32 v12, v24, v15
	v_xor_b32_e32 v6, 0x80000000, v6
	v_xor_b32_e32 v16, 0x80000000, v13
	ds_bpermute_b32 v13, v24, v16
	s_waitcnt lgkmcnt(2)
	v_cndmask_b32_e64 v11, 0, v11, s[18:19]
	s_waitcnt lgkmcnt(1)
	v_cndmask_b32_e64 v11, v11, v12, s[16:17]
	ds_bpermute_b32 v12, v24, v6
	ds_bpermute_b32 v30, v27, v14
	ds_bpermute_b32 v31, v27, v15
	ds_bpermute_b32 v32, v27, v6
	ds_bpermute_b32 v33, v28, v16
	s_waitcnt lgkmcnt(4)
	v_cndmask_b32_e64 v11, v11, v12, s[14:15]
	v_cndmask_b32_e64 v11, v11, v13, s[12:13]
	s_waitcnt lgkmcnt(3)
	v_cndmask_b32_e64 v12, 0, v30, s[18:19]
	ds_bpermute_b32 v13, v27, v16
	ds_bpermute_b32 v30, v28, v14
	;; [unrolled: 1-line block ×3, first 2 shown]
	s_waitcnt lgkmcnt(5)
	v_cndmask_b32_e64 v12, v12, v31, s[16:17]
	ds_bpermute_b32 v31, v28, v15
	ds_bpermute_b32 v15, v26, v15
	s_waitcnt lgkmcnt(6)
	v_cndmask_b32_e64 v12, v12, v32, s[14:15]
	ds_bpermute_b32 v32, v28, v6
	ds_bpermute_b32 v6, v26, v6
	;; [unrolled: 1-line block ×3, first 2 shown]
	s_waitcnt lgkmcnt(7)
	v_cndmask_b32_e64 v12, v12, v13, s[12:13]
	s_waitcnt lgkmcnt(6)
	v_cndmask_b32_e64 v13, 0, v30, s[18:19]
	ds_bpermute_b32 v30, v24, v1
	s_waitcnt lgkmcnt(6)
	v_cndmask_b32_e64 v14, 0, v14, s[18:19]
	s_waitcnt lgkmcnt(4)
	v_cndmask_b32_e64 v14, v14, v15, s[16:17]
	;; [unrolled: 2-line block ×3, first 2 shown]
	ds_bpermute_b32 v15, v24, v2
	s_waitcnt lgkmcnt(2)
	v_cndmask_b32_e64 v14, v6, v16, s[12:13]
	ds_bpermute_b32 v16, v24, v3
	v_cndmask_b32_e64 v13, v13, v31, s[16:17]
	s_waitcnt lgkmcnt(2)
	v_cndmask_b32_e64 v6, 0, v30, s[18:19]
	ds_bpermute_b32 v30, v24, v4
	ds_bpermute_b32 v31, v27, v1
	v_cndmask_b32_e64 v13, v13, v32, s[14:15]
	ds_bpermute_b32 v32, v27, v2
	s_waitcnt lgkmcnt(4)
	v_cndmask_b32_e64 v6, v6, v15, s[16:17]
	s_waitcnt lgkmcnt(3)
	v_cndmask_b32_e64 v6, v6, v16, s[14:15]
	ds_bpermute_b32 v16, v27, v3
	s_waitcnt lgkmcnt(3)
	v_cndmask_b32_e64 v15, v6, v30, s[12:13]
	s_waitcnt lgkmcnt(2)
	v_cndmask_b32_e64 v6, 0, v31, s[18:19]
	ds_bpermute_b32 v30, v27, v4
	ds_bpermute_b32 v31, v28, v1
	s_waitcnt lgkmcnt(3)
	v_cndmask_b32_e64 v6, v6, v32, s[16:17]
	ds_bpermute_b32 v32, v28, v2
	v_cndmask_b32_e64 v13, v13, v33, s[12:13]
	ds_bpermute_b32 v33, v28, v3
	s_waitcnt lgkmcnt(4)
	v_cndmask_b32_e64 v6, v6, v16, s[14:15]
	s_waitcnt lgkmcnt(3)
	v_cndmask_b32_e64 v16, v6, v30, s[12:13]
	;; [unrolled: 2-line block ×3, first 2 shown]
	ds_bpermute_b32 v30, v28, v4
	ds_bpermute_b32 v31, v26, v1
	;; [unrolled: 1-line block ×4, first 2 shown]
	s_waitcnt lgkmcnt(5)
	v_cndmask_b32_e64 v6, v6, v32, s[16:17]
	ds_bpermute_b32 v4, v26, v4
	s_waitcnt lgkmcnt(5)
	v_cndmask_b32_e64 v6, v6, v33, s[14:15]
	s_waitcnt lgkmcnt(4)
	v_cndmask_b32_e64 v1, v6, v30, s[12:13]
	;; [unrolled: 2-line block ×6, first 2 shown]
	v_mov_b32_e32 v35, v5
	s_barrier
	s_branch .LBB45_4
.LBB45_3:                               ;   in Loop: Header=BB45_4 Depth=2
	s_andn2_b64 vcc, exec, s[38:39]
	s_cbranch_vccz .LBB45_1
.LBB45_4:                               ;   Parent Loop BB45_2 Depth=1
                                        ; =>  This Inner Loop Header: Depth=2
	v_mov_b32_e32 v38, v11
	v_mov_b32_e32 v31, v1
	v_lshrrev_b32_e32 v1, v35, v38
	v_mov_b32_e32 v30, v2
	v_and_b32_e32 v2, 1, v1
	v_add_co_u32_e32 v4, vcc, -1, v2
	v_addc_co_u32_e64 v6, s[38:39], 0, -1, vcc
	v_cmp_ne_u32_e32 vcc, 0, v2
	v_xor_b32_e32 v2, vcc_hi, v6
	v_lshlrev_b32_e32 v6, 30, v1
	v_xor_b32_e32 v4, vcc_lo, v4
	v_cmp_gt_i64_e32 vcc, 0, v[5:6]
	v_not_b32_e32 v6, v6
	v_ashrrev_i32_e32 v6, 31, v6
	v_and_b32_e32 v4, exec_lo, v4
	v_xor_b32_e32 v11, vcc_hi, v6
	v_xor_b32_e32 v6, vcc_lo, v6
	v_and_b32_e32 v4, v4, v6
	v_lshlrev_b32_e32 v6, 29, v1
	v_cmp_gt_i64_e32 vcc, 0, v[5:6]
	v_not_b32_e32 v6, v6
	v_and_b32_e32 v2, exec_hi, v2
	v_ashrrev_i32_e32 v6, 31, v6
	v_and_b32_e32 v2, v2, v11
	v_xor_b32_e32 v11, vcc_hi, v6
	v_xor_b32_e32 v6, vcc_lo, v6
	v_and_b32_e32 v4, v4, v6
	v_lshlrev_b32_e32 v6, 28, v1
	v_cmp_gt_i64_e32 vcc, 0, v[5:6]
	v_not_b32_e32 v6, v6
	v_ashrrev_i32_e32 v6, 31, v6
	v_and_b32_e32 v2, v2, v11
	v_xor_b32_e32 v11, vcc_hi, v6
	v_xor_b32_e32 v6, vcc_lo, v6
	v_and_b32_e32 v4, v4, v6
	v_lshlrev_b32_e32 v6, 27, v1
	v_cmp_gt_i64_e32 vcc, 0, v[5:6]
	v_not_b32_e32 v6, v6
	;; [unrolled: 8-line block ×4, first 2 shown]
	v_ashrrev_i32_e32 v6, 31, v6
	v_and_b32_e32 v2, v2, v11
	v_xor_b32_e32 v11, vcc_hi, v6
	v_xor_b32_e32 v6, vcc_lo, v6
	v_and_b32_e32 v4, v4, v6
	v_lshlrev_b32_e32 v6, 24, v1
	v_lshlrev_b32_sdwa v3, v17, v1 dst_sel:DWORD dst_unused:UNUSED_PAD src0_sel:DWORD src1_sel:BYTE_0
	v_cmp_gt_i64_e32 vcc, 0, v[5:6]
	v_not_b32_e32 v1, v6
	v_ashrrev_i32_e32 v1, 31, v1
	v_xor_b32_e32 v6, vcc_hi, v1
	v_xor_b32_e32 v1, vcc_lo, v1
	v_and_b32_e32 v2, v2, v11
	v_and_b32_e32 v1, v4, v1
	;; [unrolled: 1-line block ×3, first 2 shown]
	v_mbcnt_lo_u32_b32 v4, v1, 0
	v_mbcnt_hi_u32_b32 v11, v2, v4
	v_cmp_ne_u64_e32 vcc, 0, v[1:2]
	v_cmp_eq_u32_e64 s[38:39], 0, v11
	v_mov_b32_e32 v34, v14
	v_mov_b32_e32 v36, v13
	;; [unrolled: 1-line block ×5, first 2 shown]
	s_and_b64 s[40:41], vcc, s[38:39]
	v_add_u32_e32 v12, v29, v3
	ds_write2_b64 v18, v[7:8], v[9:10] offset0:4 offset1:5
	s_waitcnt lgkmcnt(0)
	s_barrier
	; wave barrier
	s_and_saveexec_b64 s[38:39], s[40:41]
; %bb.5:                                ;   in Loop: Header=BB45_4 Depth=2
	v_bcnt_u32_b32 v1, v1, 0
	v_bcnt_u32_b32 v1, v2, v1
	ds_write_b32 v12, v1 offset:32
; %bb.6:                                ;   in Loop: Header=BB45_4 Depth=2
	s_or_b64 exec, exec, s[38:39]
	v_lshrrev_b32_e32 v1, v35, v37
	v_lshlrev_b32_sdwa v2, v17, v1 dst_sel:DWORD dst_unused:UNUSED_PAD src0_sel:DWORD src1_sel:BYTE_0
	v_add_u32_e32 v14, v29, v2
	v_and_b32_e32 v2, 1, v1
	v_add_co_u32_e32 v3, vcc, -1, v2
	v_addc_co_u32_e64 v4, s[38:39], 0, -1, vcc
	v_cmp_ne_u32_e32 vcc, 0, v2
	v_lshlrev_b32_e32 v6, 30, v1
	v_xor_b32_e32 v2, vcc_hi, v4
	v_xor_b32_e32 v3, vcc_lo, v3
	v_cmp_gt_i64_e32 vcc, 0, v[5:6]
	v_not_b32_e32 v4, v6
	v_ashrrev_i32_e32 v4, 31, v4
	v_and_b32_e32 v2, exec_hi, v2
	v_xor_b32_e32 v6, vcc_hi, v4
	v_and_b32_e32 v3, exec_lo, v3
	v_xor_b32_e32 v4, vcc_lo, v4
	v_and_b32_e32 v2, v2, v6
	v_lshlrev_b32_e32 v6, 29, v1
	v_and_b32_e32 v3, v3, v4
	v_cmp_gt_i64_e32 vcc, 0, v[5:6]
	v_not_b32_e32 v4, v6
	v_ashrrev_i32_e32 v4, 31, v4
	v_xor_b32_e32 v6, vcc_hi, v4
	v_xor_b32_e32 v4, vcc_lo, v4
	v_and_b32_e32 v2, v2, v6
	v_lshlrev_b32_e32 v6, 28, v1
	v_and_b32_e32 v3, v3, v4
	v_cmp_gt_i64_e32 vcc, 0, v[5:6]
	v_not_b32_e32 v4, v6
	v_ashrrev_i32_e32 v4, 31, v4
	v_xor_b32_e32 v6, vcc_hi, v4
	;; [unrolled: 8-line block ×5, first 2 shown]
	v_and_b32_e32 v2, v2, v6
	v_lshlrev_b32_e32 v6, 24, v1
	v_xor_b32_e32 v4, vcc_lo, v4
	v_cmp_gt_i64_e32 vcc, 0, v[5:6]
	v_not_b32_e32 v1, v6
	v_ashrrev_i32_e32 v1, 31, v1
	v_and_b32_e32 v3, v3, v4
	v_xor_b32_e32 v4, vcc_hi, v1
	v_xor_b32_e32 v1, vcc_lo, v1
	; wave barrier
	ds_read_b32 v13, v14 offset:32
	v_and_b32_e32 v1, v3, v1
	v_and_b32_e32 v2, v2, v4
	v_mbcnt_lo_u32_b32 v3, v1, 0
	v_mbcnt_hi_u32_b32 v15, v2, v3
	v_cmp_ne_u64_e32 vcc, 0, v[1:2]
	v_cmp_eq_u32_e64 s[38:39], 0, v15
	s_and_b64 s[40:41], vcc, s[38:39]
	; wave barrier
	s_and_saveexec_b64 s[38:39], s[40:41]
	s_cbranch_execz .LBB45_8
; %bb.7:                                ;   in Loop: Header=BB45_4 Depth=2
	v_bcnt_u32_b32 v1, v1, 0
	v_bcnt_u32_b32 v1, v2, v1
	s_waitcnt lgkmcnt(0)
	v_add_u32_e32 v1, v13, v1
	ds_write_b32 v14, v1 offset:32
.LBB45_8:                               ;   in Loop: Header=BB45_4 Depth=2
	s_or_b64 exec, exec, s[38:39]
	v_lshrrev_b32_e32 v1, v35, v36
	v_lshlrev_b32_sdwa v2, v17, v1 dst_sel:DWORD dst_unused:UNUSED_PAD src0_sel:DWORD src1_sel:BYTE_0
	v_add_u32_e32 v39, v29, v2
	v_and_b32_e32 v2, 1, v1
	v_add_co_u32_e32 v3, vcc, -1, v2
	v_addc_co_u32_e64 v4, s[38:39], 0, -1, vcc
	v_cmp_ne_u32_e32 vcc, 0, v2
	v_lshlrev_b32_e32 v6, 30, v1
	v_xor_b32_e32 v2, vcc_hi, v4
	v_xor_b32_e32 v3, vcc_lo, v3
	v_cmp_gt_i64_e32 vcc, 0, v[5:6]
	v_not_b32_e32 v4, v6
	v_ashrrev_i32_e32 v4, 31, v4
	v_and_b32_e32 v2, exec_hi, v2
	v_xor_b32_e32 v6, vcc_hi, v4
	v_and_b32_e32 v3, exec_lo, v3
	v_xor_b32_e32 v4, vcc_lo, v4
	v_and_b32_e32 v2, v2, v6
	v_lshlrev_b32_e32 v6, 29, v1
	v_and_b32_e32 v3, v3, v4
	v_cmp_gt_i64_e32 vcc, 0, v[5:6]
	v_not_b32_e32 v4, v6
	v_ashrrev_i32_e32 v4, 31, v4
	v_xor_b32_e32 v6, vcc_hi, v4
	v_xor_b32_e32 v4, vcc_lo, v4
	v_and_b32_e32 v2, v2, v6
	v_lshlrev_b32_e32 v6, 28, v1
	v_and_b32_e32 v3, v3, v4
	v_cmp_gt_i64_e32 vcc, 0, v[5:6]
	v_not_b32_e32 v4, v6
	v_ashrrev_i32_e32 v4, 31, v4
	v_xor_b32_e32 v6, vcc_hi, v4
	;; [unrolled: 8-line block ×5, first 2 shown]
	v_and_b32_e32 v2, v2, v6
	v_lshlrev_b32_e32 v6, 24, v1
	v_xor_b32_e32 v4, vcc_lo, v4
	v_cmp_gt_i64_e32 vcc, 0, v[5:6]
	v_not_b32_e32 v1, v6
	v_ashrrev_i32_e32 v1, 31, v1
	v_and_b32_e32 v3, v3, v4
	v_xor_b32_e32 v4, vcc_hi, v1
	v_xor_b32_e32 v1, vcc_lo, v1
	; wave barrier
	ds_read_b32 v16, v39 offset:32
	v_and_b32_e32 v1, v3, v1
	v_and_b32_e32 v2, v2, v4
	v_mbcnt_lo_u32_b32 v3, v1, 0
	v_mbcnt_hi_u32_b32 v40, v2, v3
	v_cmp_ne_u64_e32 vcc, 0, v[1:2]
	v_cmp_eq_u32_e64 s[38:39], 0, v40
	s_and_b64 s[40:41], vcc, s[38:39]
	; wave barrier
	s_and_saveexec_b64 s[38:39], s[40:41]
	s_cbranch_execz .LBB45_10
; %bb.9:                                ;   in Loop: Header=BB45_4 Depth=2
	v_bcnt_u32_b32 v1, v1, 0
	v_bcnt_u32_b32 v1, v2, v1
	s_waitcnt lgkmcnt(0)
	v_add_u32_e32 v1, v16, v1
	ds_write_b32 v39, v1 offset:32
.LBB45_10:                              ;   in Loop: Header=BB45_4 Depth=2
	s_or_b64 exec, exec, s[38:39]
	v_lshrrev_b32_e32 v1, v35, v34
	v_lshlrev_b32_sdwa v2, v17, v1 dst_sel:DWORD dst_unused:UNUSED_PAD src0_sel:DWORD src1_sel:BYTE_0
	v_add_u32_e32 v42, v29, v2
	v_and_b32_e32 v2, 1, v1
	v_add_co_u32_e32 v3, vcc, -1, v2
	v_addc_co_u32_e64 v4, s[38:39], 0, -1, vcc
	v_cmp_ne_u32_e32 vcc, 0, v2
	v_lshlrev_b32_e32 v6, 30, v1
	v_xor_b32_e32 v2, vcc_hi, v4
	v_xor_b32_e32 v3, vcc_lo, v3
	v_cmp_gt_i64_e32 vcc, 0, v[5:6]
	v_not_b32_e32 v4, v6
	v_ashrrev_i32_e32 v4, 31, v4
	v_and_b32_e32 v2, exec_hi, v2
	v_xor_b32_e32 v6, vcc_hi, v4
	v_and_b32_e32 v3, exec_lo, v3
	v_xor_b32_e32 v4, vcc_lo, v4
	v_and_b32_e32 v2, v2, v6
	v_lshlrev_b32_e32 v6, 29, v1
	v_and_b32_e32 v3, v3, v4
	v_cmp_gt_i64_e32 vcc, 0, v[5:6]
	v_not_b32_e32 v4, v6
	v_ashrrev_i32_e32 v4, 31, v4
	v_xor_b32_e32 v6, vcc_hi, v4
	v_xor_b32_e32 v4, vcc_lo, v4
	v_and_b32_e32 v2, v2, v6
	v_lshlrev_b32_e32 v6, 28, v1
	v_and_b32_e32 v3, v3, v4
	v_cmp_gt_i64_e32 vcc, 0, v[5:6]
	v_not_b32_e32 v4, v6
	v_ashrrev_i32_e32 v4, 31, v4
	v_xor_b32_e32 v6, vcc_hi, v4
	;; [unrolled: 8-line block ×5, first 2 shown]
	v_and_b32_e32 v2, v2, v6
	v_lshlrev_b32_e32 v6, 24, v1
	v_xor_b32_e32 v4, vcc_lo, v4
	v_cmp_gt_i64_e32 vcc, 0, v[5:6]
	v_not_b32_e32 v1, v6
	v_ashrrev_i32_e32 v1, 31, v1
	v_and_b32_e32 v3, v3, v4
	v_xor_b32_e32 v4, vcc_hi, v1
	v_xor_b32_e32 v1, vcc_lo, v1
	; wave barrier
	ds_read_b32 v41, v42 offset:32
	v_and_b32_e32 v1, v3, v1
	v_and_b32_e32 v2, v2, v4
	v_mbcnt_lo_u32_b32 v3, v1, 0
	v_mbcnt_hi_u32_b32 v6, v2, v3
	v_cmp_ne_u64_e32 vcc, 0, v[1:2]
	v_cmp_eq_u32_e64 s[38:39], 0, v6
	s_and_b64 s[40:41], vcc, s[38:39]
	; wave barrier
	s_and_saveexec_b64 s[38:39], s[40:41]
	s_cbranch_execz .LBB45_12
; %bb.11:                               ;   in Loop: Header=BB45_4 Depth=2
	v_bcnt_u32_b32 v1, v1, 0
	v_bcnt_u32_b32 v1, v2, v1
	s_waitcnt lgkmcnt(0)
	v_add_u32_e32 v1, v41, v1
	ds_write_b32 v42, v1 offset:32
.LBB45_12:                              ;   in Loop: Header=BB45_4 Depth=2
	s_or_b64 exec, exec, s[38:39]
	; wave barrier
	s_waitcnt lgkmcnt(0)
	s_barrier
	ds_read2_b64 v[1:4], v18 offset0:4 offset1:5
	s_waitcnt lgkmcnt(0)
	v_add_u32_e32 v43, v2, v1
	v_add3_u32 v4, v43, v3, v4
	s_nop 1
	v_mov_b32_dpp v43, v4 row_shr:1 row_mask:0xf bank_mask:0xf
	v_cndmask_b32_e64 v43, v43, 0, s[20:21]
	v_add_u32_e32 v4, v43, v4
	s_nop 1
	v_mov_b32_dpp v43, v4 row_shr:2 row_mask:0xf bank_mask:0xf
	v_cndmask_b32_e64 v43, 0, v43, s[22:23]
	v_add_u32_e32 v4, v4, v43
	;; [unrolled: 4-line block ×4, first 2 shown]
	s_nop 1
	v_mov_b32_dpp v43, v4 row_bcast:15 row_mask:0xf bank_mask:0xf
	v_cndmask_b32_e64 v43, v43, 0, s[28:29]
	v_add_u32_e32 v4, v4, v43
	s_nop 1
	v_mov_b32_dpp v43, v4 row_bcast:31 row_mask:0xf bank_mask:0xf
	v_cndmask_b32_e64 v43, 0, v43, s[6:7]
	v_add_u32_e32 v4, v4, v43
	s_and_saveexec_b64 s[38:39], s[8:9]
; %bb.13:                               ;   in Loop: Header=BB45_4 Depth=2
	ds_write_b32 v19, v4
; %bb.14:                               ;   in Loop: Header=BB45_4 Depth=2
	s_or_b64 exec, exec, s[38:39]
	s_waitcnt lgkmcnt(0)
	s_barrier
	s_and_saveexec_b64 s[38:39], s[0:1]
	s_cbranch_execz .LBB45_16
; %bb.15:                               ;   in Loop: Header=BB45_4 Depth=2
	ds_read_b32 v43, v20
	s_waitcnt lgkmcnt(0)
	s_nop 0
	v_mov_b32_dpp v44, v43 row_shr:1 row_mask:0xf bank_mask:0xf
	v_cndmask_b32_e64 v44, v44, 0, s[30:31]
	v_add_u32_e32 v43, v44, v43
	s_nop 1
	v_mov_b32_dpp v44, v43 row_shr:2 row_mask:0xf bank_mask:0xf
	v_cndmask_b32_e64 v44, 0, v44, s[34:35]
	v_add_u32_e32 v43, v43, v44
	;; [unrolled: 4-line block ×3, first 2 shown]
	ds_write_b32 v20, v43
.LBB45_16:                              ;   in Loop: Header=BB45_4 Depth=2
	s_or_b64 exec, exec, s[38:39]
	v_mov_b32_e32 v43, 0
	s_waitcnt lgkmcnt(0)
	s_barrier
	s_and_saveexec_b64 s[38:39], s[2:3]
; %bb.17:                               ;   in Loop: Header=BB45_4 Depth=2
	ds_read_b32 v43, v23
; %bb.18:                               ;   in Loop: Header=BB45_4 Depth=2
	s_or_b64 exec, exec, s[38:39]
	s_waitcnt lgkmcnt(0)
	v_add_u32_e32 v4, v43, v4
	ds_bpermute_b32 v4, v25, v4
	v_cmp_lt_u32_e32 vcc, 23, v35
	s_and_b64 vcc, exec, vcc
	s_mov_b64 s[38:39], -1
	s_waitcnt lgkmcnt(0)
	v_cndmask_b32_e64 v4, v4, v43, s[10:11]
	v_cndmask_b32_e64 v43, v4, 0, s[4:5]
	v_add_u32_e32 v44, v43, v1
	v_add_u32_e32 v1, v44, v2
	;; [unrolled: 1-line block ×3, first 2 shown]
	ds_write2_b64 v18, v[43:44], v[1:2] offset0:4 offset1:5
	s_waitcnt lgkmcnt(0)
	s_barrier
	ds_read_b32 v1, v12 offset:32
	ds_read_b32 v2, v14 offset:32
	;; [unrolled: 1-line block ×4, first 2 shown]
	s_waitcnt lgkmcnt(3)
	v_add_u32_e32 v42, v1, v11
	s_waitcnt lgkmcnt(2)
	v_add3_u32 v39, v15, v13, v2
	s_waitcnt lgkmcnt(1)
	v_add3_u32 v4, v40, v16, v3
	;; [unrolled: 2-line block ×3, first 2 shown]
                                        ; implicit-def: $vgpr14
                                        ; implicit-def: $vgpr12
                                        ; implicit-def: $vgpr2
                                        ; implicit-def: $vgpr16
	s_cbranch_vccnz .LBB45_3
; %bb.19:                               ;   in Loop: Header=BB45_4 Depth=2
	v_lshlrev_b32_e32 v1, 2, v42
	v_lshlrev_b32_e32 v2, 2, v39
	;; [unrolled: 1-line block ×4, first 2 shown]
	s_barrier
	ds_write_b32 v1, v38
	ds_write_b32 v2, v37
	;; [unrolled: 1-line block ×4, first 2 shown]
	s_waitcnt lgkmcnt(0)
	s_barrier
	ds_read2st64_b32 v[11:12], v21 offset1:1
	ds_read2st64_b32 v[13:14], v21 offset0:2 offset1:3
	s_waitcnt lgkmcnt(0)
	s_barrier
	ds_write_b32 v1, v33
	ds_write_b32 v2, v32
	;; [unrolled: 1-line block ×4, first 2 shown]
	s_waitcnt lgkmcnt(0)
	s_barrier
	ds_read2st64_b32 v[15:16], v21 offset1:1
	ds_read2st64_b32 v[1:2], v21 offset0:2 offset1:3
	v_add_u32_e32 v35, 8, v35
	s_mov_b64 s[38:39], 0
	s_waitcnt lgkmcnt(0)
	s_barrier
	s_branch .LBB45_3
.LBB45_20:
	s_add_u32 s0, s42, s44
	s_addc_u32 s1, s43, s45
	v_lshlrev_b32_e32 v0, 2, v0
	s_waitcnt lgkmcnt(0)
	v_add_u32_e32 v3, v6, v3
	v_mov_b32_e32 v5, s1
	v_add_co_u32_e32 v6, vcc, s0, v0
	v_add_u32_e32 v1, v11, v1
	v_addc_co_u32_e32 v5, vcc, 0, v5, vcc
	v_add_u32_e32 v2, v12, v2
	global_store_dword v0, v1, s[0:1]
	global_store_dword v0, v2, s[0:1] offset:2048
	v_add_co_u32_e32 v0, vcc, 0x1000, v6
	v_addc_co_u32_e32 v1, vcc, 0, v5, vcc
	v_add_u32_e32 v4, v13, v4
	global_store_dword v[0:1], v3, off
	global_store_dword v[0:1], v4, off offset:2048
	s_endpgm
	.section	.rodata,"a",@progbits
	.p2align	6, 0x0
	.amdhsa_kernel _Z17sort_pairs_kernelI22helper_blocked_blockediLj512ELj4ELj10EEvPKT0_PS1_
		.amdhsa_group_segment_fixed_size 8224
		.amdhsa_private_segment_fixed_size 0
		.amdhsa_kernarg_size 272
		.amdhsa_user_sgpr_count 6
		.amdhsa_user_sgpr_private_segment_buffer 1
		.amdhsa_user_sgpr_dispatch_ptr 0
		.amdhsa_user_sgpr_queue_ptr 0
		.amdhsa_user_sgpr_kernarg_segment_ptr 1
		.amdhsa_user_sgpr_dispatch_id 0
		.amdhsa_user_sgpr_flat_scratch_init 0
		.amdhsa_user_sgpr_private_segment_size 0
		.amdhsa_uses_dynamic_stack 0
		.amdhsa_system_sgpr_private_segment_wavefront_offset 0
		.amdhsa_system_sgpr_workgroup_id_x 1
		.amdhsa_system_sgpr_workgroup_id_y 0
		.amdhsa_system_sgpr_workgroup_id_z 0
		.amdhsa_system_sgpr_workgroup_info 0
		.amdhsa_system_vgpr_workitem_id 2
		.amdhsa_next_free_vgpr 45
		.amdhsa_next_free_sgpr 48
		.amdhsa_reserve_vcc 1
		.amdhsa_reserve_flat_scratch 0
		.amdhsa_float_round_mode_32 0
		.amdhsa_float_round_mode_16_64 0
		.amdhsa_float_denorm_mode_32 3
		.amdhsa_float_denorm_mode_16_64 3
		.amdhsa_dx10_clamp 1
		.amdhsa_ieee_mode 1
		.amdhsa_fp16_overflow 0
		.amdhsa_exception_fp_ieee_invalid_op 0
		.amdhsa_exception_fp_denorm_src 0
		.amdhsa_exception_fp_ieee_div_zero 0
		.amdhsa_exception_fp_ieee_overflow 0
		.amdhsa_exception_fp_ieee_underflow 0
		.amdhsa_exception_fp_ieee_inexact 0
		.amdhsa_exception_int_div_zero 0
	.end_amdhsa_kernel
	.section	.text._Z17sort_pairs_kernelI22helper_blocked_blockediLj512ELj4ELj10EEvPKT0_PS1_,"axG",@progbits,_Z17sort_pairs_kernelI22helper_blocked_blockediLj512ELj4ELj10EEvPKT0_PS1_,comdat
.Lfunc_end45:
	.size	_Z17sort_pairs_kernelI22helper_blocked_blockediLj512ELj4ELj10EEvPKT0_PS1_, .Lfunc_end45-_Z17sort_pairs_kernelI22helper_blocked_blockediLj512ELj4ELj10EEvPKT0_PS1_
                                        ; -- End function
	.set _Z17sort_pairs_kernelI22helper_blocked_blockediLj512ELj4ELj10EEvPKT0_PS1_.num_vgpr, 45
	.set _Z17sort_pairs_kernelI22helper_blocked_blockediLj512ELj4ELj10EEvPKT0_PS1_.num_agpr, 0
	.set _Z17sort_pairs_kernelI22helper_blocked_blockediLj512ELj4ELj10EEvPKT0_PS1_.numbered_sgpr, 48
	.set _Z17sort_pairs_kernelI22helper_blocked_blockediLj512ELj4ELj10EEvPKT0_PS1_.num_named_barrier, 0
	.set _Z17sort_pairs_kernelI22helper_blocked_blockediLj512ELj4ELj10EEvPKT0_PS1_.private_seg_size, 0
	.set _Z17sort_pairs_kernelI22helper_blocked_blockediLj512ELj4ELj10EEvPKT0_PS1_.uses_vcc, 1
	.set _Z17sort_pairs_kernelI22helper_blocked_blockediLj512ELj4ELj10EEvPKT0_PS1_.uses_flat_scratch, 0
	.set _Z17sort_pairs_kernelI22helper_blocked_blockediLj512ELj4ELj10EEvPKT0_PS1_.has_dyn_sized_stack, 0
	.set _Z17sort_pairs_kernelI22helper_blocked_blockediLj512ELj4ELj10EEvPKT0_PS1_.has_recursion, 0
	.set _Z17sort_pairs_kernelI22helper_blocked_blockediLj512ELj4ELj10EEvPKT0_PS1_.has_indirect_call, 0
	.section	.AMDGPU.csdata,"",@progbits
; Kernel info:
; codeLenInByte = 3548
; TotalNumSgprs: 52
; NumVgprs: 45
; ScratchSize: 0
; MemoryBound: 0
; FloatMode: 240
; IeeeMode: 1
; LDSByteSize: 8224 bytes/workgroup (compile time only)
; SGPRBlocks: 6
; VGPRBlocks: 11
; NumSGPRsForWavesPerEU: 52
; NumVGPRsForWavesPerEU: 45
; Occupancy: 5
; WaveLimiterHint : 1
; COMPUTE_PGM_RSRC2:SCRATCH_EN: 0
; COMPUTE_PGM_RSRC2:USER_SGPR: 6
; COMPUTE_PGM_RSRC2:TRAP_HANDLER: 0
; COMPUTE_PGM_RSRC2:TGID_X_EN: 1
; COMPUTE_PGM_RSRC2:TGID_Y_EN: 0
; COMPUTE_PGM_RSRC2:TGID_Z_EN: 0
; COMPUTE_PGM_RSRC2:TIDIG_COMP_CNT: 2
	.section	.text._Z16sort_keys_kernelI22helper_blocked_blockediLj512ELj8ELj10EEvPKT0_PS1_,"axG",@progbits,_Z16sort_keys_kernelI22helper_blocked_blockediLj512ELj8ELj10EEvPKT0_PS1_,comdat
	.protected	_Z16sort_keys_kernelI22helper_blocked_blockediLj512ELj8ELj10EEvPKT0_PS1_ ; -- Begin function _Z16sort_keys_kernelI22helper_blocked_blockediLj512ELj8ELj10EEvPKT0_PS1_
	.globl	_Z16sort_keys_kernelI22helper_blocked_blockediLj512ELj8ELj10EEvPKT0_PS1_
	.p2align	8
	.type	_Z16sort_keys_kernelI22helper_blocked_blockediLj512ELj8ELj10EEvPKT0_PS1_,@function
_Z16sort_keys_kernelI22helper_blocked_blockediLj512ELj8ELj10EEvPKT0_PS1_: ; @_Z16sort_keys_kernelI22helper_blocked_blockediLj512ELj8ELj10EEvPKT0_PS1_
; %bb.0:
	s_load_dwordx4 s[28:31], s[4:5], 0x0
	s_load_dword s2, s[4:5], 0x1c
	s_lshl_b32 s34, s6, 12
	s_mov_b32 s35, 0
	s_lshl_b64 s[36:37], s[34:35], 2
	s_waitcnt lgkmcnt(0)
	s_add_u32 s0, s28, s36
	s_addc_u32 s1, s29, s37
	v_lshlrev_b32_e32 v5, 2, v0
	v_mov_b32_e32 v3, s1
	v_add_co_u32_e32 v4, vcc, s0, v5
	v_addc_co_u32_e32 v3, vcc, 0, v3, vcc
	s_movk_i32 s3, 0x1000
	v_add_co_u32_e32 v7, vcc, s3, v4
	v_addc_co_u32_e32 v8, vcc, 0, v3, vcc
	s_movk_i32 s3, 0x2000
	;; [unrolled: 3-line block ×3, first 2 shown]
	v_add_co_u32_e32 v15, vcc, s3, v4
	v_addc_co_u32_e32 v16, vcc, 0, v3, vcc
	global_load_dword v14, v5, s[0:1]
	global_load_dword v25, v5, s[0:1] offset:2048
	global_load_dword v12, v[9:10], off offset:-4096
	global_load_dword v13, v[7:8], off offset:2048
	global_load_dword v6, v[9:10], off
	global_load_dword v11, v[9:10], off offset:2048
	global_load_dword v3, v[15:16], off
	global_load_dword v4, v[15:16], off offset:2048
	s_lshr_b32 s0, s2, 16
	v_mbcnt_lo_u32_b32 v7, -1, 0
	s_and_b32 s1, s2, 0xffff
	v_mad_u32_u24 v1, v2, s0, v1
	v_mbcnt_hi_u32_b32 v7, -1, v7
	v_mad_u64_u32 v[1:2], s[0:1], v1, s1, v[0:1]
	v_and_b32_e32 v2, 15, v7
	v_and_b32_e32 v8, 0x1c0, v0
	v_cmp_eq_u32_e64 s[0:1], 0, v2
	v_cmp_lt_u32_e64 s[2:3], 1, v2
	v_cmp_lt_u32_e64 s[4:5], 3, v2
	v_cmp_lt_u32_e64 s[6:7], 7, v2
	v_and_b32_e32 v2, 16, v7
	v_cmp_eq_u32_e64 s[8:9], 0, v2
	v_or_b32_e32 v2, 63, v8
	v_add_lshl_u32 v15, v7, v8, 5
	v_cmp_eq_u32_e64 s[12:13], v0, v2
	v_subrev_co_u32_e64 v2, s[18:19], 1, v7
	v_and_b32_e32 v8, 64, v7
	v_cmp_lt_i32_e32 vcc, v2, v8
	v_lshlrev_b32_e32 v9, 5, v0
	v_cndmask_b32_e32 v2, v2, v7, vcc
	v_and_b32_e32 v9, 0x3800, v9
	v_lshlrev_b32_e32 v17, 4, v0
	v_lshlrev_b32_e32 v18, 2, v2
	v_lshrrev_b32_e32 v2, 4, v0
	v_lshrrev_b32_e32 v1, 4, v1
	s_mov_b32 s34, s35
	s_mov_b32 s28, s35
	v_lshl_or_b32 v16, v7, 2, v9
	v_cmp_lt_u32_e64 s[10:11], 31, v7
	v_and_b32_e32 v19, 28, v2
	v_mad_i32_i24 v20, v0, -12, v17
	v_and_b32_e32 v2, 7, v7
	v_and_b32_e32 v22, 0xffffffc, v1
	v_mul_u32_u24_e32 v1, 28, v0
	s_mov_b32 s29, s35
	v_mov_b32_e32 v7, s34
	v_mov_b32_e32 v9, s28
	;; [unrolled: 1-line block ×3, first 2 shown]
	v_cmp_gt_u32_e64 s[14:15], 8, v0
	v_cmp_lt_u32_e64 s[16:17], 63, v0
	v_cmp_eq_u32_e64 s[20:21], 0, v0
	v_cmp_eq_u32_e64 s[22:23], 0, v2
	v_cmp_lt_u32_e64 s[24:25], 1, v2
	v_cmp_lt_u32_e64 s[26:27], 3, v2
	v_add_u32_e32 v21, -4, v19
	v_mov_b32_e32 v8, s35
	v_mov_b32_e32 v10, s29
	v_add_u32_e32 v23, v20, v1
	v_mov_b32_e32 v24, 5
	s_branch .LBB46_2
.LBB46_1:                               ;   in Loop: Header=BB46_2 Depth=1
	v_lshlrev_b32_e32 v1, 2, v45
	s_barrier
	ds_write_b32 v1, v33
	v_lshlrev_b32_e32 v1, 2, v42
	ds_write_b32 v1, v32
	v_lshlrev_b32_e32 v1, 2, v39
	;; [unrolled: 2-line block ×7, first 2 shown]
	ds_write_b32 v1, v25
	s_waitcnt lgkmcnt(0)
	s_barrier
	ds_read2_b64 v[1:4], v23 offset1:1
	ds_read2_b64 v[26:29], v23 offset0:2 offset1:3
	s_add_i32 s35, s35, 1
	s_cmp_eq_u32 s35, 10
	s_waitcnt lgkmcnt(1)
	v_xor_b32_e32 v14, 0x80000000, v1
	v_xor_b32_e32 v25, 0x80000000, v2
	;; [unrolled: 1-line block ×4, first 2 shown]
	s_waitcnt lgkmcnt(0)
	v_xor_b32_e32 v6, 0x80000000, v26
	v_xor_b32_e32 v11, 0x80000000, v27
	;; [unrolled: 1-line block ×4, first 2 shown]
	s_cbranch_scc1 .LBB46_28
.LBB46_2:                               ; =>This Loop Header: Depth=1
                                        ;     Child Loop BB46_4 Depth 2
	s_waitcnt vmcnt(7)
	v_xor_b32_e32 v1, 0x80000000, v14
	s_waitcnt vmcnt(6)
	v_xor_b32_e32 v2, 0x80000000, v25
	;; [unrolled: 2-line block ×6, first 2 shown]
	v_xor_b32_e32 v25, 0x80000000, v6
	v_xor_b32_e32 v26, 0x80000000, v11
	ds_write2_b64 v15, v[1:2], v[12:13] offset1:1
	ds_write2_b64 v15, v[25:26], v[3:4] offset0:2 offset1:3
	; wave barrier
	ds_read2st64_b32 v[1:2], v16 offset1:1
	ds_read2st64_b32 v[3:4], v16 offset0:2 offset1:3
	ds_read2st64_b32 v[11:12], v16 offset0:4 offset1:5
	;; [unrolled: 1-line block ×3, first 2 shown]
	v_mov_b32_e32 v29, v5
	s_waitcnt lgkmcnt(0)
	s_barrier
	; wave barrier
	s_barrier
	s_branch .LBB46_4
.LBB46_3:                               ;   in Loop: Header=BB46_4 Depth=2
	s_andn2_b64 vcc, exec, s[28:29]
	s_cbranch_vccz .LBB46_1
.LBB46_4:                               ;   Parent Loop BB46_2 Depth=1
                                        ; =>  This Inner Loop Header: Depth=2
	v_mov_b32_e32 v33, v1
	v_lshrrev_b32_e32 v1, v29, v33
	v_mov_b32_e32 v32, v2
	v_and_b32_e32 v2, 1, v1
	v_mov_b32_e32 v30, v4
	v_add_co_u32_e32 v4, vcc, -1, v2
	v_addc_co_u32_e64 v6, s[28:29], 0, -1, vcc
	v_cmp_ne_u32_e32 vcc, 0, v2
	v_xor_b32_e32 v2, vcc_hi, v6
	v_lshlrev_b32_e32 v6, 30, v1
	v_xor_b32_e32 v4, vcc_lo, v4
	v_cmp_gt_i64_e32 vcc, 0, v[5:6]
	v_not_b32_e32 v6, v6
	v_ashrrev_i32_e32 v6, 31, v6
	v_mov_b32_e32 v28, v11
	v_and_b32_e32 v4, exec_lo, v4
	v_xor_b32_e32 v11, vcc_hi, v6
	v_xor_b32_e32 v6, vcc_lo, v6
	v_and_b32_e32 v4, v4, v6
	v_lshlrev_b32_e32 v6, 29, v1
	v_cmp_gt_i64_e32 vcc, 0, v[5:6]
	v_not_b32_e32 v6, v6
	v_and_b32_e32 v2, exec_hi, v2
	v_ashrrev_i32_e32 v6, 31, v6
	v_and_b32_e32 v2, v2, v11
	v_xor_b32_e32 v11, vcc_hi, v6
	v_xor_b32_e32 v6, vcc_lo, v6
	v_and_b32_e32 v4, v4, v6
	v_lshlrev_b32_e32 v6, 28, v1
	v_cmp_gt_i64_e32 vcc, 0, v[5:6]
	v_not_b32_e32 v6, v6
	v_ashrrev_i32_e32 v6, 31, v6
	v_and_b32_e32 v2, v2, v11
	v_xor_b32_e32 v11, vcc_hi, v6
	v_xor_b32_e32 v6, vcc_lo, v6
	v_and_b32_e32 v4, v4, v6
	v_lshlrev_b32_e32 v6, 27, v1
	v_cmp_gt_i64_e32 vcc, 0, v[5:6]
	v_not_b32_e32 v6, v6
	;; [unrolled: 8-line block ×4, first 2 shown]
	v_ashrrev_i32_e32 v6, 31, v6
	v_and_b32_e32 v2, v2, v11
	v_xor_b32_e32 v11, vcc_hi, v6
	v_xor_b32_e32 v6, vcc_lo, v6
	v_and_b32_e32 v4, v4, v6
	v_lshlrev_b32_e32 v6, 24, v1
	v_mov_b32_e32 v31, v3
	v_lshlrev_b32_sdwa v3, v24, v1 dst_sel:DWORD dst_unused:UNUSED_PAD src0_sel:DWORD src1_sel:BYTE_0
	v_cmp_gt_i64_e32 vcc, 0, v[5:6]
	v_not_b32_e32 v1, v6
	v_ashrrev_i32_e32 v1, 31, v1
	v_xor_b32_e32 v6, vcc_hi, v1
	v_xor_b32_e32 v1, vcc_lo, v1
	v_and_b32_e32 v2, v2, v11
	v_and_b32_e32 v1, v4, v1
	;; [unrolled: 1-line block ×3, first 2 shown]
	v_mbcnt_lo_u32_b32 v4, v1, 0
	v_mbcnt_hi_u32_b32 v11, v2, v4
	v_cmp_ne_u64_e32 vcc, 0, v[1:2]
	v_cmp_eq_u32_e64 s[28:29], 0, v11
	v_mov_b32_e32 v25, v14
	v_mov_b32_e32 v26, v13
	;; [unrolled: 1-line block ×3, first 2 shown]
	s_and_b64 s[38:39], vcc, s[28:29]
	v_add_u32_e32 v12, v22, v3
	ds_write2_b64 v17, v[7:8], v[9:10] offset0:4 offset1:5
	s_waitcnt lgkmcnt(0)
	s_barrier
	; wave barrier
	s_and_saveexec_b64 s[28:29], s[38:39]
; %bb.5:                                ;   in Loop: Header=BB46_4 Depth=2
	v_bcnt_u32_b32 v1, v1, 0
	v_bcnt_u32_b32 v1, v2, v1
	ds_write_b32 v12, v1 offset:32
; %bb.6:                                ;   in Loop: Header=BB46_4 Depth=2
	s_or_b64 exec, exec, s[28:29]
	v_lshrrev_b32_e32 v1, v29, v32
	v_lshlrev_b32_sdwa v2, v24, v1 dst_sel:DWORD dst_unused:UNUSED_PAD src0_sel:DWORD src1_sel:BYTE_0
	v_add_u32_e32 v14, v22, v2
	v_and_b32_e32 v2, 1, v1
	v_add_co_u32_e32 v3, vcc, -1, v2
	v_addc_co_u32_e64 v4, s[28:29], 0, -1, vcc
	v_cmp_ne_u32_e32 vcc, 0, v2
	v_lshlrev_b32_e32 v6, 30, v1
	v_xor_b32_e32 v2, vcc_hi, v4
	v_xor_b32_e32 v3, vcc_lo, v3
	v_cmp_gt_i64_e32 vcc, 0, v[5:6]
	v_not_b32_e32 v4, v6
	v_ashrrev_i32_e32 v4, 31, v4
	v_and_b32_e32 v2, exec_hi, v2
	v_xor_b32_e32 v6, vcc_hi, v4
	v_and_b32_e32 v3, exec_lo, v3
	v_xor_b32_e32 v4, vcc_lo, v4
	v_and_b32_e32 v2, v2, v6
	v_lshlrev_b32_e32 v6, 29, v1
	v_and_b32_e32 v3, v3, v4
	v_cmp_gt_i64_e32 vcc, 0, v[5:6]
	v_not_b32_e32 v4, v6
	v_ashrrev_i32_e32 v4, 31, v4
	v_xor_b32_e32 v6, vcc_hi, v4
	v_xor_b32_e32 v4, vcc_lo, v4
	v_and_b32_e32 v2, v2, v6
	v_lshlrev_b32_e32 v6, 28, v1
	v_and_b32_e32 v3, v3, v4
	v_cmp_gt_i64_e32 vcc, 0, v[5:6]
	v_not_b32_e32 v4, v6
	v_ashrrev_i32_e32 v4, 31, v4
	v_xor_b32_e32 v6, vcc_hi, v4
	;; [unrolled: 8-line block ×5, first 2 shown]
	v_and_b32_e32 v2, v2, v6
	v_lshlrev_b32_e32 v6, 24, v1
	v_xor_b32_e32 v4, vcc_lo, v4
	v_cmp_gt_i64_e32 vcc, 0, v[5:6]
	v_not_b32_e32 v1, v6
	v_ashrrev_i32_e32 v1, 31, v1
	v_and_b32_e32 v3, v3, v4
	v_xor_b32_e32 v4, vcc_hi, v1
	v_xor_b32_e32 v1, vcc_lo, v1
	; wave barrier
	ds_read_b32 v13, v14 offset:32
	v_and_b32_e32 v1, v3, v1
	v_and_b32_e32 v2, v2, v4
	v_mbcnt_lo_u32_b32 v3, v1, 0
	v_mbcnt_hi_u32_b32 v34, v2, v3
	v_cmp_ne_u64_e32 vcc, 0, v[1:2]
	v_cmp_eq_u32_e64 s[28:29], 0, v34
	s_and_b64 s[38:39], vcc, s[28:29]
	; wave barrier
	s_and_saveexec_b64 s[28:29], s[38:39]
	s_cbranch_execz .LBB46_8
; %bb.7:                                ;   in Loop: Header=BB46_4 Depth=2
	v_bcnt_u32_b32 v1, v1, 0
	v_bcnt_u32_b32 v1, v2, v1
	s_waitcnt lgkmcnt(0)
	v_add_u32_e32 v1, v13, v1
	ds_write_b32 v14, v1 offset:32
.LBB46_8:                               ;   in Loop: Header=BB46_4 Depth=2
	s_or_b64 exec, exec, s[28:29]
	v_lshrrev_b32_e32 v1, v29, v31
	v_lshlrev_b32_sdwa v2, v24, v1 dst_sel:DWORD dst_unused:UNUSED_PAD src0_sel:DWORD src1_sel:BYTE_0
	v_add_u32_e32 v36, v22, v2
	v_and_b32_e32 v2, 1, v1
	v_add_co_u32_e32 v3, vcc, -1, v2
	v_addc_co_u32_e64 v4, s[28:29], 0, -1, vcc
	v_cmp_ne_u32_e32 vcc, 0, v2
	v_lshlrev_b32_e32 v6, 30, v1
	v_xor_b32_e32 v2, vcc_hi, v4
	v_xor_b32_e32 v3, vcc_lo, v3
	v_cmp_gt_i64_e32 vcc, 0, v[5:6]
	v_not_b32_e32 v4, v6
	v_ashrrev_i32_e32 v4, 31, v4
	v_and_b32_e32 v2, exec_hi, v2
	v_xor_b32_e32 v6, vcc_hi, v4
	v_and_b32_e32 v3, exec_lo, v3
	v_xor_b32_e32 v4, vcc_lo, v4
	v_and_b32_e32 v2, v2, v6
	v_lshlrev_b32_e32 v6, 29, v1
	v_and_b32_e32 v3, v3, v4
	v_cmp_gt_i64_e32 vcc, 0, v[5:6]
	v_not_b32_e32 v4, v6
	v_ashrrev_i32_e32 v4, 31, v4
	v_xor_b32_e32 v6, vcc_hi, v4
	v_xor_b32_e32 v4, vcc_lo, v4
	v_and_b32_e32 v2, v2, v6
	v_lshlrev_b32_e32 v6, 28, v1
	v_and_b32_e32 v3, v3, v4
	v_cmp_gt_i64_e32 vcc, 0, v[5:6]
	v_not_b32_e32 v4, v6
	v_ashrrev_i32_e32 v4, 31, v4
	v_xor_b32_e32 v6, vcc_hi, v4
	;; [unrolled: 8-line block ×5, first 2 shown]
	v_and_b32_e32 v2, v2, v6
	v_lshlrev_b32_e32 v6, 24, v1
	v_xor_b32_e32 v4, vcc_lo, v4
	v_cmp_gt_i64_e32 vcc, 0, v[5:6]
	v_not_b32_e32 v1, v6
	v_ashrrev_i32_e32 v1, 31, v1
	v_and_b32_e32 v3, v3, v4
	v_xor_b32_e32 v4, vcc_hi, v1
	v_xor_b32_e32 v1, vcc_lo, v1
	; wave barrier
	ds_read_b32 v35, v36 offset:32
	v_and_b32_e32 v1, v3, v1
	v_and_b32_e32 v2, v2, v4
	v_mbcnt_lo_u32_b32 v3, v1, 0
	v_mbcnt_hi_u32_b32 v37, v2, v3
	v_cmp_ne_u64_e32 vcc, 0, v[1:2]
	v_cmp_eq_u32_e64 s[28:29], 0, v37
	s_and_b64 s[38:39], vcc, s[28:29]
	; wave barrier
	s_and_saveexec_b64 s[28:29], s[38:39]
	s_cbranch_execz .LBB46_10
; %bb.9:                                ;   in Loop: Header=BB46_4 Depth=2
	v_bcnt_u32_b32 v1, v1, 0
	v_bcnt_u32_b32 v1, v2, v1
	s_waitcnt lgkmcnt(0)
	v_add_u32_e32 v1, v35, v1
	ds_write_b32 v36, v1 offset:32
.LBB46_10:                              ;   in Loop: Header=BB46_4 Depth=2
	s_or_b64 exec, exec, s[28:29]
	v_lshrrev_b32_e32 v1, v29, v30
	v_lshlrev_b32_sdwa v2, v24, v1 dst_sel:DWORD dst_unused:UNUSED_PAD src0_sel:DWORD src1_sel:BYTE_0
	v_add_u32_e32 v39, v22, v2
	v_and_b32_e32 v2, 1, v1
	v_add_co_u32_e32 v3, vcc, -1, v2
	v_addc_co_u32_e64 v4, s[28:29], 0, -1, vcc
	v_cmp_ne_u32_e32 vcc, 0, v2
	v_lshlrev_b32_e32 v6, 30, v1
	v_xor_b32_e32 v2, vcc_hi, v4
	v_xor_b32_e32 v3, vcc_lo, v3
	v_cmp_gt_i64_e32 vcc, 0, v[5:6]
	v_not_b32_e32 v4, v6
	v_ashrrev_i32_e32 v4, 31, v4
	v_and_b32_e32 v2, exec_hi, v2
	v_xor_b32_e32 v6, vcc_hi, v4
	v_and_b32_e32 v3, exec_lo, v3
	v_xor_b32_e32 v4, vcc_lo, v4
	v_and_b32_e32 v2, v2, v6
	v_lshlrev_b32_e32 v6, 29, v1
	v_and_b32_e32 v3, v3, v4
	v_cmp_gt_i64_e32 vcc, 0, v[5:6]
	v_not_b32_e32 v4, v6
	v_ashrrev_i32_e32 v4, 31, v4
	v_xor_b32_e32 v6, vcc_hi, v4
	v_xor_b32_e32 v4, vcc_lo, v4
	v_and_b32_e32 v2, v2, v6
	v_lshlrev_b32_e32 v6, 28, v1
	v_and_b32_e32 v3, v3, v4
	v_cmp_gt_i64_e32 vcc, 0, v[5:6]
	v_not_b32_e32 v4, v6
	v_ashrrev_i32_e32 v4, 31, v4
	v_xor_b32_e32 v6, vcc_hi, v4
	;; [unrolled: 8-line block ×5, first 2 shown]
	v_and_b32_e32 v2, v2, v6
	v_lshlrev_b32_e32 v6, 24, v1
	v_xor_b32_e32 v4, vcc_lo, v4
	v_cmp_gt_i64_e32 vcc, 0, v[5:6]
	v_not_b32_e32 v1, v6
	v_ashrrev_i32_e32 v1, 31, v1
	v_and_b32_e32 v3, v3, v4
	v_xor_b32_e32 v4, vcc_hi, v1
	v_xor_b32_e32 v1, vcc_lo, v1
	; wave barrier
	ds_read_b32 v38, v39 offset:32
	v_and_b32_e32 v1, v3, v1
	v_and_b32_e32 v2, v2, v4
	v_mbcnt_lo_u32_b32 v3, v1, 0
	v_mbcnt_hi_u32_b32 v40, v2, v3
	v_cmp_ne_u64_e32 vcc, 0, v[1:2]
	v_cmp_eq_u32_e64 s[28:29], 0, v40
	s_and_b64 s[38:39], vcc, s[28:29]
	; wave barrier
	s_and_saveexec_b64 s[28:29], s[38:39]
	s_cbranch_execz .LBB46_12
; %bb.11:                               ;   in Loop: Header=BB46_4 Depth=2
	v_bcnt_u32_b32 v1, v1, 0
	v_bcnt_u32_b32 v1, v2, v1
	s_waitcnt lgkmcnt(0)
	v_add_u32_e32 v1, v38, v1
	ds_write_b32 v39, v1 offset:32
.LBB46_12:                              ;   in Loop: Header=BB46_4 Depth=2
	s_or_b64 exec, exec, s[28:29]
	v_lshrrev_b32_e32 v1, v29, v28
	v_lshlrev_b32_sdwa v2, v24, v1 dst_sel:DWORD dst_unused:UNUSED_PAD src0_sel:DWORD src1_sel:BYTE_0
	v_add_u32_e32 v42, v22, v2
	v_and_b32_e32 v2, 1, v1
	v_add_co_u32_e32 v3, vcc, -1, v2
	v_addc_co_u32_e64 v4, s[28:29], 0, -1, vcc
	v_cmp_ne_u32_e32 vcc, 0, v2
	v_lshlrev_b32_e32 v6, 30, v1
	v_xor_b32_e32 v2, vcc_hi, v4
	v_xor_b32_e32 v3, vcc_lo, v3
	v_cmp_gt_i64_e32 vcc, 0, v[5:6]
	v_not_b32_e32 v4, v6
	v_ashrrev_i32_e32 v4, 31, v4
	v_and_b32_e32 v2, exec_hi, v2
	v_xor_b32_e32 v6, vcc_hi, v4
	v_and_b32_e32 v3, exec_lo, v3
	v_xor_b32_e32 v4, vcc_lo, v4
	v_and_b32_e32 v2, v2, v6
	v_lshlrev_b32_e32 v6, 29, v1
	v_and_b32_e32 v3, v3, v4
	v_cmp_gt_i64_e32 vcc, 0, v[5:6]
	v_not_b32_e32 v4, v6
	v_ashrrev_i32_e32 v4, 31, v4
	v_xor_b32_e32 v6, vcc_hi, v4
	v_xor_b32_e32 v4, vcc_lo, v4
	v_and_b32_e32 v2, v2, v6
	v_lshlrev_b32_e32 v6, 28, v1
	v_and_b32_e32 v3, v3, v4
	v_cmp_gt_i64_e32 vcc, 0, v[5:6]
	v_not_b32_e32 v4, v6
	v_ashrrev_i32_e32 v4, 31, v4
	v_xor_b32_e32 v6, vcc_hi, v4
	;; [unrolled: 8-line block ×5, first 2 shown]
	v_and_b32_e32 v2, v2, v6
	v_lshlrev_b32_e32 v6, 24, v1
	v_xor_b32_e32 v4, vcc_lo, v4
	v_cmp_gt_i64_e32 vcc, 0, v[5:6]
	v_not_b32_e32 v1, v6
	v_ashrrev_i32_e32 v1, 31, v1
	v_and_b32_e32 v3, v3, v4
	v_xor_b32_e32 v4, vcc_hi, v1
	v_xor_b32_e32 v1, vcc_lo, v1
	; wave barrier
	ds_read_b32 v41, v42 offset:32
	v_and_b32_e32 v1, v3, v1
	v_and_b32_e32 v2, v2, v4
	v_mbcnt_lo_u32_b32 v3, v1, 0
	v_mbcnt_hi_u32_b32 v43, v2, v3
	v_cmp_ne_u64_e32 vcc, 0, v[1:2]
	v_cmp_eq_u32_e64 s[28:29], 0, v43
	s_and_b64 s[38:39], vcc, s[28:29]
	; wave barrier
	s_and_saveexec_b64 s[28:29], s[38:39]
	s_cbranch_execz .LBB46_14
; %bb.13:                               ;   in Loop: Header=BB46_4 Depth=2
	v_bcnt_u32_b32 v1, v1, 0
	v_bcnt_u32_b32 v1, v2, v1
	s_waitcnt lgkmcnt(0)
	v_add_u32_e32 v1, v41, v1
	ds_write_b32 v42, v1 offset:32
.LBB46_14:                              ;   in Loop: Header=BB46_4 Depth=2
	s_or_b64 exec, exec, s[28:29]
	v_lshrrev_b32_e32 v1, v29, v27
	v_lshlrev_b32_sdwa v2, v24, v1 dst_sel:DWORD dst_unused:UNUSED_PAD src0_sel:DWORD src1_sel:BYTE_0
	v_add_u32_e32 v45, v22, v2
	v_and_b32_e32 v2, 1, v1
	v_add_co_u32_e32 v3, vcc, -1, v2
	v_addc_co_u32_e64 v4, s[28:29], 0, -1, vcc
	v_cmp_ne_u32_e32 vcc, 0, v2
	v_lshlrev_b32_e32 v6, 30, v1
	v_xor_b32_e32 v2, vcc_hi, v4
	v_xor_b32_e32 v3, vcc_lo, v3
	v_cmp_gt_i64_e32 vcc, 0, v[5:6]
	v_not_b32_e32 v4, v6
	v_ashrrev_i32_e32 v4, 31, v4
	v_and_b32_e32 v2, exec_hi, v2
	v_xor_b32_e32 v6, vcc_hi, v4
	v_and_b32_e32 v3, exec_lo, v3
	v_xor_b32_e32 v4, vcc_lo, v4
	v_and_b32_e32 v2, v2, v6
	v_lshlrev_b32_e32 v6, 29, v1
	v_and_b32_e32 v3, v3, v4
	v_cmp_gt_i64_e32 vcc, 0, v[5:6]
	v_not_b32_e32 v4, v6
	v_ashrrev_i32_e32 v4, 31, v4
	v_xor_b32_e32 v6, vcc_hi, v4
	v_xor_b32_e32 v4, vcc_lo, v4
	v_and_b32_e32 v2, v2, v6
	v_lshlrev_b32_e32 v6, 28, v1
	v_and_b32_e32 v3, v3, v4
	v_cmp_gt_i64_e32 vcc, 0, v[5:6]
	v_not_b32_e32 v4, v6
	v_ashrrev_i32_e32 v4, 31, v4
	v_xor_b32_e32 v6, vcc_hi, v4
	;; [unrolled: 8-line block ×5, first 2 shown]
	v_and_b32_e32 v2, v2, v6
	v_lshlrev_b32_e32 v6, 24, v1
	v_xor_b32_e32 v4, vcc_lo, v4
	v_cmp_gt_i64_e32 vcc, 0, v[5:6]
	v_not_b32_e32 v1, v6
	v_ashrrev_i32_e32 v1, 31, v1
	v_and_b32_e32 v3, v3, v4
	v_xor_b32_e32 v4, vcc_hi, v1
	v_xor_b32_e32 v1, vcc_lo, v1
	; wave barrier
	ds_read_b32 v44, v45 offset:32
	v_and_b32_e32 v1, v3, v1
	v_and_b32_e32 v2, v2, v4
	v_mbcnt_lo_u32_b32 v3, v1, 0
	v_mbcnt_hi_u32_b32 v46, v2, v3
	v_cmp_ne_u64_e32 vcc, 0, v[1:2]
	v_cmp_eq_u32_e64 s[28:29], 0, v46
	s_and_b64 s[38:39], vcc, s[28:29]
	; wave barrier
	s_and_saveexec_b64 s[28:29], s[38:39]
	s_cbranch_execz .LBB46_16
; %bb.15:                               ;   in Loop: Header=BB46_4 Depth=2
	v_bcnt_u32_b32 v1, v1, 0
	v_bcnt_u32_b32 v1, v2, v1
	s_waitcnt lgkmcnt(0)
	v_add_u32_e32 v1, v44, v1
	ds_write_b32 v45, v1 offset:32
.LBB46_16:                              ;   in Loop: Header=BB46_4 Depth=2
	s_or_b64 exec, exec, s[28:29]
	v_lshrrev_b32_e32 v1, v29, v26
	v_lshlrev_b32_sdwa v2, v24, v1 dst_sel:DWORD dst_unused:UNUSED_PAD src0_sel:DWORD src1_sel:BYTE_0
	v_add_u32_e32 v48, v22, v2
	v_and_b32_e32 v2, 1, v1
	v_add_co_u32_e32 v3, vcc, -1, v2
	v_addc_co_u32_e64 v4, s[28:29], 0, -1, vcc
	v_cmp_ne_u32_e32 vcc, 0, v2
	v_lshlrev_b32_e32 v6, 30, v1
	v_xor_b32_e32 v2, vcc_hi, v4
	v_xor_b32_e32 v3, vcc_lo, v3
	v_cmp_gt_i64_e32 vcc, 0, v[5:6]
	v_not_b32_e32 v4, v6
	v_ashrrev_i32_e32 v4, 31, v4
	v_and_b32_e32 v2, exec_hi, v2
	v_xor_b32_e32 v6, vcc_hi, v4
	v_and_b32_e32 v3, exec_lo, v3
	v_xor_b32_e32 v4, vcc_lo, v4
	v_and_b32_e32 v2, v2, v6
	v_lshlrev_b32_e32 v6, 29, v1
	v_and_b32_e32 v3, v3, v4
	v_cmp_gt_i64_e32 vcc, 0, v[5:6]
	v_not_b32_e32 v4, v6
	v_ashrrev_i32_e32 v4, 31, v4
	v_xor_b32_e32 v6, vcc_hi, v4
	v_xor_b32_e32 v4, vcc_lo, v4
	v_and_b32_e32 v2, v2, v6
	v_lshlrev_b32_e32 v6, 28, v1
	v_and_b32_e32 v3, v3, v4
	v_cmp_gt_i64_e32 vcc, 0, v[5:6]
	v_not_b32_e32 v4, v6
	v_ashrrev_i32_e32 v4, 31, v4
	v_xor_b32_e32 v6, vcc_hi, v4
	;; [unrolled: 8-line block ×5, first 2 shown]
	v_and_b32_e32 v2, v2, v6
	v_lshlrev_b32_e32 v6, 24, v1
	v_xor_b32_e32 v4, vcc_lo, v4
	v_cmp_gt_i64_e32 vcc, 0, v[5:6]
	v_not_b32_e32 v1, v6
	v_ashrrev_i32_e32 v1, 31, v1
	v_and_b32_e32 v3, v3, v4
	v_xor_b32_e32 v4, vcc_hi, v1
	v_xor_b32_e32 v1, vcc_lo, v1
	; wave barrier
	ds_read_b32 v47, v48 offset:32
	v_and_b32_e32 v1, v3, v1
	v_and_b32_e32 v2, v2, v4
	v_mbcnt_lo_u32_b32 v3, v1, 0
	v_mbcnt_hi_u32_b32 v49, v2, v3
	v_cmp_ne_u64_e32 vcc, 0, v[1:2]
	v_cmp_eq_u32_e64 s[28:29], 0, v49
	s_and_b64 s[38:39], vcc, s[28:29]
	; wave barrier
	s_and_saveexec_b64 s[28:29], s[38:39]
	s_cbranch_execz .LBB46_18
; %bb.17:                               ;   in Loop: Header=BB46_4 Depth=2
	v_bcnt_u32_b32 v1, v1, 0
	v_bcnt_u32_b32 v1, v2, v1
	s_waitcnt lgkmcnt(0)
	v_add_u32_e32 v1, v47, v1
	ds_write_b32 v48, v1 offset:32
.LBB46_18:                              ;   in Loop: Header=BB46_4 Depth=2
	s_or_b64 exec, exec, s[28:29]
	v_lshrrev_b32_e32 v1, v29, v25
	v_lshlrev_b32_sdwa v2, v24, v1 dst_sel:DWORD dst_unused:UNUSED_PAD src0_sel:DWORD src1_sel:BYTE_0
	v_add_u32_e32 v51, v22, v2
	v_and_b32_e32 v2, 1, v1
	v_add_co_u32_e32 v3, vcc, -1, v2
	v_addc_co_u32_e64 v4, s[28:29], 0, -1, vcc
	v_cmp_ne_u32_e32 vcc, 0, v2
	v_lshlrev_b32_e32 v6, 30, v1
	v_xor_b32_e32 v2, vcc_hi, v4
	v_xor_b32_e32 v3, vcc_lo, v3
	v_cmp_gt_i64_e32 vcc, 0, v[5:6]
	v_not_b32_e32 v4, v6
	v_ashrrev_i32_e32 v4, 31, v4
	v_and_b32_e32 v2, exec_hi, v2
	v_xor_b32_e32 v6, vcc_hi, v4
	v_and_b32_e32 v3, exec_lo, v3
	v_xor_b32_e32 v4, vcc_lo, v4
	v_and_b32_e32 v2, v2, v6
	v_lshlrev_b32_e32 v6, 29, v1
	v_and_b32_e32 v3, v3, v4
	v_cmp_gt_i64_e32 vcc, 0, v[5:6]
	v_not_b32_e32 v4, v6
	v_ashrrev_i32_e32 v4, 31, v4
	v_xor_b32_e32 v6, vcc_hi, v4
	v_xor_b32_e32 v4, vcc_lo, v4
	v_and_b32_e32 v2, v2, v6
	v_lshlrev_b32_e32 v6, 28, v1
	v_and_b32_e32 v3, v3, v4
	v_cmp_gt_i64_e32 vcc, 0, v[5:6]
	v_not_b32_e32 v4, v6
	v_ashrrev_i32_e32 v4, 31, v4
	v_xor_b32_e32 v6, vcc_hi, v4
	v_xor_b32_e32 v4, vcc_lo, v4
	v_and_b32_e32 v2, v2, v6
	v_lshlrev_b32_e32 v6, 27, v1
	v_and_b32_e32 v3, v3, v4
	v_cmp_gt_i64_e32 vcc, 0, v[5:6]
	v_not_b32_e32 v4, v6
	v_ashrrev_i32_e32 v4, 31, v4
	v_xor_b32_e32 v6, vcc_hi, v4
	v_xor_b32_e32 v4, vcc_lo, v4
	v_and_b32_e32 v2, v2, v6
	v_lshlrev_b32_e32 v6, 26, v1
	v_and_b32_e32 v3, v3, v4
	v_cmp_gt_i64_e32 vcc, 0, v[5:6]
	v_not_b32_e32 v4, v6
	v_ashrrev_i32_e32 v4, 31, v4
	v_xor_b32_e32 v6, vcc_hi, v4
	v_xor_b32_e32 v4, vcc_lo, v4
	v_and_b32_e32 v2, v2, v6
	v_lshlrev_b32_e32 v6, 25, v1
	v_and_b32_e32 v3, v3, v4
	v_cmp_gt_i64_e32 vcc, 0, v[5:6]
	v_not_b32_e32 v4, v6
	v_ashrrev_i32_e32 v4, 31, v4
	v_xor_b32_e32 v6, vcc_hi, v4
	v_and_b32_e32 v2, v2, v6
	v_lshlrev_b32_e32 v6, 24, v1
	v_xor_b32_e32 v4, vcc_lo, v4
	v_cmp_gt_i64_e32 vcc, 0, v[5:6]
	v_not_b32_e32 v1, v6
	v_ashrrev_i32_e32 v1, 31, v1
	v_and_b32_e32 v3, v3, v4
	v_xor_b32_e32 v4, vcc_hi, v1
	v_xor_b32_e32 v1, vcc_lo, v1
	; wave barrier
	ds_read_b32 v50, v51 offset:32
	v_and_b32_e32 v1, v3, v1
	v_and_b32_e32 v2, v2, v4
	v_mbcnt_lo_u32_b32 v3, v1, 0
	v_mbcnt_hi_u32_b32 v6, v2, v3
	v_cmp_ne_u64_e32 vcc, 0, v[1:2]
	v_cmp_eq_u32_e64 s[28:29], 0, v6
	s_and_b64 s[38:39], vcc, s[28:29]
	; wave barrier
	s_and_saveexec_b64 s[28:29], s[38:39]
	s_cbranch_execz .LBB46_20
; %bb.19:                               ;   in Loop: Header=BB46_4 Depth=2
	v_bcnt_u32_b32 v1, v1, 0
	v_bcnt_u32_b32 v1, v2, v1
	s_waitcnt lgkmcnt(0)
	v_add_u32_e32 v1, v50, v1
	ds_write_b32 v51, v1 offset:32
.LBB46_20:                              ;   in Loop: Header=BB46_4 Depth=2
	s_or_b64 exec, exec, s[28:29]
	; wave barrier
	s_waitcnt lgkmcnt(0)
	s_barrier
	ds_read2_b64 v[1:4], v17 offset0:4 offset1:5
	s_waitcnt lgkmcnt(0)
	v_add_u32_e32 v52, v2, v1
	v_add3_u32 v4, v52, v3, v4
	s_nop 1
	v_mov_b32_dpp v52, v4 row_shr:1 row_mask:0xf bank_mask:0xf
	v_cndmask_b32_e64 v52, v52, 0, s[0:1]
	v_add_u32_e32 v4, v52, v4
	s_nop 1
	v_mov_b32_dpp v52, v4 row_shr:2 row_mask:0xf bank_mask:0xf
	v_cndmask_b32_e64 v52, 0, v52, s[2:3]
	v_add_u32_e32 v4, v4, v52
	;; [unrolled: 4-line block ×4, first 2 shown]
	s_nop 1
	v_mov_b32_dpp v52, v4 row_bcast:15 row_mask:0xf bank_mask:0xf
	v_cndmask_b32_e64 v52, v52, 0, s[8:9]
	v_add_u32_e32 v4, v4, v52
	s_nop 1
	v_mov_b32_dpp v52, v4 row_bcast:31 row_mask:0xf bank_mask:0xf
	v_cndmask_b32_e64 v52, 0, v52, s[10:11]
	v_add_u32_e32 v4, v4, v52
	s_and_saveexec_b64 s[28:29], s[12:13]
; %bb.21:                               ;   in Loop: Header=BB46_4 Depth=2
	ds_write_b32 v19, v4
; %bb.22:                               ;   in Loop: Header=BB46_4 Depth=2
	s_or_b64 exec, exec, s[28:29]
	s_waitcnt lgkmcnt(0)
	s_barrier
	s_and_saveexec_b64 s[28:29], s[14:15]
	s_cbranch_execz .LBB46_24
; %bb.23:                               ;   in Loop: Header=BB46_4 Depth=2
	ds_read_b32 v52, v20
	s_waitcnt lgkmcnt(0)
	s_nop 0
	v_mov_b32_dpp v53, v52 row_shr:1 row_mask:0xf bank_mask:0xf
	v_cndmask_b32_e64 v53, v53, 0, s[22:23]
	v_add_u32_e32 v52, v53, v52
	s_nop 1
	v_mov_b32_dpp v53, v52 row_shr:2 row_mask:0xf bank_mask:0xf
	v_cndmask_b32_e64 v53, 0, v53, s[24:25]
	v_add_u32_e32 v52, v52, v53
	;; [unrolled: 4-line block ×3, first 2 shown]
	ds_write_b32 v20, v52
.LBB46_24:                              ;   in Loop: Header=BB46_4 Depth=2
	s_or_b64 exec, exec, s[28:29]
	v_mov_b32_e32 v52, 0
	s_waitcnt lgkmcnt(0)
	s_barrier
	s_and_saveexec_b64 s[28:29], s[16:17]
; %bb.25:                               ;   in Loop: Header=BB46_4 Depth=2
	ds_read_b32 v52, v21
; %bb.26:                               ;   in Loop: Header=BB46_4 Depth=2
	s_or_b64 exec, exec, s[28:29]
	s_waitcnt lgkmcnt(0)
	v_add_u32_e32 v4, v52, v4
	ds_bpermute_b32 v4, v18, v4
	v_cmp_lt_u32_e32 vcc, 23, v29
	s_and_b64 vcc, exec, vcc
	s_mov_b64 s[28:29], -1
	s_waitcnt lgkmcnt(0)
	v_cndmask_b32_e64 v4, v4, v52, s[18:19]
	v_cndmask_b32_e64 v52, v4, 0, s[20:21]
	v_add_u32_e32 v53, v52, v1
	v_add_u32_e32 v1, v53, v2
	;; [unrolled: 1-line block ×3, first 2 shown]
	ds_write2_b64 v17, v[52:53], v[1:2] offset0:4 offset1:5
	s_waitcnt lgkmcnt(0)
	s_barrier
	ds_read_b32 v1, v12 offset:32
	ds_read_b32 v2, v14 offset:32
	ds_read_b32 v3, v36 offset:32
	ds_read_b32 v4, v39 offset:32
	ds_read_b32 v12, v42 offset:32
	ds_read_b32 v14, v45 offset:32
	ds_read_b32 v48, v48 offset:32
	ds_read_b32 v51, v51 offset:32
	s_waitcnt lgkmcnt(7)
	v_add_u32_e32 v45, v1, v11
	s_waitcnt lgkmcnt(6)
	v_add3_u32 v42, v34, v13, v2
	s_waitcnt lgkmcnt(5)
	v_add3_u32 v39, v37, v35, v3
	;; [unrolled: 2-line block ×7, first 2 shown]
                                        ; implicit-def: $vgpr14
                                        ; implicit-def: $vgpr12
                                        ; implicit-def: $vgpr4
                                        ; implicit-def: $vgpr2
	s_cbranch_vccnz .LBB46_3
; %bb.27:                               ;   in Loop: Header=BB46_4 Depth=2
	v_lshlrev_b32_e32 v1, 2, v45
	s_barrier
	ds_write_b32 v1, v33
	v_lshlrev_b32_e32 v1, 2, v42
	ds_write_b32 v1, v32
	v_lshlrev_b32_e32 v1, 2, v39
	;; [unrolled: 2-line block ×7, first 2 shown]
	ds_write_b32 v1, v25
	s_waitcnt lgkmcnt(0)
	s_barrier
	ds_read2st64_b32 v[1:2], v16 offset1:1
	ds_read2st64_b32 v[3:4], v16 offset0:2 offset1:3
	ds_read2st64_b32 v[11:12], v16 offset0:4 offset1:5
	;; [unrolled: 1-line block ×3, first 2 shown]
	v_add_u32_e32 v29, 8, v29
	s_mov_b64 s[28:29], 0
	s_waitcnt lgkmcnt(0)
	s_barrier
	s_branch .LBB46_3
.LBB46_28:
	s_add_u32 s0, s30, s36
	s_addc_u32 s1, s31, s37
	v_lshlrev_b32_e32 v0, 2, v0
	v_mov_b32_e32 v1, s1
	v_add_co_u32_e32 v2, vcc, s0, v0
	v_addc_co_u32_e32 v5, vcc, 0, v1, vcc
	global_store_dword v0, v14, s[0:1]
	global_store_dword v0, v25, s[0:1] offset:2048
	v_add_co_u32_e32 v0, vcc, 0x1000, v2
	v_addc_co_u32_e32 v1, vcc, 0, v5, vcc
	global_store_dword v[0:1], v12, off
	global_store_dword v[0:1], v13, off offset:2048
	v_add_co_u32_e32 v0, vcc, 0x2000, v2
	v_addc_co_u32_e32 v1, vcc, 0, v5, vcc
	global_store_dword v[0:1], v6, off
	global_store_dword v[0:1], v11, off offset:2048
	v_add_co_u32_e32 v0, vcc, 0x3000, v2
	v_addc_co_u32_e32 v1, vcc, 0, v5, vcc
	global_store_dword v[0:1], v3, off
	global_store_dword v[0:1], v4, off offset:2048
	s_endpgm
	.section	.rodata,"a",@progbits
	.p2align	6, 0x0
	.amdhsa_kernel _Z16sort_keys_kernelI22helper_blocked_blockediLj512ELj8ELj10EEvPKT0_PS1_
		.amdhsa_group_segment_fixed_size 16384
		.amdhsa_private_segment_fixed_size 0
		.amdhsa_kernarg_size 272
		.amdhsa_user_sgpr_count 6
		.amdhsa_user_sgpr_private_segment_buffer 1
		.amdhsa_user_sgpr_dispatch_ptr 0
		.amdhsa_user_sgpr_queue_ptr 0
		.amdhsa_user_sgpr_kernarg_segment_ptr 1
		.amdhsa_user_sgpr_dispatch_id 0
		.amdhsa_user_sgpr_flat_scratch_init 0
		.amdhsa_user_sgpr_private_segment_size 0
		.amdhsa_uses_dynamic_stack 0
		.amdhsa_system_sgpr_private_segment_wavefront_offset 0
		.amdhsa_system_sgpr_workgroup_id_x 1
		.amdhsa_system_sgpr_workgroup_id_y 0
		.amdhsa_system_sgpr_workgroup_id_z 0
		.amdhsa_system_sgpr_workgroup_info 0
		.amdhsa_system_vgpr_workitem_id 2
		.amdhsa_next_free_vgpr 54
		.amdhsa_next_free_sgpr 61
		.amdhsa_reserve_vcc 1
		.amdhsa_reserve_flat_scratch 0
		.amdhsa_float_round_mode_32 0
		.amdhsa_float_round_mode_16_64 0
		.amdhsa_float_denorm_mode_32 3
		.amdhsa_float_denorm_mode_16_64 3
		.amdhsa_dx10_clamp 1
		.amdhsa_ieee_mode 1
		.amdhsa_fp16_overflow 0
		.amdhsa_exception_fp_ieee_invalid_op 0
		.amdhsa_exception_fp_denorm_src 0
		.amdhsa_exception_fp_ieee_div_zero 0
		.amdhsa_exception_fp_ieee_overflow 0
		.amdhsa_exception_fp_ieee_underflow 0
		.amdhsa_exception_fp_ieee_inexact 0
		.amdhsa_exception_int_div_zero 0
	.end_amdhsa_kernel
	.section	.text._Z16sort_keys_kernelI22helper_blocked_blockediLj512ELj8ELj10EEvPKT0_PS1_,"axG",@progbits,_Z16sort_keys_kernelI22helper_blocked_blockediLj512ELj8ELj10EEvPKT0_PS1_,comdat
.Lfunc_end46:
	.size	_Z16sort_keys_kernelI22helper_blocked_blockediLj512ELj8ELj10EEvPKT0_PS1_, .Lfunc_end46-_Z16sort_keys_kernelI22helper_blocked_blockediLj512ELj8ELj10EEvPKT0_PS1_
                                        ; -- End function
	.set _Z16sort_keys_kernelI22helper_blocked_blockediLj512ELj8ELj10EEvPKT0_PS1_.num_vgpr, 54
	.set _Z16sort_keys_kernelI22helper_blocked_blockediLj512ELj8ELj10EEvPKT0_PS1_.num_agpr, 0
	.set _Z16sort_keys_kernelI22helper_blocked_blockediLj512ELj8ELj10EEvPKT0_PS1_.numbered_sgpr, 40
	.set _Z16sort_keys_kernelI22helper_blocked_blockediLj512ELj8ELj10EEvPKT0_PS1_.num_named_barrier, 0
	.set _Z16sort_keys_kernelI22helper_blocked_blockediLj512ELj8ELj10EEvPKT0_PS1_.private_seg_size, 0
	.set _Z16sort_keys_kernelI22helper_blocked_blockediLj512ELj8ELj10EEvPKT0_PS1_.uses_vcc, 1
	.set _Z16sort_keys_kernelI22helper_blocked_blockediLj512ELj8ELj10EEvPKT0_PS1_.uses_flat_scratch, 0
	.set _Z16sort_keys_kernelI22helper_blocked_blockediLj512ELj8ELj10EEvPKT0_PS1_.has_dyn_sized_stack, 0
	.set _Z16sort_keys_kernelI22helper_blocked_blockediLj512ELj8ELj10EEvPKT0_PS1_.has_recursion, 0
	.set _Z16sort_keys_kernelI22helper_blocked_blockediLj512ELj8ELj10EEvPKT0_PS1_.has_indirect_call, 0
	.section	.AMDGPU.csdata,"",@progbits
; Kernel info:
; codeLenInByte = 4600
; TotalNumSgprs: 44
; NumVgprs: 54
; ScratchSize: 0
; MemoryBound: 0
; FloatMode: 240
; IeeeMode: 1
; LDSByteSize: 16384 bytes/workgroup (compile time only)
; SGPRBlocks: 8
; VGPRBlocks: 13
; NumSGPRsForWavesPerEU: 65
; NumVGPRsForWavesPerEU: 54
; Occupancy: 4
; WaveLimiterHint : 1
; COMPUTE_PGM_RSRC2:SCRATCH_EN: 0
; COMPUTE_PGM_RSRC2:USER_SGPR: 6
; COMPUTE_PGM_RSRC2:TRAP_HANDLER: 0
; COMPUTE_PGM_RSRC2:TGID_X_EN: 1
; COMPUTE_PGM_RSRC2:TGID_Y_EN: 0
; COMPUTE_PGM_RSRC2:TGID_Z_EN: 0
; COMPUTE_PGM_RSRC2:TIDIG_COMP_CNT: 2
	.section	.text._Z17sort_pairs_kernelI22helper_blocked_blockediLj512ELj8ELj10EEvPKT0_PS1_,"axG",@progbits,_Z17sort_pairs_kernelI22helper_blocked_blockediLj512ELj8ELj10EEvPKT0_PS1_,comdat
	.protected	_Z17sort_pairs_kernelI22helper_blocked_blockediLj512ELj8ELj10EEvPKT0_PS1_ ; -- Begin function _Z17sort_pairs_kernelI22helper_blocked_blockediLj512ELj8ELj10EEvPKT0_PS1_
	.globl	_Z17sort_pairs_kernelI22helper_blocked_blockediLj512ELj8ELj10EEvPKT0_PS1_
	.p2align	8
	.type	_Z17sort_pairs_kernelI22helper_blocked_blockediLj512ELj8ELj10EEvPKT0_PS1_,@function
_Z17sort_pairs_kernelI22helper_blocked_blockediLj512ELj8ELj10EEvPKT0_PS1_: ; @_Z17sort_pairs_kernelI22helper_blocked_blockediLj512ELj8ELj10EEvPKT0_PS1_
; %bb.0:
	s_load_dwordx4 s[28:31], s[4:5], 0x0
	s_load_dword s26, s[4:5], 0x1c
	s_lshl_b32 s36, s6, 12
	s_mov_b32 s37, 0
	s_lshl_b64 s[34:35], s[36:37], 2
	s_waitcnt lgkmcnt(0)
	s_add_u32 s0, s28, s34
	s_addc_u32 s1, s29, s35
	v_lshlrev_b32_e32 v9, 2, v0
	v_mov_b32_e32 v3, s1
	v_add_co_u32_e32 v7, vcc, s0, v9
	v_addc_co_u32_e32 v8, vcc, 0, v3, vcc
	s_movk_i32 s2, 0x1000
	v_add_co_u32_e32 v3, vcc, s2, v7
	v_addc_co_u32_e32 v4, vcc, 0, v8, vcc
	s_movk_i32 s2, 0x2000
	;; [unrolled: 3-line block ×3, first 2 shown]
	v_add_co_u32_e32 v7, vcc, s2, v7
	v_addc_co_u32_e32 v8, vcc, 0, v8, vcc
	global_load_dword v10, v9, s[0:1]
	global_load_dword v15, v9, s[0:1] offset:2048
	global_load_dword v16, v[5:6], off offset:-4096
	global_load_dword v17, v[3:4], off offset:2048
	global_load_dword v18, v[5:6], off
	global_load_dword v19, v[5:6], off offset:2048
	global_load_dword v20, v[7:8], off
	global_load_dword v21, v[7:8], off offset:2048
	s_lshr_b32 s27, s26, 16
	s_and_b32 s26, s26, 0xffff
	v_mad_u32_u24 v1, v2, s27, v1
	v_mbcnt_lo_u32_b32 v3, -1, 0
	v_mad_u64_u32 v[1:2], s[26:27], v1, s26, v[0:1]
	v_mbcnt_hi_u32_b32 v3, -1, v3
	v_lshlrev_b32_e32 v5, 5, v0
	v_subrev_co_u32_e64 v11, s[8:9], 1, v3
	v_and_b32_e32 v12, 64, v3
	v_and_b32_e32 v4, 0x1c0, v0
	v_lshlrev_b32_e32 v23, 4, v0
	v_lshrrev_b32_e32 v6, 4, v0
	v_and_b32_e32 v5, 0x3800, v5
	v_cmp_lt_i32_e32 vcc, v11, v12
	s_mov_b32 s36, s37
	s_mov_b32 s28, s37
	v_mul_u32_u24_e32 v9, 28, v0
	v_add_lshl_u32 v24, v3, v4, 5
	v_and_b32_e32 v7, 15, v3
	v_and_b32_e32 v8, 16, v3
	v_cmp_lt_u32_e64 s[6:7], 31, v3
	v_or_b32_e32 v4, 63, v4
	v_and_b32_e32 v25, 28, v6
	v_mad_i32_i24 v26, v0, -12, v23
	v_and_b32_e32 v6, 7, v3
	v_lshl_or_b32 v27, v3, 2, v5
	v_cndmask_b32_e32 v3, v11, v3, vcc
	v_lshrrev_b32_e32 v1, 4, v1
	s_mov_b32 s29, s37
	v_mov_b32_e32 v11, s36
	v_mov_b32_e32 v13, s28
	v_cmp_gt_u32_e64 s[0:1], 8, v0
	v_cmp_lt_u32_e64 s[2:3], 63, v0
	v_cmp_eq_u32_e64 s[4:5], 0, v0
	v_cmp_eq_u32_e64 s[10:11], 0, v7
	v_cmp_lt_u32_e64 s[12:13], 1, v7
	v_cmp_lt_u32_e64 s[14:15], 3, v7
	;; [unrolled: 1-line block ×3, first 2 shown]
	v_cmp_eq_u32_e64 s[18:19], 0, v8
	v_cmp_eq_u32_e64 s[20:21], v0, v4
	;; [unrolled: 1-line block ×3, first 2 shown]
	v_cmp_lt_u32_e64 s[24:25], 1, v6
	v_cmp_lt_u32_e64 s[26:27], 3, v6
	v_add_u32_e32 v28, -4, v25
	v_lshlrev_b32_e32 v29, 2, v3
	v_and_b32_e32 v30, 0xffffffc, v1
	v_add_u32_e32 v31, v26, v9
	v_mov_b32_e32 v32, 5
	v_mov_b32_e32 v9, 0
	;; [unrolled: 1-line block ×4, first 2 shown]
	s_waitcnt vmcnt(7)
	v_add_u32_e32 v5, 1, v10
	s_waitcnt vmcnt(6)
	v_add_u32_e32 v6, 1, v15
	;; [unrolled: 2-line block ×8, first 2 shown]
	s_branch .LBB47_2
.LBB47_1:                               ;   in Loop: Header=BB47_2 Depth=1
	v_lshlrev_b32_e32 v1, 2, v61
	v_lshlrev_b32_e32 v2, 2, v60
	;; [unrolled: 1-line block ×8, first 2 shown]
	s_barrier
	ds_write_b32 v1, v49
	ds_write_b32 v2, v48
	;; [unrolled: 1-line block ×8, first 2 shown]
	s_waitcnt lgkmcnt(0)
	s_barrier
	ds_read2_b64 v[15:18], v31 offset1:1
	ds_read2_b64 v[19:22], v31 offset0:2 offset1:3
	s_waitcnt lgkmcnt(0)
	s_barrier
	ds_write_b32 v1, v43
	ds_write_b32 v2, v42
	;; [unrolled: 1-line block ×8, first 2 shown]
	s_waitcnt lgkmcnt(0)
	s_barrier
	ds_read2_b64 v[5:8], v31 offset1:1
	ds_read2_b64 v[1:4], v31 offset0:2 offset1:3
	s_add_i32 s37, s37, 1
	v_xor_b32_e32 v10, 0x80000000, v15
	v_xor_b32_e32 v15, 0x80000000, v16
	;; [unrolled: 1-line block ×7, first 2 shown]
	s_cmp_eq_u32 s37, 10
	v_xor_b32_e32 v21, 0x80000000, v22
	s_cbranch_scc1 .LBB47_28
.LBB47_2:                               ; =>This Loop Header: Depth=1
                                        ;     Child Loop BB47_4 Depth 2
	v_xor_b32_e32 v33, 0x80000000, v10
	v_xor_b32_e32 v34, 0x80000000, v15
	;; [unrolled: 1-line block ×8, first 2 shown]
	ds_write2_b64 v24, v[33:34], v[15:16] offset1:1
	ds_write2_b64 v24, v[17:18], v[19:20] offset0:2 offset1:3
	; wave barrier
	ds_read2st64_b32 v[15:16], v27 offset1:1
	ds_read2st64_b32 v[17:18], v27 offset0:2 offset1:3
	ds_read2st64_b32 v[19:20], v27 offset0:4 offset1:5
	;; [unrolled: 1-line block ×3, first 2 shown]
	; wave barrier
	s_waitcnt lgkmcnt(7)
	ds_write2_b64 v24, v[5:6], v[7:8] offset1:1
	s_waitcnt lgkmcnt(7)
	ds_write2_b64 v24, v[1:2], v[3:4] offset0:2 offset1:3
	; wave barrier
	ds_read2st64_b32 v[1:2], v27 offset1:1
	ds_read2st64_b32 v[3:4], v27 offset0:2 offset1:3
	ds_read2st64_b32 v[5:6], v27 offset0:4 offset1:5
	;; [unrolled: 1-line block ×3, first 2 shown]
	v_mov_b32_e32 v39, v9
	s_waitcnt lgkmcnt(0)
	s_barrier
	s_branch .LBB47_4
.LBB47_3:                               ;   in Loop: Header=BB47_4 Depth=2
	s_andn2_b64 vcc, exec, s[28:29]
	s_cbranch_vccz .LBB47_1
.LBB47_4:                               ;   Parent Loop BB47_2 Depth=1
                                        ; =>  This Inner Loop Header: Depth=2
	v_mov_b32_e32 v49, v15
	v_mov_b32_e32 v43, v1
	v_lshrrev_b32_e32 v1, v39, v49
	v_mov_b32_e32 v42, v2
	v_and_b32_e32 v2, 1, v1
	v_mov_b32_e32 v37, v4
	v_add_co_u32_e32 v4, vcc, -1, v2
	v_mov_b32_e32 v36, v5
	v_addc_co_u32_e64 v5, s[28:29], 0, -1, vcc
	v_cmp_ne_u32_e32 vcc, 0, v2
	v_lshlrev_b32_e32 v10, 30, v1
	v_xor_b32_e32 v2, vcc_hi, v5
	v_xor_b32_e32 v4, vcc_lo, v4
	v_cmp_gt_i64_e32 vcc, 0, v[9:10]
	v_not_b32_e32 v5, v10
	v_ashrrev_i32_e32 v5, 31, v5
	v_mov_b32_e32 v35, v6
	v_and_b32_e32 v4, exec_lo, v4
	v_xor_b32_e32 v6, vcc_hi, v5
	v_xor_b32_e32 v5, vcc_lo, v5
	v_lshlrev_b32_e32 v10, 29, v1
	v_and_b32_e32 v4, v4, v5
	v_cmp_gt_i64_e32 vcc, 0, v[9:10]
	v_not_b32_e32 v5, v10
	v_and_b32_e32 v2, exec_hi, v2
	v_ashrrev_i32_e32 v5, 31, v5
	v_and_b32_e32 v2, v2, v6
	v_xor_b32_e32 v6, vcc_hi, v5
	v_xor_b32_e32 v5, vcc_lo, v5
	v_lshlrev_b32_e32 v10, 28, v1
	v_and_b32_e32 v4, v4, v5
	v_cmp_gt_i64_e32 vcc, 0, v[9:10]
	v_not_b32_e32 v5, v10
	v_ashrrev_i32_e32 v5, 31, v5
	v_and_b32_e32 v2, v2, v6
	v_xor_b32_e32 v6, vcc_hi, v5
	v_xor_b32_e32 v5, vcc_lo, v5
	v_lshlrev_b32_e32 v10, 27, v1
	v_and_b32_e32 v4, v4, v5
	v_cmp_gt_i64_e32 vcc, 0, v[9:10]
	v_not_b32_e32 v5, v10
	;; [unrolled: 8-line block ×4, first 2 shown]
	v_ashrrev_i32_e32 v5, 31, v5
	v_lshlrev_b32_e32 v10, 24, v1
	v_mov_b32_e32 v40, v3
	v_lshlrev_b32_sdwa v3, v32, v1 dst_sel:DWORD dst_unused:UNUSED_PAD src0_sel:DWORD src1_sel:BYTE_0
	v_and_b32_e32 v2, v2, v6
	v_xor_b32_e32 v6, vcc_hi, v5
	v_xor_b32_e32 v5, vcc_lo, v5
	v_cmp_gt_i64_e32 vcc, 0, v[9:10]
	v_not_b32_e32 v1, v10
	v_ashrrev_i32_e32 v1, 31, v1
	v_and_b32_e32 v4, v4, v5
	v_xor_b32_e32 v5, vcc_hi, v1
	v_xor_b32_e32 v1, vcc_lo, v1
	v_and_b32_e32 v2, v2, v6
	v_and_b32_e32 v1, v4, v1
	;; [unrolled: 1-line block ×3, first 2 shown]
	v_mbcnt_lo_u32_b32 v4, v1, 0
	v_mbcnt_hi_u32_b32 v5, v2, v4
	v_cmp_ne_u64_e32 vcc, 0, v[1:2]
	v_cmp_eq_u32_e64 s[28:29], 0, v5
	v_mov_b32_e32 v38, v22
	v_mov_b32_e32 v41, v21
	;; [unrolled: 1-line block ×9, first 2 shown]
	s_and_b64 s[38:39], vcc, s[28:29]
	v_add_u32_e32 v6, v30, v3
	ds_write2_b64 v23, v[11:12], v[13:14] offset0:4 offset1:5
	s_waitcnt lgkmcnt(0)
	s_barrier
	; wave barrier
	s_and_saveexec_b64 s[28:29], s[38:39]
; %bb.5:                                ;   in Loop: Header=BB47_4 Depth=2
	v_bcnt_u32_b32 v1, v1, 0
	v_bcnt_u32_b32 v1, v2, v1
	ds_write_b32 v6, v1 offset:32
; %bb.6:                                ;   in Loop: Header=BB47_4 Depth=2
	s_or_b64 exec, exec, s[28:29]
	v_lshrrev_b32_e32 v1, v39, v48
	v_lshlrev_b32_sdwa v2, v32, v1 dst_sel:DWORD dst_unused:UNUSED_PAD src0_sel:DWORD src1_sel:BYTE_0
	v_add_u32_e32 v8, v30, v2
	v_and_b32_e32 v2, 1, v1
	v_add_co_u32_e32 v3, vcc, -1, v2
	v_addc_co_u32_e64 v4, s[28:29], 0, -1, vcc
	v_cmp_ne_u32_e32 vcc, 0, v2
	v_lshlrev_b32_e32 v10, 30, v1
	v_xor_b32_e32 v2, vcc_hi, v4
	v_xor_b32_e32 v3, vcc_lo, v3
	v_cmp_gt_i64_e32 vcc, 0, v[9:10]
	v_not_b32_e32 v4, v10
	v_ashrrev_i32_e32 v4, 31, v4
	v_and_b32_e32 v2, exec_hi, v2
	v_xor_b32_e32 v10, vcc_hi, v4
	v_and_b32_e32 v3, exec_lo, v3
	v_xor_b32_e32 v4, vcc_lo, v4
	v_and_b32_e32 v2, v2, v10
	v_lshlrev_b32_e32 v10, 29, v1
	v_and_b32_e32 v3, v3, v4
	v_cmp_gt_i64_e32 vcc, 0, v[9:10]
	v_not_b32_e32 v4, v10
	v_ashrrev_i32_e32 v4, 31, v4
	v_xor_b32_e32 v10, vcc_hi, v4
	v_xor_b32_e32 v4, vcc_lo, v4
	v_and_b32_e32 v2, v2, v10
	v_lshlrev_b32_e32 v10, 28, v1
	v_and_b32_e32 v3, v3, v4
	v_cmp_gt_i64_e32 vcc, 0, v[9:10]
	v_not_b32_e32 v4, v10
	v_ashrrev_i32_e32 v4, 31, v4
	v_xor_b32_e32 v10, vcc_hi, v4
	;; [unrolled: 8-line block ×5, first 2 shown]
	v_and_b32_e32 v2, v2, v10
	v_lshlrev_b32_e32 v10, 24, v1
	v_xor_b32_e32 v4, vcc_lo, v4
	v_cmp_gt_i64_e32 vcc, 0, v[9:10]
	v_not_b32_e32 v1, v10
	v_ashrrev_i32_e32 v1, 31, v1
	v_and_b32_e32 v3, v3, v4
	v_xor_b32_e32 v4, vcc_hi, v1
	v_xor_b32_e32 v1, vcc_lo, v1
	; wave barrier
	ds_read_b32 v7, v8 offset:32
	v_and_b32_e32 v1, v3, v1
	v_and_b32_e32 v2, v2, v4
	v_mbcnt_lo_u32_b32 v3, v1, 0
	v_mbcnt_hi_u32_b32 v15, v2, v3
	v_cmp_ne_u64_e32 vcc, 0, v[1:2]
	v_cmp_eq_u32_e64 s[28:29], 0, v15
	s_and_b64 s[38:39], vcc, s[28:29]
	; wave barrier
	s_and_saveexec_b64 s[28:29], s[38:39]
	s_cbranch_execz .LBB47_8
; %bb.7:                                ;   in Loop: Header=BB47_4 Depth=2
	v_bcnt_u32_b32 v1, v1, 0
	v_bcnt_u32_b32 v1, v2, v1
	s_waitcnt lgkmcnt(0)
	v_add_u32_e32 v1, v7, v1
	ds_write_b32 v8, v1 offset:32
.LBB47_8:                               ;   in Loop: Header=BB47_4 Depth=2
	s_or_b64 exec, exec, s[28:29]
	v_lshrrev_b32_e32 v1, v39, v47
	v_lshlrev_b32_sdwa v2, v32, v1 dst_sel:DWORD dst_unused:UNUSED_PAD src0_sel:DWORD src1_sel:BYTE_0
	v_add_u32_e32 v17, v30, v2
	v_and_b32_e32 v2, 1, v1
	v_add_co_u32_e32 v3, vcc, -1, v2
	v_addc_co_u32_e64 v4, s[28:29], 0, -1, vcc
	v_cmp_ne_u32_e32 vcc, 0, v2
	v_lshlrev_b32_e32 v10, 30, v1
	v_xor_b32_e32 v2, vcc_hi, v4
	v_xor_b32_e32 v3, vcc_lo, v3
	v_cmp_gt_i64_e32 vcc, 0, v[9:10]
	v_not_b32_e32 v4, v10
	v_ashrrev_i32_e32 v4, 31, v4
	v_and_b32_e32 v2, exec_hi, v2
	v_xor_b32_e32 v10, vcc_hi, v4
	v_and_b32_e32 v3, exec_lo, v3
	v_xor_b32_e32 v4, vcc_lo, v4
	v_and_b32_e32 v2, v2, v10
	v_lshlrev_b32_e32 v10, 29, v1
	v_and_b32_e32 v3, v3, v4
	v_cmp_gt_i64_e32 vcc, 0, v[9:10]
	v_not_b32_e32 v4, v10
	v_ashrrev_i32_e32 v4, 31, v4
	v_xor_b32_e32 v10, vcc_hi, v4
	v_xor_b32_e32 v4, vcc_lo, v4
	v_and_b32_e32 v2, v2, v10
	v_lshlrev_b32_e32 v10, 28, v1
	v_and_b32_e32 v3, v3, v4
	v_cmp_gt_i64_e32 vcc, 0, v[9:10]
	v_not_b32_e32 v4, v10
	v_ashrrev_i32_e32 v4, 31, v4
	v_xor_b32_e32 v10, vcc_hi, v4
	;; [unrolled: 8-line block ×5, first 2 shown]
	v_and_b32_e32 v2, v2, v10
	v_lshlrev_b32_e32 v10, 24, v1
	v_xor_b32_e32 v4, vcc_lo, v4
	v_cmp_gt_i64_e32 vcc, 0, v[9:10]
	v_not_b32_e32 v1, v10
	v_ashrrev_i32_e32 v1, 31, v1
	v_and_b32_e32 v3, v3, v4
	v_xor_b32_e32 v4, vcc_hi, v1
	v_xor_b32_e32 v1, vcc_lo, v1
	; wave barrier
	ds_read_b32 v16, v17 offset:32
	v_and_b32_e32 v1, v3, v1
	v_and_b32_e32 v2, v2, v4
	v_mbcnt_lo_u32_b32 v3, v1, 0
	v_mbcnt_hi_u32_b32 v18, v2, v3
	v_cmp_ne_u64_e32 vcc, 0, v[1:2]
	v_cmp_eq_u32_e64 s[28:29], 0, v18
	s_and_b64 s[38:39], vcc, s[28:29]
	; wave barrier
	s_and_saveexec_b64 s[28:29], s[38:39]
	s_cbranch_execz .LBB47_10
; %bb.9:                                ;   in Loop: Header=BB47_4 Depth=2
	v_bcnt_u32_b32 v1, v1, 0
	v_bcnt_u32_b32 v1, v2, v1
	s_waitcnt lgkmcnt(0)
	v_add_u32_e32 v1, v16, v1
	ds_write_b32 v17, v1 offset:32
.LBB47_10:                              ;   in Loop: Header=BB47_4 Depth=2
	s_or_b64 exec, exec, s[28:29]
	v_lshrrev_b32_e32 v1, v39, v46
	v_lshlrev_b32_sdwa v2, v32, v1 dst_sel:DWORD dst_unused:UNUSED_PAD src0_sel:DWORD src1_sel:BYTE_0
	v_add_u32_e32 v20, v30, v2
	v_and_b32_e32 v2, 1, v1
	v_add_co_u32_e32 v3, vcc, -1, v2
	v_addc_co_u32_e64 v4, s[28:29], 0, -1, vcc
	v_cmp_ne_u32_e32 vcc, 0, v2
	v_lshlrev_b32_e32 v10, 30, v1
	v_xor_b32_e32 v2, vcc_hi, v4
	v_xor_b32_e32 v3, vcc_lo, v3
	v_cmp_gt_i64_e32 vcc, 0, v[9:10]
	v_not_b32_e32 v4, v10
	v_ashrrev_i32_e32 v4, 31, v4
	v_and_b32_e32 v2, exec_hi, v2
	v_xor_b32_e32 v10, vcc_hi, v4
	v_and_b32_e32 v3, exec_lo, v3
	v_xor_b32_e32 v4, vcc_lo, v4
	v_and_b32_e32 v2, v2, v10
	v_lshlrev_b32_e32 v10, 29, v1
	v_and_b32_e32 v3, v3, v4
	v_cmp_gt_i64_e32 vcc, 0, v[9:10]
	v_not_b32_e32 v4, v10
	v_ashrrev_i32_e32 v4, 31, v4
	v_xor_b32_e32 v10, vcc_hi, v4
	v_xor_b32_e32 v4, vcc_lo, v4
	v_and_b32_e32 v2, v2, v10
	v_lshlrev_b32_e32 v10, 28, v1
	v_and_b32_e32 v3, v3, v4
	v_cmp_gt_i64_e32 vcc, 0, v[9:10]
	v_not_b32_e32 v4, v10
	v_ashrrev_i32_e32 v4, 31, v4
	v_xor_b32_e32 v10, vcc_hi, v4
	;; [unrolled: 8-line block ×5, first 2 shown]
	v_and_b32_e32 v2, v2, v10
	v_lshlrev_b32_e32 v10, 24, v1
	v_xor_b32_e32 v4, vcc_lo, v4
	v_cmp_gt_i64_e32 vcc, 0, v[9:10]
	v_not_b32_e32 v1, v10
	v_ashrrev_i32_e32 v1, 31, v1
	v_and_b32_e32 v3, v3, v4
	v_xor_b32_e32 v4, vcc_hi, v1
	v_xor_b32_e32 v1, vcc_lo, v1
	; wave barrier
	ds_read_b32 v19, v20 offset:32
	v_and_b32_e32 v1, v3, v1
	v_and_b32_e32 v2, v2, v4
	v_mbcnt_lo_u32_b32 v3, v1, 0
	v_mbcnt_hi_u32_b32 v21, v2, v3
	v_cmp_ne_u64_e32 vcc, 0, v[1:2]
	v_cmp_eq_u32_e64 s[28:29], 0, v21
	s_and_b64 s[38:39], vcc, s[28:29]
	; wave barrier
	s_and_saveexec_b64 s[28:29], s[38:39]
	s_cbranch_execz .LBB47_12
; %bb.11:                               ;   in Loop: Header=BB47_4 Depth=2
	v_bcnt_u32_b32 v1, v1, 0
	v_bcnt_u32_b32 v1, v2, v1
	s_waitcnt lgkmcnt(0)
	v_add_u32_e32 v1, v19, v1
	ds_write_b32 v20, v1 offset:32
.LBB47_12:                              ;   in Loop: Header=BB47_4 Depth=2
	s_or_b64 exec, exec, s[28:29]
	v_lshrrev_b32_e32 v1, v39, v45
	v_lshlrev_b32_sdwa v2, v32, v1 dst_sel:DWORD dst_unused:UNUSED_PAD src0_sel:DWORD src1_sel:BYTE_0
	v_add_u32_e32 v50, v30, v2
	v_and_b32_e32 v2, 1, v1
	v_add_co_u32_e32 v3, vcc, -1, v2
	v_addc_co_u32_e64 v4, s[28:29], 0, -1, vcc
	v_cmp_ne_u32_e32 vcc, 0, v2
	v_lshlrev_b32_e32 v10, 30, v1
	v_xor_b32_e32 v2, vcc_hi, v4
	v_xor_b32_e32 v3, vcc_lo, v3
	v_cmp_gt_i64_e32 vcc, 0, v[9:10]
	v_not_b32_e32 v4, v10
	v_ashrrev_i32_e32 v4, 31, v4
	v_and_b32_e32 v2, exec_hi, v2
	v_xor_b32_e32 v10, vcc_hi, v4
	v_and_b32_e32 v3, exec_lo, v3
	v_xor_b32_e32 v4, vcc_lo, v4
	v_and_b32_e32 v2, v2, v10
	v_lshlrev_b32_e32 v10, 29, v1
	v_and_b32_e32 v3, v3, v4
	v_cmp_gt_i64_e32 vcc, 0, v[9:10]
	v_not_b32_e32 v4, v10
	v_ashrrev_i32_e32 v4, 31, v4
	v_xor_b32_e32 v10, vcc_hi, v4
	v_xor_b32_e32 v4, vcc_lo, v4
	v_and_b32_e32 v2, v2, v10
	v_lshlrev_b32_e32 v10, 28, v1
	v_and_b32_e32 v3, v3, v4
	v_cmp_gt_i64_e32 vcc, 0, v[9:10]
	v_not_b32_e32 v4, v10
	v_ashrrev_i32_e32 v4, 31, v4
	v_xor_b32_e32 v10, vcc_hi, v4
	;; [unrolled: 8-line block ×5, first 2 shown]
	v_and_b32_e32 v2, v2, v10
	v_lshlrev_b32_e32 v10, 24, v1
	v_xor_b32_e32 v4, vcc_lo, v4
	v_cmp_gt_i64_e32 vcc, 0, v[9:10]
	v_not_b32_e32 v1, v10
	v_ashrrev_i32_e32 v1, 31, v1
	v_and_b32_e32 v3, v3, v4
	v_xor_b32_e32 v4, vcc_hi, v1
	v_xor_b32_e32 v1, vcc_lo, v1
	; wave barrier
	ds_read_b32 v22, v50 offset:32
	v_and_b32_e32 v1, v3, v1
	v_and_b32_e32 v2, v2, v4
	v_mbcnt_lo_u32_b32 v3, v1, 0
	v_mbcnt_hi_u32_b32 v51, v2, v3
	v_cmp_ne_u64_e32 vcc, 0, v[1:2]
	v_cmp_eq_u32_e64 s[28:29], 0, v51
	s_and_b64 s[38:39], vcc, s[28:29]
	; wave barrier
	s_and_saveexec_b64 s[28:29], s[38:39]
	s_cbranch_execz .LBB47_14
; %bb.13:                               ;   in Loop: Header=BB47_4 Depth=2
	v_bcnt_u32_b32 v1, v1, 0
	v_bcnt_u32_b32 v1, v2, v1
	s_waitcnt lgkmcnt(0)
	v_add_u32_e32 v1, v22, v1
	ds_write_b32 v50, v1 offset:32
.LBB47_14:                              ;   in Loop: Header=BB47_4 Depth=2
	s_or_b64 exec, exec, s[28:29]
	v_lshrrev_b32_e32 v1, v39, v44
	v_lshlrev_b32_sdwa v2, v32, v1 dst_sel:DWORD dst_unused:UNUSED_PAD src0_sel:DWORD src1_sel:BYTE_0
	v_add_u32_e32 v53, v30, v2
	v_and_b32_e32 v2, 1, v1
	v_add_co_u32_e32 v3, vcc, -1, v2
	v_addc_co_u32_e64 v4, s[28:29], 0, -1, vcc
	v_cmp_ne_u32_e32 vcc, 0, v2
	v_lshlrev_b32_e32 v10, 30, v1
	v_xor_b32_e32 v2, vcc_hi, v4
	v_xor_b32_e32 v3, vcc_lo, v3
	v_cmp_gt_i64_e32 vcc, 0, v[9:10]
	v_not_b32_e32 v4, v10
	v_ashrrev_i32_e32 v4, 31, v4
	v_and_b32_e32 v2, exec_hi, v2
	v_xor_b32_e32 v10, vcc_hi, v4
	v_and_b32_e32 v3, exec_lo, v3
	v_xor_b32_e32 v4, vcc_lo, v4
	v_and_b32_e32 v2, v2, v10
	v_lshlrev_b32_e32 v10, 29, v1
	v_and_b32_e32 v3, v3, v4
	v_cmp_gt_i64_e32 vcc, 0, v[9:10]
	v_not_b32_e32 v4, v10
	v_ashrrev_i32_e32 v4, 31, v4
	v_xor_b32_e32 v10, vcc_hi, v4
	v_xor_b32_e32 v4, vcc_lo, v4
	v_and_b32_e32 v2, v2, v10
	v_lshlrev_b32_e32 v10, 28, v1
	v_and_b32_e32 v3, v3, v4
	v_cmp_gt_i64_e32 vcc, 0, v[9:10]
	v_not_b32_e32 v4, v10
	v_ashrrev_i32_e32 v4, 31, v4
	v_xor_b32_e32 v10, vcc_hi, v4
	;; [unrolled: 8-line block ×5, first 2 shown]
	v_and_b32_e32 v2, v2, v10
	v_lshlrev_b32_e32 v10, 24, v1
	v_xor_b32_e32 v4, vcc_lo, v4
	v_cmp_gt_i64_e32 vcc, 0, v[9:10]
	v_not_b32_e32 v1, v10
	v_ashrrev_i32_e32 v1, 31, v1
	v_and_b32_e32 v3, v3, v4
	v_xor_b32_e32 v4, vcc_hi, v1
	v_xor_b32_e32 v1, vcc_lo, v1
	; wave barrier
	ds_read_b32 v52, v53 offset:32
	v_and_b32_e32 v1, v3, v1
	v_and_b32_e32 v2, v2, v4
	v_mbcnt_lo_u32_b32 v3, v1, 0
	v_mbcnt_hi_u32_b32 v54, v2, v3
	v_cmp_ne_u64_e32 vcc, 0, v[1:2]
	v_cmp_eq_u32_e64 s[28:29], 0, v54
	s_and_b64 s[38:39], vcc, s[28:29]
	; wave barrier
	s_and_saveexec_b64 s[28:29], s[38:39]
	s_cbranch_execz .LBB47_16
; %bb.15:                               ;   in Loop: Header=BB47_4 Depth=2
	v_bcnt_u32_b32 v1, v1, 0
	v_bcnt_u32_b32 v1, v2, v1
	s_waitcnt lgkmcnt(0)
	v_add_u32_e32 v1, v52, v1
	ds_write_b32 v53, v1 offset:32
.LBB47_16:                              ;   in Loop: Header=BB47_4 Depth=2
	s_or_b64 exec, exec, s[28:29]
	v_lshrrev_b32_e32 v1, v39, v41
	v_lshlrev_b32_sdwa v2, v32, v1 dst_sel:DWORD dst_unused:UNUSED_PAD src0_sel:DWORD src1_sel:BYTE_0
	v_add_u32_e32 v56, v30, v2
	v_and_b32_e32 v2, 1, v1
	v_add_co_u32_e32 v3, vcc, -1, v2
	v_addc_co_u32_e64 v4, s[28:29], 0, -1, vcc
	v_cmp_ne_u32_e32 vcc, 0, v2
	v_lshlrev_b32_e32 v10, 30, v1
	v_xor_b32_e32 v2, vcc_hi, v4
	v_xor_b32_e32 v3, vcc_lo, v3
	v_cmp_gt_i64_e32 vcc, 0, v[9:10]
	v_not_b32_e32 v4, v10
	v_ashrrev_i32_e32 v4, 31, v4
	v_and_b32_e32 v2, exec_hi, v2
	v_xor_b32_e32 v10, vcc_hi, v4
	v_and_b32_e32 v3, exec_lo, v3
	v_xor_b32_e32 v4, vcc_lo, v4
	v_and_b32_e32 v2, v2, v10
	v_lshlrev_b32_e32 v10, 29, v1
	v_and_b32_e32 v3, v3, v4
	v_cmp_gt_i64_e32 vcc, 0, v[9:10]
	v_not_b32_e32 v4, v10
	v_ashrrev_i32_e32 v4, 31, v4
	v_xor_b32_e32 v10, vcc_hi, v4
	v_xor_b32_e32 v4, vcc_lo, v4
	v_and_b32_e32 v2, v2, v10
	v_lshlrev_b32_e32 v10, 28, v1
	v_and_b32_e32 v3, v3, v4
	v_cmp_gt_i64_e32 vcc, 0, v[9:10]
	v_not_b32_e32 v4, v10
	v_ashrrev_i32_e32 v4, 31, v4
	v_xor_b32_e32 v10, vcc_hi, v4
	;; [unrolled: 8-line block ×5, first 2 shown]
	v_and_b32_e32 v2, v2, v10
	v_lshlrev_b32_e32 v10, 24, v1
	v_xor_b32_e32 v4, vcc_lo, v4
	v_cmp_gt_i64_e32 vcc, 0, v[9:10]
	v_not_b32_e32 v1, v10
	v_ashrrev_i32_e32 v1, 31, v1
	v_and_b32_e32 v3, v3, v4
	v_xor_b32_e32 v4, vcc_hi, v1
	v_xor_b32_e32 v1, vcc_lo, v1
	; wave barrier
	ds_read_b32 v55, v56 offset:32
	v_and_b32_e32 v1, v3, v1
	v_and_b32_e32 v2, v2, v4
	v_mbcnt_lo_u32_b32 v3, v1, 0
	v_mbcnt_hi_u32_b32 v57, v2, v3
	v_cmp_ne_u64_e32 vcc, 0, v[1:2]
	v_cmp_eq_u32_e64 s[28:29], 0, v57
	s_and_b64 s[38:39], vcc, s[28:29]
	; wave barrier
	s_and_saveexec_b64 s[28:29], s[38:39]
	s_cbranch_execz .LBB47_18
; %bb.17:                               ;   in Loop: Header=BB47_4 Depth=2
	v_bcnt_u32_b32 v1, v1, 0
	v_bcnt_u32_b32 v1, v2, v1
	s_waitcnt lgkmcnt(0)
	v_add_u32_e32 v1, v55, v1
	ds_write_b32 v56, v1 offset:32
.LBB47_18:                              ;   in Loop: Header=BB47_4 Depth=2
	s_or_b64 exec, exec, s[28:29]
	v_lshrrev_b32_e32 v1, v39, v38
	v_lshlrev_b32_sdwa v2, v32, v1 dst_sel:DWORD dst_unused:UNUSED_PAD src0_sel:DWORD src1_sel:BYTE_0
	v_add_u32_e32 v59, v30, v2
	v_and_b32_e32 v2, 1, v1
	v_add_co_u32_e32 v3, vcc, -1, v2
	v_addc_co_u32_e64 v4, s[28:29], 0, -1, vcc
	v_cmp_ne_u32_e32 vcc, 0, v2
	v_lshlrev_b32_e32 v10, 30, v1
	v_xor_b32_e32 v2, vcc_hi, v4
	v_xor_b32_e32 v3, vcc_lo, v3
	v_cmp_gt_i64_e32 vcc, 0, v[9:10]
	v_not_b32_e32 v4, v10
	v_ashrrev_i32_e32 v4, 31, v4
	v_and_b32_e32 v2, exec_hi, v2
	v_xor_b32_e32 v10, vcc_hi, v4
	v_and_b32_e32 v3, exec_lo, v3
	v_xor_b32_e32 v4, vcc_lo, v4
	v_and_b32_e32 v2, v2, v10
	v_lshlrev_b32_e32 v10, 29, v1
	v_and_b32_e32 v3, v3, v4
	v_cmp_gt_i64_e32 vcc, 0, v[9:10]
	v_not_b32_e32 v4, v10
	v_ashrrev_i32_e32 v4, 31, v4
	v_xor_b32_e32 v10, vcc_hi, v4
	v_xor_b32_e32 v4, vcc_lo, v4
	v_and_b32_e32 v2, v2, v10
	v_lshlrev_b32_e32 v10, 28, v1
	v_and_b32_e32 v3, v3, v4
	v_cmp_gt_i64_e32 vcc, 0, v[9:10]
	v_not_b32_e32 v4, v10
	v_ashrrev_i32_e32 v4, 31, v4
	v_xor_b32_e32 v10, vcc_hi, v4
	;; [unrolled: 8-line block ×5, first 2 shown]
	v_and_b32_e32 v2, v2, v10
	v_lshlrev_b32_e32 v10, 24, v1
	v_xor_b32_e32 v4, vcc_lo, v4
	v_cmp_gt_i64_e32 vcc, 0, v[9:10]
	v_not_b32_e32 v1, v10
	v_ashrrev_i32_e32 v1, 31, v1
	v_and_b32_e32 v3, v3, v4
	v_xor_b32_e32 v4, vcc_hi, v1
	v_xor_b32_e32 v1, vcc_lo, v1
	; wave barrier
	ds_read_b32 v58, v59 offset:32
	v_and_b32_e32 v1, v3, v1
	v_and_b32_e32 v2, v2, v4
	v_mbcnt_lo_u32_b32 v3, v1, 0
	v_mbcnt_hi_u32_b32 v10, v2, v3
	v_cmp_ne_u64_e32 vcc, 0, v[1:2]
	v_cmp_eq_u32_e64 s[28:29], 0, v10
	s_and_b64 s[38:39], vcc, s[28:29]
	; wave barrier
	s_and_saveexec_b64 s[28:29], s[38:39]
	s_cbranch_execz .LBB47_20
; %bb.19:                               ;   in Loop: Header=BB47_4 Depth=2
	v_bcnt_u32_b32 v1, v1, 0
	v_bcnt_u32_b32 v1, v2, v1
	s_waitcnt lgkmcnt(0)
	v_add_u32_e32 v1, v58, v1
	ds_write_b32 v59, v1 offset:32
.LBB47_20:                              ;   in Loop: Header=BB47_4 Depth=2
	s_or_b64 exec, exec, s[28:29]
	; wave barrier
	s_waitcnt lgkmcnt(0)
	s_barrier
	ds_read2_b64 v[1:4], v23 offset0:4 offset1:5
	s_waitcnt lgkmcnt(0)
	v_add_u32_e32 v60, v2, v1
	v_add3_u32 v4, v60, v3, v4
	s_nop 1
	v_mov_b32_dpp v60, v4 row_shr:1 row_mask:0xf bank_mask:0xf
	v_cndmask_b32_e64 v60, v60, 0, s[10:11]
	v_add_u32_e32 v4, v60, v4
	s_nop 1
	v_mov_b32_dpp v60, v4 row_shr:2 row_mask:0xf bank_mask:0xf
	v_cndmask_b32_e64 v60, 0, v60, s[12:13]
	v_add_u32_e32 v4, v4, v60
	;; [unrolled: 4-line block ×4, first 2 shown]
	s_nop 1
	v_mov_b32_dpp v60, v4 row_bcast:15 row_mask:0xf bank_mask:0xf
	v_cndmask_b32_e64 v60, v60, 0, s[18:19]
	v_add_u32_e32 v4, v4, v60
	s_nop 1
	v_mov_b32_dpp v60, v4 row_bcast:31 row_mask:0xf bank_mask:0xf
	v_cndmask_b32_e64 v60, 0, v60, s[6:7]
	v_add_u32_e32 v4, v4, v60
	s_and_saveexec_b64 s[28:29], s[20:21]
; %bb.21:                               ;   in Loop: Header=BB47_4 Depth=2
	ds_write_b32 v25, v4
; %bb.22:                               ;   in Loop: Header=BB47_4 Depth=2
	s_or_b64 exec, exec, s[28:29]
	s_waitcnt lgkmcnt(0)
	s_barrier
	s_and_saveexec_b64 s[28:29], s[0:1]
	s_cbranch_execz .LBB47_24
; %bb.23:                               ;   in Loop: Header=BB47_4 Depth=2
	ds_read_b32 v60, v26
	s_waitcnt lgkmcnt(0)
	s_nop 0
	v_mov_b32_dpp v61, v60 row_shr:1 row_mask:0xf bank_mask:0xf
	v_cndmask_b32_e64 v61, v61, 0, s[22:23]
	v_add_u32_e32 v60, v61, v60
	s_nop 1
	v_mov_b32_dpp v61, v60 row_shr:2 row_mask:0xf bank_mask:0xf
	v_cndmask_b32_e64 v61, 0, v61, s[24:25]
	v_add_u32_e32 v60, v60, v61
	;; [unrolled: 4-line block ×3, first 2 shown]
	ds_write_b32 v26, v60
.LBB47_24:                              ;   in Loop: Header=BB47_4 Depth=2
	s_or_b64 exec, exec, s[28:29]
	v_mov_b32_e32 v60, 0
	s_waitcnt lgkmcnt(0)
	s_barrier
	s_and_saveexec_b64 s[28:29], s[2:3]
; %bb.25:                               ;   in Loop: Header=BB47_4 Depth=2
	ds_read_b32 v60, v28
; %bb.26:                               ;   in Loop: Header=BB47_4 Depth=2
	s_or_b64 exec, exec, s[28:29]
	s_waitcnt lgkmcnt(0)
	v_add_u32_e32 v4, v60, v4
	ds_bpermute_b32 v4, v29, v4
	v_cmp_lt_u32_e32 vcc, 23, v39
	s_and_b64 vcc, exec, vcc
	s_mov_b64 s[28:29], -1
	s_waitcnt lgkmcnt(0)
	v_cndmask_b32_e64 v4, v4, v60, s[8:9]
	v_cndmask_b32_e64 v60, v4, 0, s[4:5]
	v_add_u32_e32 v61, v60, v1
	v_add_u32_e32 v1, v61, v2
	;; [unrolled: 1-line block ×3, first 2 shown]
	ds_write2_b64 v23, v[60:61], v[1:2] offset0:4 offset1:5
	s_waitcnt lgkmcnt(0)
	s_barrier
	ds_read_b32 v1, v6 offset:32
	ds_read_b32 v2, v8 offset:32
	;; [unrolled: 1-line block ×8, first 2 shown]
	s_waitcnt lgkmcnt(7)
	v_add_u32_e32 v61, v1, v5
	s_waitcnt lgkmcnt(6)
	v_add3_u32 v60, v15, v7, v2
	s_waitcnt lgkmcnt(5)
	v_add3_u32 v59, v18, v16, v3
	;; [unrolled: 2-line block ×7, first 2 shown]
                                        ; implicit-def: $vgpr22
                                        ; implicit-def: $vgpr20
                                        ; implicit-def: $vgpr18
                                        ; implicit-def: $vgpr16
                                        ; implicit-def: $vgpr8
                                        ; implicit-def: $vgpr6
                                        ; implicit-def: $vgpr4
                                        ; implicit-def: $vgpr2
	s_cbranch_vccnz .LBB47_3
; %bb.27:                               ;   in Loop: Header=BB47_4 Depth=2
	v_lshlrev_b32_e32 v1, 2, v61
	v_lshlrev_b32_e32 v2, 2, v60
	;; [unrolled: 1-line block ×8, first 2 shown]
	s_barrier
	ds_write_b32 v1, v49
	ds_write_b32 v2, v48
	;; [unrolled: 1-line block ×8, first 2 shown]
	s_waitcnt lgkmcnt(0)
	s_barrier
	ds_read2st64_b32 v[15:16], v27 offset1:1
	ds_read2st64_b32 v[17:18], v27 offset0:2 offset1:3
	ds_read2st64_b32 v[19:20], v27 offset0:4 offset1:5
	ds_read2st64_b32 v[21:22], v27 offset0:6 offset1:7
	s_waitcnt lgkmcnt(0)
	s_barrier
	ds_write_b32 v1, v43
	ds_write_b32 v2, v42
	;; [unrolled: 1-line block ×8, first 2 shown]
	s_waitcnt lgkmcnt(0)
	s_barrier
	ds_read2st64_b32 v[1:2], v27 offset1:1
	ds_read2st64_b32 v[3:4], v27 offset0:2 offset1:3
	ds_read2st64_b32 v[5:6], v27 offset0:4 offset1:5
	;; [unrolled: 1-line block ×3, first 2 shown]
	v_add_u32_e32 v39, 8, v39
	s_mov_b64 s[28:29], 0
	s_waitcnt lgkmcnt(0)
	s_barrier
	s_branch .LBB47_3
.LBB47_28:
	s_add_u32 s0, s30, s34
	s_addc_u32 s1, s31, s35
	v_lshlrev_b32_e32 v0, 2, v0
	s_waitcnt lgkmcnt(1)
	v_add_u32_e32 v5, v10, v5
	s_waitcnt lgkmcnt(0)
	v_add_u32_e32 v9, v18, v1
	v_mov_b32_e32 v1, s1
	v_add_co_u32_e32 v10, vcc, s0, v0
	v_add_u32_e32 v6, v15, v6
	v_addc_co_u32_e32 v11, vcc, 0, v1, vcc
	global_store_dword v0, v5, s[0:1]
	global_store_dword v0, v6, s[0:1] offset:2048
	s_movk_i32 s0, 0x1000
	v_add_co_u32_e32 v0, vcc, s0, v10
	v_add_u32_e32 v7, v16, v7
	v_addc_co_u32_e32 v1, vcc, 0, v11, vcc
	v_add_u32_e32 v8, v17, v8
	global_store_dword v[0:1], v7, off
	global_store_dword v[0:1], v8, off offset:2048
	v_add_co_u32_e32 v0, vcc, 0x2000, v10
	v_addc_co_u32_e32 v1, vcc, 0, v11, vcc
	v_add_u32_e32 v2, v19, v2
	global_store_dword v[0:1], v9, off
	global_store_dword v[0:1], v2, off offset:2048
	v_add_co_u32_e32 v0, vcc, 0x3000, v10
	v_add_u32_e32 v3, v20, v3
	v_addc_co_u32_e32 v1, vcc, 0, v11, vcc
	v_add_u32_e32 v4, v21, v4
	global_store_dword v[0:1], v3, off
	global_store_dword v[0:1], v4, off offset:2048
	s_endpgm
	.section	.rodata,"a",@progbits
	.p2align	6, 0x0
	.amdhsa_kernel _Z17sort_pairs_kernelI22helper_blocked_blockediLj512ELj8ELj10EEvPKT0_PS1_
		.amdhsa_group_segment_fixed_size 16384
		.amdhsa_private_segment_fixed_size 0
		.amdhsa_kernarg_size 272
		.amdhsa_user_sgpr_count 6
		.amdhsa_user_sgpr_private_segment_buffer 1
		.amdhsa_user_sgpr_dispatch_ptr 0
		.amdhsa_user_sgpr_queue_ptr 0
		.amdhsa_user_sgpr_kernarg_segment_ptr 1
		.amdhsa_user_sgpr_dispatch_id 0
		.amdhsa_user_sgpr_flat_scratch_init 0
		.amdhsa_user_sgpr_private_segment_size 0
		.amdhsa_uses_dynamic_stack 0
		.amdhsa_system_sgpr_private_segment_wavefront_offset 0
		.amdhsa_system_sgpr_workgroup_id_x 1
		.amdhsa_system_sgpr_workgroup_id_y 0
		.amdhsa_system_sgpr_workgroup_id_z 0
		.amdhsa_system_sgpr_workgroup_info 0
		.amdhsa_system_vgpr_workitem_id 2
		.amdhsa_next_free_vgpr 62
		.amdhsa_next_free_sgpr 61
		.amdhsa_reserve_vcc 1
		.amdhsa_reserve_flat_scratch 0
		.amdhsa_float_round_mode_32 0
		.amdhsa_float_round_mode_16_64 0
		.amdhsa_float_denorm_mode_32 3
		.amdhsa_float_denorm_mode_16_64 3
		.amdhsa_dx10_clamp 1
		.amdhsa_ieee_mode 1
		.amdhsa_fp16_overflow 0
		.amdhsa_exception_fp_ieee_invalid_op 0
		.amdhsa_exception_fp_denorm_src 0
		.amdhsa_exception_fp_ieee_div_zero 0
		.amdhsa_exception_fp_ieee_overflow 0
		.amdhsa_exception_fp_ieee_underflow 0
		.amdhsa_exception_fp_ieee_inexact 0
		.amdhsa_exception_int_div_zero 0
	.end_amdhsa_kernel
	.section	.text._Z17sort_pairs_kernelI22helper_blocked_blockediLj512ELj8ELj10EEvPKT0_PS1_,"axG",@progbits,_Z17sort_pairs_kernelI22helper_blocked_blockediLj512ELj8ELj10EEvPKT0_PS1_,comdat
.Lfunc_end47:
	.size	_Z17sort_pairs_kernelI22helper_blocked_blockediLj512ELj8ELj10EEvPKT0_PS1_, .Lfunc_end47-_Z17sort_pairs_kernelI22helper_blocked_blockediLj512ELj8ELj10EEvPKT0_PS1_
                                        ; -- End function
	.set _Z17sort_pairs_kernelI22helper_blocked_blockediLj512ELj8ELj10EEvPKT0_PS1_.num_vgpr, 62
	.set _Z17sort_pairs_kernelI22helper_blocked_blockediLj512ELj8ELj10EEvPKT0_PS1_.num_agpr, 0
	.set _Z17sort_pairs_kernelI22helper_blocked_blockediLj512ELj8ELj10EEvPKT0_PS1_.numbered_sgpr, 40
	.set _Z17sort_pairs_kernelI22helper_blocked_blockediLj512ELj8ELj10EEvPKT0_PS1_.num_named_barrier, 0
	.set _Z17sort_pairs_kernelI22helper_blocked_blockediLj512ELj8ELj10EEvPKT0_PS1_.private_seg_size, 0
	.set _Z17sort_pairs_kernelI22helper_blocked_blockediLj512ELj8ELj10EEvPKT0_PS1_.uses_vcc, 1
	.set _Z17sort_pairs_kernelI22helper_blocked_blockediLj512ELj8ELj10EEvPKT0_PS1_.uses_flat_scratch, 0
	.set _Z17sort_pairs_kernelI22helper_blocked_blockediLj512ELj8ELj10EEvPKT0_PS1_.has_dyn_sized_stack, 0
	.set _Z17sort_pairs_kernelI22helper_blocked_blockediLj512ELj8ELj10EEvPKT0_PS1_.has_recursion, 0
	.set _Z17sort_pairs_kernelI22helper_blocked_blockediLj512ELj8ELj10EEvPKT0_PS1_.has_indirect_call, 0
	.section	.AMDGPU.csdata,"",@progbits
; Kernel info:
; codeLenInByte = 4964
; TotalNumSgprs: 44
; NumVgprs: 62
; ScratchSize: 0
; MemoryBound: 0
; FloatMode: 240
; IeeeMode: 1
; LDSByteSize: 16384 bytes/workgroup (compile time only)
; SGPRBlocks: 8
; VGPRBlocks: 15
; NumSGPRsForWavesPerEU: 65
; NumVGPRsForWavesPerEU: 62
; Occupancy: 4
; WaveLimiterHint : 1
; COMPUTE_PGM_RSRC2:SCRATCH_EN: 0
; COMPUTE_PGM_RSRC2:USER_SGPR: 6
; COMPUTE_PGM_RSRC2:TRAP_HANDLER: 0
; COMPUTE_PGM_RSRC2:TGID_X_EN: 1
; COMPUTE_PGM_RSRC2:TGID_Y_EN: 0
; COMPUTE_PGM_RSRC2:TGID_Z_EN: 0
; COMPUTE_PGM_RSRC2:TIDIG_COMP_CNT: 2
	.section	.text._Z16sort_keys_kernelI22helper_blocked_blockedaLj64ELj1ELj10EEvPKT0_PS1_,"axG",@progbits,_Z16sort_keys_kernelI22helper_blocked_blockedaLj64ELj1ELj10EEvPKT0_PS1_,comdat
	.protected	_Z16sort_keys_kernelI22helper_blocked_blockedaLj64ELj1ELj10EEvPKT0_PS1_ ; -- Begin function _Z16sort_keys_kernelI22helper_blocked_blockedaLj64ELj1ELj10EEvPKT0_PS1_
	.globl	_Z16sort_keys_kernelI22helper_blocked_blockedaLj64ELj1ELj10EEvPKT0_PS1_
	.p2align	8
	.type	_Z16sort_keys_kernelI22helper_blocked_blockedaLj64ELj1ELj10EEvPKT0_PS1_,@function
_Z16sort_keys_kernelI22helper_blocked_blockedaLj64ELj1ELj10EEvPKT0_PS1_: ; @_Z16sort_keys_kernelI22helper_blocked_blockedaLj64ELj1ELj10EEvPKT0_PS1_
; %bb.0:
	s_load_dwordx4 s[16:19], s[4:5], 0x0
	s_load_dword s21, s[4:5], 0x1c
	s_lshl_b32 s20, s6, 6
	v_mbcnt_lo_u32_b32 v5, -1, 0
	v_mbcnt_hi_u32_b32 v5, -1, v5
	s_waitcnt lgkmcnt(0)
	s_add_u32 s0, s16, s20
	s_addc_u32 s1, s17, 0
	global_load_ubyte v4, v0, s[0:1]
	s_lshr_b32 s22, s21, 16
	v_subrev_co_u32_e64 v9, s[14:15], 1, v5
	v_and_b32_e32 v10, 64, v5
	s_and_b32 s21, s21, 0xffff
	v_mad_u32_u24 v1, v2, s22, v1
	v_cmp_lt_i32_e64 s[16:17], v9, v10
	v_mad_u32_u24 v1, v1, s21, v0
	v_cmp_eq_u32_e64 s[12:13], 0, v0
	v_and_b32_e32 v7, 15, v5
	v_and_b32_e32 v8, 16, v5
	v_cmp_lt_u32_e64 s[0:1], 31, v5
	v_cndmask_b32_e64 v5, v9, v5, s[16:17]
	v_lshrrev_b32_e32 v1, 4, v1
	v_mov_b32_e32 v3, 0
	v_lshlrev_b32_e32 v6, 4, v0
	v_cmp_eq_u32_e32 vcc, 63, v0
	v_cmp_eq_u32_e64 s[2:3], 0, v7
	v_cmp_lt_u32_e64 s[4:5], 1, v7
	v_cmp_lt_u32_e64 s[6:7], 3, v7
	;; [unrolled: 1-line block ×3, first 2 shown]
	v_cmp_eq_u32_e64 s[10:11], 0, v8
	v_lshlrev_b32_e32 v7, 2, v5
	s_or_b64 s[16:17], s[12:13], s[14:15]
	v_and_b32_e32 v8, 0xffffffc, v1
	s_mov_b32 s21, 10
	s_waitcnt vmcnt(0)
	v_xor_b32_e32 v9, 0xffffff80, v4
	s_branch .LBB48_2
.LBB48_1:                               ;   in Loop: Header=BB48_2 Depth=1
	s_or_b64 exec, exec, s[12:13]
	ds_bpermute_b32 v2, v7, v2
	s_waitcnt lgkmcnt(0)
	; wave barrier
	s_add_i32 s21, s21, -1
	s_cmp_eq_u32 s21, 0
	v_cndmask_b32_e64 v2, v2, 0, s[16:17]
	v_add_u32_e32 v4, v2, v4
	v_add_u32_e32 v5, v4, v5
	;; [unrolled: 1-line block ×3, first 2 shown]
	ds_write2_b32 v6, v2, v4 offset0:1 offset1:2
	ds_write2_b32 v6, v5, v1 offset0:3 offset1:4
	s_waitcnt lgkmcnt(0)
	; wave barrier
	ds_read_b32 v1, v10 offset:4
	s_waitcnt lgkmcnt(0)
	; wave barrier
	v_add_u32_e32 v1, v1, v11
	ds_write_b8 v1, v9
	s_waitcnt lgkmcnt(0)
	; wave barrier
	ds_read_u8 v9, v0
	s_cbranch_scc1 .LBB48_6
.LBB48_2:                               ; =>This Inner Loop Header: Depth=1
	s_waitcnt lgkmcnt(0)
	v_and_b32_e32 v1, 0xff, v9
	v_lshl_add_u32 v10, v1, 2, v8
	v_and_b32_e32 v1, 1, v9
	v_add_co_u32_e64 v2, s[12:13], -1, v1
	v_addc_co_u32_e64 v4, s[12:13], 0, -1, s[12:13]
	v_cmp_ne_u32_e64 s[12:13], 0, v1
	v_xor_b32_e32 v1, s13, v4
	v_lshlrev_b32_e32 v4, 30, v9
	v_xor_b32_e32 v2, s12, v2
	v_cmp_gt_i64_e64 s[12:13], 0, v[3:4]
	v_not_b32_e32 v4, v4
	v_ashrrev_i32_e32 v4, 31, v4
	v_and_b32_e32 v2, exec_lo, v2
	v_xor_b32_e32 v5, s13, v4
	v_xor_b32_e32 v4, s12, v4
	v_and_b32_e32 v2, v2, v4
	v_lshlrev_b32_e32 v4, 29, v9
	v_cmp_gt_i64_e64 s[12:13], 0, v[3:4]
	v_not_b32_e32 v4, v4
	v_and_b32_e32 v1, exec_hi, v1
	v_ashrrev_i32_e32 v4, 31, v4
	v_and_b32_e32 v1, v1, v5
	v_xor_b32_e32 v5, s13, v4
	v_xor_b32_e32 v4, s12, v4
	v_and_b32_e32 v2, v2, v4
	v_lshlrev_b32_e32 v4, 28, v9
	v_cmp_gt_i64_e64 s[12:13], 0, v[3:4]
	v_not_b32_e32 v4, v4
	v_ashrrev_i32_e32 v4, 31, v4
	v_and_b32_e32 v1, v1, v5
	v_xor_b32_e32 v5, s13, v4
	v_xor_b32_e32 v4, s12, v4
	v_and_b32_e32 v2, v2, v4
	v_lshlrev_b32_e32 v4, 27, v9
	v_cmp_gt_i64_e64 s[12:13], 0, v[3:4]
	v_not_b32_e32 v4, v4
	;; [unrolled: 8-line block ×4, first 2 shown]
	v_ashrrev_i32_e32 v4, 31, v4
	v_and_b32_e32 v1, v1, v5
	v_xor_b32_e32 v5, s13, v4
	v_xor_b32_e32 v4, s12, v4
	v_and_b32_e32 v1, v1, v5
	v_and_b32_e32 v5, v2, v4
	v_lshlrev_b32_e32 v4, 24, v9
	v_cmp_gt_i64_e64 s[12:13], 0, v[3:4]
	v_not_b32_e32 v2, v4
	v_ashrrev_i32_e32 v2, 31, v2
	v_xor_b32_e32 v4, s13, v2
	v_xor_b32_e32 v11, s12, v2
	v_and_b32_e32 v2, v1, v4
	v_and_b32_e32 v1, v5, v11
	v_mbcnt_lo_u32_b32 v4, v1, 0
	v_mbcnt_hi_u32_b32 v11, v2, v4
	v_cmp_ne_u64_e64 s[12:13], 0, v[1:2]
	v_cmp_eq_u32_e64 s[14:15], 0, v11
	s_and_b64 s[14:15], s[12:13], s[14:15]
	ds_write2_b32 v6, v3, v3 offset0:1 offset1:2
	ds_write2_b32 v6, v3, v3 offset0:3 offset1:4
	s_waitcnt lgkmcnt(0)
	; wave barrier
	; wave barrier
	s_and_saveexec_b64 s[12:13], s[14:15]
; %bb.3:                                ;   in Loop: Header=BB48_2 Depth=1
	v_bcnt_u32_b32 v1, v1, 0
	v_bcnt_u32_b32 v1, v2, v1
	ds_write_b32 v10, v1 offset:4
; %bb.4:                                ;   in Loop: Header=BB48_2 Depth=1
	s_or_b64 exec, exec, s[12:13]
	; wave barrier
	s_waitcnt lgkmcnt(0)
	; wave barrier
	ds_read2_b32 v[4:5], v6 offset0:1 offset1:2
	ds_read2_b32 v[1:2], v6 offset0:3 offset1:4
	s_waitcnt lgkmcnt(1)
	v_add_u32_e32 v12, v5, v4
	s_waitcnt lgkmcnt(0)
	v_add3_u32 v2, v12, v1, v2
	s_nop 1
	v_mov_b32_dpp v12, v2 row_shr:1 row_mask:0xf bank_mask:0xf
	v_cndmask_b32_e64 v12, v12, 0, s[2:3]
	v_add_u32_e32 v2, v12, v2
	s_nop 1
	v_mov_b32_dpp v12, v2 row_shr:2 row_mask:0xf bank_mask:0xf
	v_cndmask_b32_e64 v12, 0, v12, s[4:5]
	v_add_u32_e32 v2, v2, v12
	;; [unrolled: 4-line block ×4, first 2 shown]
	s_nop 1
	v_mov_b32_dpp v12, v2 row_bcast:15 row_mask:0xf bank_mask:0xf
	v_cndmask_b32_e64 v12, v12, 0, s[10:11]
	v_add_u32_e32 v2, v2, v12
	s_nop 1
	v_mov_b32_dpp v12, v2 row_bcast:31 row_mask:0xf bank_mask:0xf
	v_cndmask_b32_e64 v12, 0, v12, s[0:1]
	v_add_u32_e32 v2, v2, v12
	s_and_saveexec_b64 s[12:13], vcc
	s_cbranch_execz .LBB48_1
; %bb.5:                                ;   in Loop: Header=BB48_2 Depth=1
	ds_write_b32 v3, v2
	s_branch .LBB48_1
.LBB48_6:
	s_add_u32 s0, s18, s20
	s_addc_u32 s1, s19, 0
	v_mov_b32_e32 v1, s1
	v_add_co_u32_e32 v0, vcc, s0, v0
	s_waitcnt lgkmcnt(0)
	v_xor_b32_e32 v2, 0x80, v9
	v_addc_co_u32_e32 v1, vcc, 0, v1, vcc
	global_store_byte v[0:1], v2, off
	s_endpgm
	.section	.rodata,"a",@progbits
	.p2align	6, 0x0
	.amdhsa_kernel _Z16sort_keys_kernelI22helper_blocked_blockedaLj64ELj1ELj10EEvPKT0_PS1_
		.amdhsa_group_segment_fixed_size 1040
		.amdhsa_private_segment_fixed_size 0
		.amdhsa_kernarg_size 272
		.amdhsa_user_sgpr_count 6
		.amdhsa_user_sgpr_private_segment_buffer 1
		.amdhsa_user_sgpr_dispatch_ptr 0
		.amdhsa_user_sgpr_queue_ptr 0
		.amdhsa_user_sgpr_kernarg_segment_ptr 1
		.amdhsa_user_sgpr_dispatch_id 0
		.amdhsa_user_sgpr_flat_scratch_init 0
		.amdhsa_user_sgpr_private_segment_size 0
		.amdhsa_uses_dynamic_stack 0
		.amdhsa_system_sgpr_private_segment_wavefront_offset 0
		.amdhsa_system_sgpr_workgroup_id_x 1
		.amdhsa_system_sgpr_workgroup_id_y 0
		.amdhsa_system_sgpr_workgroup_id_z 0
		.amdhsa_system_sgpr_workgroup_info 0
		.amdhsa_system_vgpr_workitem_id 2
		.amdhsa_next_free_vgpr 13
		.amdhsa_next_free_sgpr 23
		.amdhsa_reserve_vcc 1
		.amdhsa_reserve_flat_scratch 0
		.amdhsa_float_round_mode_32 0
		.amdhsa_float_round_mode_16_64 0
		.amdhsa_float_denorm_mode_32 3
		.amdhsa_float_denorm_mode_16_64 3
		.amdhsa_dx10_clamp 1
		.amdhsa_ieee_mode 1
		.amdhsa_fp16_overflow 0
		.amdhsa_exception_fp_ieee_invalid_op 0
		.amdhsa_exception_fp_denorm_src 0
		.amdhsa_exception_fp_ieee_div_zero 0
		.amdhsa_exception_fp_ieee_overflow 0
		.amdhsa_exception_fp_ieee_underflow 0
		.amdhsa_exception_fp_ieee_inexact 0
		.amdhsa_exception_int_div_zero 0
	.end_amdhsa_kernel
	.section	.text._Z16sort_keys_kernelI22helper_blocked_blockedaLj64ELj1ELj10EEvPKT0_PS1_,"axG",@progbits,_Z16sort_keys_kernelI22helper_blocked_blockedaLj64ELj1ELj10EEvPKT0_PS1_,comdat
.Lfunc_end48:
	.size	_Z16sort_keys_kernelI22helper_blocked_blockedaLj64ELj1ELj10EEvPKT0_PS1_, .Lfunc_end48-_Z16sort_keys_kernelI22helper_blocked_blockedaLj64ELj1ELj10EEvPKT0_PS1_
                                        ; -- End function
	.set _Z16sort_keys_kernelI22helper_blocked_blockedaLj64ELj1ELj10EEvPKT0_PS1_.num_vgpr, 13
	.set _Z16sort_keys_kernelI22helper_blocked_blockedaLj64ELj1ELj10EEvPKT0_PS1_.num_agpr, 0
	.set _Z16sort_keys_kernelI22helper_blocked_blockedaLj64ELj1ELj10EEvPKT0_PS1_.numbered_sgpr, 23
	.set _Z16sort_keys_kernelI22helper_blocked_blockedaLj64ELj1ELj10EEvPKT0_PS1_.num_named_barrier, 0
	.set _Z16sort_keys_kernelI22helper_blocked_blockedaLj64ELj1ELj10EEvPKT0_PS1_.private_seg_size, 0
	.set _Z16sort_keys_kernelI22helper_blocked_blockedaLj64ELj1ELj10EEvPKT0_PS1_.uses_vcc, 1
	.set _Z16sort_keys_kernelI22helper_blocked_blockedaLj64ELj1ELj10EEvPKT0_PS1_.uses_flat_scratch, 0
	.set _Z16sort_keys_kernelI22helper_blocked_blockedaLj64ELj1ELj10EEvPKT0_PS1_.has_dyn_sized_stack, 0
	.set _Z16sort_keys_kernelI22helper_blocked_blockedaLj64ELj1ELj10EEvPKT0_PS1_.has_recursion, 0
	.set _Z16sort_keys_kernelI22helper_blocked_blockedaLj64ELj1ELj10EEvPKT0_PS1_.has_indirect_call, 0
	.section	.AMDGPU.csdata,"",@progbits
; Kernel info:
; codeLenInByte = 984
; TotalNumSgprs: 27
; NumVgprs: 13
; ScratchSize: 0
; MemoryBound: 0
; FloatMode: 240
; IeeeMode: 1
; LDSByteSize: 1040 bytes/workgroup (compile time only)
; SGPRBlocks: 3
; VGPRBlocks: 3
; NumSGPRsForWavesPerEU: 27
; NumVGPRsForWavesPerEU: 13
; Occupancy: 10
; WaveLimiterHint : 0
; COMPUTE_PGM_RSRC2:SCRATCH_EN: 0
; COMPUTE_PGM_RSRC2:USER_SGPR: 6
; COMPUTE_PGM_RSRC2:TRAP_HANDLER: 0
; COMPUTE_PGM_RSRC2:TGID_X_EN: 1
; COMPUTE_PGM_RSRC2:TGID_Y_EN: 0
; COMPUTE_PGM_RSRC2:TGID_Z_EN: 0
; COMPUTE_PGM_RSRC2:TIDIG_COMP_CNT: 2
	.section	.text._Z17sort_pairs_kernelI22helper_blocked_blockedaLj64ELj1ELj10EEvPKT0_PS1_,"axG",@progbits,_Z17sort_pairs_kernelI22helper_blocked_blockedaLj64ELj1ELj10EEvPKT0_PS1_,comdat
	.protected	_Z17sort_pairs_kernelI22helper_blocked_blockedaLj64ELj1ELj10EEvPKT0_PS1_ ; -- Begin function _Z17sort_pairs_kernelI22helper_blocked_blockedaLj64ELj1ELj10EEvPKT0_PS1_
	.globl	_Z17sort_pairs_kernelI22helper_blocked_blockedaLj64ELj1ELj10EEvPKT0_PS1_
	.p2align	8
	.type	_Z17sort_pairs_kernelI22helper_blocked_blockedaLj64ELj1ELj10EEvPKT0_PS1_,@function
_Z17sort_pairs_kernelI22helper_blocked_blockedaLj64ELj1ELj10EEvPKT0_PS1_: ; @_Z17sort_pairs_kernelI22helper_blocked_blockedaLj64ELj1ELj10EEvPKT0_PS1_
; %bb.0:
	s_load_dwordx4 s[16:19], s[4:5], 0x0
	s_load_dword s21, s[4:5], 0x1c
	s_lshl_b32 s20, s6, 6
	v_mbcnt_lo_u32_b32 v5, -1, 0
	v_mbcnt_hi_u32_b32 v5, -1, v5
	s_waitcnt lgkmcnt(0)
	s_add_u32 s0, s16, s20
	s_addc_u32 s1, s17, 0
	global_load_ubyte v4, v0, s[0:1]
	s_lshr_b32 s22, s21, 16
	v_subrev_co_u32_e64 v9, s[14:15], 1, v5
	v_and_b32_e32 v10, 64, v5
	s_and_b32 s21, s21, 0xffff
	v_mad_u32_u24 v1, v2, s22, v1
	v_cmp_lt_i32_e64 s[16:17], v9, v10
	v_mad_u32_u24 v1, v1, s21, v0
	v_cmp_eq_u32_e64 s[12:13], 0, v0
	v_and_b32_e32 v7, 15, v5
	v_and_b32_e32 v8, 16, v5
	v_cmp_lt_u32_e64 s[0:1], 31, v5
	v_cndmask_b32_e64 v5, v9, v5, s[16:17]
	v_lshrrev_b32_e32 v1, 4, v1
	v_mov_b32_e32 v3, 0
	v_lshlrev_b32_e32 v6, 4, v0
	v_cmp_eq_u32_e32 vcc, 63, v0
	v_cmp_eq_u32_e64 s[2:3], 0, v7
	v_cmp_lt_u32_e64 s[4:5], 1, v7
	v_cmp_lt_u32_e64 s[6:7], 3, v7
	;; [unrolled: 1-line block ×3, first 2 shown]
	v_cmp_eq_u32_e64 s[10:11], 0, v8
	v_lshlrev_b32_e32 v7, 2, v5
	s_or_b64 s[16:17], s[12:13], s[14:15]
	v_and_b32_e32 v8, 0xffffffc, v1
	s_mov_b32 s21, 10
	s_waitcnt vmcnt(0)
	v_add_u16_e32 v9, 1, v4
	v_xor_b32_e32 v10, 0xffffff80, v4
	s_branch .LBB49_2
.LBB49_1:                               ;   in Loop: Header=BB49_2 Depth=1
	s_or_b64 exec, exec, s[12:13]
	ds_bpermute_b32 v2, v7, v2
	s_waitcnt lgkmcnt(0)
	; wave barrier
	s_add_i32 s21, s21, -1
	s_cmp_eq_u32 s21, 0
	v_cndmask_b32_e64 v2, v2, 0, s[16:17]
	v_add_u32_e32 v4, v2, v4
	v_add_u32_e32 v5, v4, v5
	;; [unrolled: 1-line block ×3, first 2 shown]
	ds_write2_b32 v6, v2, v4 offset0:1 offset1:2
	ds_write2_b32 v6, v5, v1 offset0:3 offset1:4
	s_waitcnt lgkmcnt(0)
	; wave barrier
	ds_read_b32 v1, v11 offset:4
	s_waitcnt lgkmcnt(0)
	; wave barrier
	v_add_u32_e32 v1, v1, v12
	ds_write_b8 v1, v10
	s_waitcnt lgkmcnt(0)
	; wave barrier
	ds_read_u8 v10, v0
	s_waitcnt lgkmcnt(0)
	; wave barrier
	ds_write_b8 v1, v9
	s_waitcnt lgkmcnt(0)
	; wave barrier
	ds_read_u8 v9, v0
	s_cbranch_scc1 .LBB49_6
.LBB49_2:                               ; =>This Inner Loop Header: Depth=1
	v_and_b32_e32 v1, 0xff, v10
	v_lshl_add_u32 v11, v1, 2, v8
	v_and_b32_e32 v1, 1, v10
	v_add_co_u32_e64 v2, s[12:13], -1, v1
	v_addc_co_u32_e64 v4, s[12:13], 0, -1, s[12:13]
	v_cmp_ne_u32_e64 s[12:13], 0, v1
	v_xor_b32_e32 v1, s13, v4
	v_lshlrev_b32_e32 v4, 30, v10
	v_xor_b32_e32 v2, s12, v2
	v_cmp_gt_i64_e64 s[12:13], 0, v[3:4]
	v_not_b32_e32 v4, v4
	v_ashrrev_i32_e32 v4, 31, v4
	v_and_b32_e32 v2, exec_lo, v2
	v_xor_b32_e32 v5, s13, v4
	v_xor_b32_e32 v4, s12, v4
	v_and_b32_e32 v2, v2, v4
	v_lshlrev_b32_e32 v4, 29, v10
	v_cmp_gt_i64_e64 s[12:13], 0, v[3:4]
	v_not_b32_e32 v4, v4
	v_and_b32_e32 v1, exec_hi, v1
	v_ashrrev_i32_e32 v4, 31, v4
	v_and_b32_e32 v1, v1, v5
	v_xor_b32_e32 v5, s13, v4
	v_xor_b32_e32 v4, s12, v4
	v_and_b32_e32 v2, v2, v4
	v_lshlrev_b32_e32 v4, 28, v10
	v_cmp_gt_i64_e64 s[12:13], 0, v[3:4]
	v_not_b32_e32 v4, v4
	v_ashrrev_i32_e32 v4, 31, v4
	v_and_b32_e32 v1, v1, v5
	v_xor_b32_e32 v5, s13, v4
	v_xor_b32_e32 v4, s12, v4
	v_and_b32_e32 v2, v2, v4
	v_lshlrev_b32_e32 v4, 27, v10
	v_cmp_gt_i64_e64 s[12:13], 0, v[3:4]
	v_not_b32_e32 v4, v4
	;; [unrolled: 8-line block ×4, first 2 shown]
	v_ashrrev_i32_e32 v4, 31, v4
	v_and_b32_e32 v1, v1, v5
	v_xor_b32_e32 v5, s13, v4
	v_xor_b32_e32 v4, s12, v4
	v_and_b32_e32 v1, v1, v5
	v_and_b32_e32 v5, v2, v4
	v_lshlrev_b32_e32 v4, 24, v10
	v_cmp_gt_i64_e64 s[12:13], 0, v[3:4]
	v_not_b32_e32 v2, v4
	v_ashrrev_i32_e32 v2, 31, v2
	v_xor_b32_e32 v4, s13, v2
	v_xor_b32_e32 v12, s12, v2
	v_and_b32_e32 v2, v1, v4
	v_and_b32_e32 v1, v5, v12
	v_mbcnt_lo_u32_b32 v4, v1, 0
	v_mbcnt_hi_u32_b32 v12, v2, v4
	v_cmp_ne_u64_e64 s[12:13], 0, v[1:2]
	v_cmp_eq_u32_e64 s[14:15], 0, v12
	s_and_b64 s[14:15], s[12:13], s[14:15]
	ds_write2_b32 v6, v3, v3 offset0:1 offset1:2
	ds_write2_b32 v6, v3, v3 offset0:3 offset1:4
	s_waitcnt lgkmcnt(0)
	; wave barrier
	; wave barrier
	s_and_saveexec_b64 s[12:13], s[14:15]
; %bb.3:                                ;   in Loop: Header=BB49_2 Depth=1
	v_bcnt_u32_b32 v1, v1, 0
	v_bcnt_u32_b32 v1, v2, v1
	ds_write_b32 v11, v1 offset:4
; %bb.4:                                ;   in Loop: Header=BB49_2 Depth=1
	s_or_b64 exec, exec, s[12:13]
	; wave barrier
	s_waitcnt lgkmcnt(0)
	; wave barrier
	ds_read2_b32 v[4:5], v6 offset0:1 offset1:2
	ds_read2_b32 v[1:2], v6 offset0:3 offset1:4
	s_waitcnt lgkmcnt(1)
	v_add_u32_e32 v13, v5, v4
	s_waitcnt lgkmcnt(0)
	v_add3_u32 v2, v13, v1, v2
	s_nop 1
	v_mov_b32_dpp v13, v2 row_shr:1 row_mask:0xf bank_mask:0xf
	v_cndmask_b32_e64 v13, v13, 0, s[2:3]
	v_add_u32_e32 v2, v13, v2
	s_nop 1
	v_mov_b32_dpp v13, v2 row_shr:2 row_mask:0xf bank_mask:0xf
	v_cndmask_b32_e64 v13, 0, v13, s[4:5]
	v_add_u32_e32 v2, v2, v13
	;; [unrolled: 4-line block ×4, first 2 shown]
	s_nop 1
	v_mov_b32_dpp v13, v2 row_bcast:15 row_mask:0xf bank_mask:0xf
	v_cndmask_b32_e64 v13, v13, 0, s[10:11]
	v_add_u32_e32 v2, v2, v13
	s_nop 1
	v_mov_b32_dpp v13, v2 row_bcast:31 row_mask:0xf bank_mask:0xf
	v_cndmask_b32_e64 v13, 0, v13, s[0:1]
	v_add_u32_e32 v2, v2, v13
	s_and_saveexec_b64 s[12:13], vcc
	s_cbranch_execz .LBB49_1
; %bb.5:                                ;   in Loop: Header=BB49_2 Depth=1
	ds_write_b32 v3, v2
	s_branch .LBB49_1
.LBB49_6:
	s_add_u32 s0, s18, s20
	s_waitcnt lgkmcnt(0)
	v_add_u16_e32 v1, v9, v10
	s_addc_u32 s1, s19, 0
	v_add_u16_e32 v2, 0xff80, v1
	v_mov_b32_e32 v1, s1
	v_add_co_u32_e32 v0, vcc, s0, v0
	v_addc_co_u32_e32 v1, vcc, 0, v1, vcc
	global_store_byte v[0:1], v2, off
	s_endpgm
	.section	.rodata,"a",@progbits
	.p2align	6, 0x0
	.amdhsa_kernel _Z17sort_pairs_kernelI22helper_blocked_blockedaLj64ELj1ELj10EEvPKT0_PS1_
		.amdhsa_group_segment_fixed_size 1040
		.amdhsa_private_segment_fixed_size 0
		.amdhsa_kernarg_size 272
		.amdhsa_user_sgpr_count 6
		.amdhsa_user_sgpr_private_segment_buffer 1
		.amdhsa_user_sgpr_dispatch_ptr 0
		.amdhsa_user_sgpr_queue_ptr 0
		.amdhsa_user_sgpr_kernarg_segment_ptr 1
		.amdhsa_user_sgpr_dispatch_id 0
		.amdhsa_user_sgpr_flat_scratch_init 0
		.amdhsa_user_sgpr_private_segment_size 0
		.amdhsa_uses_dynamic_stack 0
		.amdhsa_system_sgpr_private_segment_wavefront_offset 0
		.amdhsa_system_sgpr_workgroup_id_x 1
		.amdhsa_system_sgpr_workgroup_id_y 0
		.amdhsa_system_sgpr_workgroup_id_z 0
		.amdhsa_system_sgpr_workgroup_info 0
		.amdhsa_system_vgpr_workitem_id 2
		.amdhsa_next_free_vgpr 14
		.amdhsa_next_free_sgpr 23
		.amdhsa_reserve_vcc 1
		.amdhsa_reserve_flat_scratch 0
		.amdhsa_float_round_mode_32 0
		.amdhsa_float_round_mode_16_64 0
		.amdhsa_float_denorm_mode_32 3
		.amdhsa_float_denorm_mode_16_64 3
		.amdhsa_dx10_clamp 1
		.amdhsa_ieee_mode 1
		.amdhsa_fp16_overflow 0
		.amdhsa_exception_fp_ieee_invalid_op 0
		.amdhsa_exception_fp_denorm_src 0
		.amdhsa_exception_fp_ieee_div_zero 0
		.amdhsa_exception_fp_ieee_overflow 0
		.amdhsa_exception_fp_ieee_underflow 0
		.amdhsa_exception_fp_ieee_inexact 0
		.amdhsa_exception_int_div_zero 0
	.end_amdhsa_kernel
	.section	.text._Z17sort_pairs_kernelI22helper_blocked_blockedaLj64ELj1ELj10EEvPKT0_PS1_,"axG",@progbits,_Z17sort_pairs_kernelI22helper_blocked_blockedaLj64ELj1ELj10EEvPKT0_PS1_,comdat
.Lfunc_end49:
	.size	_Z17sort_pairs_kernelI22helper_blocked_blockedaLj64ELj1ELj10EEvPKT0_PS1_, .Lfunc_end49-_Z17sort_pairs_kernelI22helper_blocked_blockedaLj64ELj1ELj10EEvPKT0_PS1_
                                        ; -- End function
	.set _Z17sort_pairs_kernelI22helper_blocked_blockedaLj64ELj1ELj10EEvPKT0_PS1_.num_vgpr, 14
	.set _Z17sort_pairs_kernelI22helper_blocked_blockedaLj64ELj1ELj10EEvPKT0_PS1_.num_agpr, 0
	.set _Z17sort_pairs_kernelI22helper_blocked_blockedaLj64ELj1ELj10EEvPKT0_PS1_.numbered_sgpr, 23
	.set _Z17sort_pairs_kernelI22helper_blocked_blockedaLj64ELj1ELj10EEvPKT0_PS1_.num_named_barrier, 0
	.set _Z17sort_pairs_kernelI22helper_blocked_blockedaLj64ELj1ELj10EEvPKT0_PS1_.private_seg_size, 0
	.set _Z17sort_pairs_kernelI22helper_blocked_blockedaLj64ELj1ELj10EEvPKT0_PS1_.uses_vcc, 1
	.set _Z17sort_pairs_kernelI22helper_blocked_blockedaLj64ELj1ELj10EEvPKT0_PS1_.uses_flat_scratch, 0
	.set _Z17sort_pairs_kernelI22helper_blocked_blockedaLj64ELj1ELj10EEvPKT0_PS1_.has_dyn_sized_stack, 0
	.set _Z17sort_pairs_kernelI22helper_blocked_blockedaLj64ELj1ELj10EEvPKT0_PS1_.has_recursion, 0
	.set _Z17sort_pairs_kernelI22helper_blocked_blockedaLj64ELj1ELj10EEvPKT0_PS1_.has_indirect_call, 0
	.section	.AMDGPU.csdata,"",@progbits
; Kernel info:
; codeLenInByte = 1012
; TotalNumSgprs: 27
; NumVgprs: 14
; ScratchSize: 0
; MemoryBound: 0
; FloatMode: 240
; IeeeMode: 1
; LDSByteSize: 1040 bytes/workgroup (compile time only)
; SGPRBlocks: 3
; VGPRBlocks: 3
; NumSGPRsForWavesPerEU: 27
; NumVGPRsForWavesPerEU: 14
; Occupancy: 10
; WaveLimiterHint : 0
; COMPUTE_PGM_RSRC2:SCRATCH_EN: 0
; COMPUTE_PGM_RSRC2:USER_SGPR: 6
; COMPUTE_PGM_RSRC2:TRAP_HANDLER: 0
; COMPUTE_PGM_RSRC2:TGID_X_EN: 1
; COMPUTE_PGM_RSRC2:TGID_Y_EN: 0
; COMPUTE_PGM_RSRC2:TGID_Z_EN: 0
; COMPUTE_PGM_RSRC2:TIDIG_COMP_CNT: 2
	.section	.text._Z16sort_keys_kernelI22helper_blocked_blockedaLj64ELj3ELj10EEvPKT0_PS1_,"axG",@progbits,_Z16sort_keys_kernelI22helper_blocked_blockedaLj64ELj3ELj10EEvPKT0_PS1_,comdat
	.protected	_Z16sort_keys_kernelI22helper_blocked_blockedaLj64ELj3ELj10EEvPKT0_PS1_ ; -- Begin function _Z16sort_keys_kernelI22helper_blocked_blockedaLj64ELj3ELj10EEvPKT0_PS1_
	.globl	_Z16sort_keys_kernelI22helper_blocked_blockedaLj64ELj3ELj10EEvPKT0_PS1_
	.p2align	8
	.type	_Z16sort_keys_kernelI22helper_blocked_blockedaLj64ELj3ELj10EEvPKT0_PS1_,@function
_Z16sort_keys_kernelI22helper_blocked_blockedaLj64ELj3ELj10EEvPKT0_PS1_: ; @_Z16sort_keys_kernelI22helper_blocked_blockedaLj64ELj3ELj10EEvPKT0_PS1_
; %bb.0:
	s_load_dwordx4 s[16:19], s[4:5], 0x0
	s_load_dword s2, s[4:5], 0x1c
	s_mul_i32 s20, s6, 0xc0
	v_mbcnt_lo_u32_b32 v6, -1, 0
	v_mbcnt_hi_u32_b32 v6, -1, v6
	s_waitcnt lgkmcnt(0)
	s_add_u32 s0, s16, s20
	s_addc_u32 s1, s17, 0
	global_load_ubyte v12, v0, s[0:1] offset:128
	global_load_ubyte v5, v0, s[0:1] offset:64
	global_load_ubyte v4, v0, s[0:1]
	s_lshr_b32 s0, s2, 16
	s_and_b32 s1, s2, 0xffff
	v_mad_u32_u24 v1, v2, s0, v1
	v_mad_u32_u24 v1, v1, s1, v0
	v_lshrrev_b32_e32 v1, 4, v1
	v_and_b32_e32 v9, 0xffffffc, v1
	v_and_b32_e32 v1, 15, v6
	v_cmp_eq_u32_e32 vcc, 0, v1
	v_cmp_lt_u32_e64 s[0:1], 1, v1
	v_cmp_lt_u32_e64 s[2:3], 3, v1
	;; [unrolled: 1-line block ×3, first 2 shown]
	v_and_b32_e32 v1, 16, v6
	v_cmp_eq_u32_e64 s[6:7], 0, v1
	v_subrev_co_u32_e64 v1, s[12:13], 1, v6
	v_and_b32_e32 v2, 64, v6
	v_cmp_lt_i32_e64 s[14:15], v1, v2
	v_cndmask_b32_e64 v1, v1, v6, s[14:15]
	v_lshlrev_b32_e32 v8, 4, v0
	v_lshlrev_b32_e32 v10, 2, v1
	v_cmp_eq_u32_e64 s[14:15], 0, v0
	v_mul_i32_i24_e32 v1, -13, v0
	v_mov_b32_e32 v3, 0
	v_mul_u32_u24_e32 v7, 3, v6
	v_cmp_lt_u32_e64 s[8:9], 31, v6
	v_cmp_eq_u32_e64 s[10:11], 63, v0
	s_or_b64 s[16:17], s[14:15], s[12:13]
	s_mov_b32 s21, 10
	v_add_u32_e32 v11, v8, v1
	s_branch .LBB50_2
.LBB50_1:                               ;   in Loop: Header=BB50_2 Depth=1
	s_or_b64 exec, exec, s[12:13]
	ds_bpermute_b32 v2, v10, v2
	s_waitcnt lgkmcnt(0)
	; wave barrier
	s_add_i32 s21, s21, -1
	s_cmp_eq_u32 s21, 0
	v_cndmask_b32_e64 v2, v2, 0, s[16:17]
	v_add_u32_e32 v4, v2, v4
	v_add_u32_e32 v5, v4, v5
	;; [unrolled: 1-line block ×3, first 2 shown]
	ds_write2_b32 v8, v2, v4 offset0:1 offset1:2
	ds_write2_b32 v8, v5, v1 offset0:3 offset1:4
	s_waitcnt lgkmcnt(0)
	; wave barrier
	ds_read_b32 v1, v15 offset:4
	ds_read_b32 v2, v18 offset:4
	ds_read_b32 v4, v21 offset:4
	s_waitcnt lgkmcnt(0)
	; wave barrier
	v_add_u32_e32 v1, v1, v16
	ds_write_b8 v1, v14
	v_add3_u32 v1, v19, v17, v2
	ds_write_b8 v1, v13
	v_add3_u32 v1, v22, v20, v4
	ds_write_b8 v1, v12
	s_waitcnt lgkmcnt(0)
	; wave barrier
	ds_read_u8 v1, v11
	ds_read_u16 v2, v11 offset:1
	s_waitcnt lgkmcnt(1)
	v_xor_b32_e32 v4, 0xffffff80, v1
	s_waitcnt lgkmcnt(0)
	v_and_b32_e32 v1, 0xffffff00, v2
	v_xor_b32_e32 v1, 0xffff8000, v1
	v_xor_b32_e32 v2, 0x80, v2
	v_or_b32_sdwa v5, v2, v1 dst_sel:DWORD dst_unused:UNUSED_PAD src0_sel:BYTE_0 src1_sel:DWORD
	v_lshrrev_b16_e32 v12, 8, v1
	s_cbranch_scc1 .LBB50_10
.LBB50_2:                               ; =>This Inner Loop Header: Depth=1
	s_waitcnt vmcnt(0)
	v_xor_b32_e32 v1, 0x80, v4
	v_xor_b32_e32 v2, 0x80, v5
	;; [unrolled: 1-line block ×3, first 2 shown]
	ds_write_b8 v7, v1
	ds_write_b8 v7, v2 offset:1
	ds_write_b8 v7, v4 offset:2
	; wave barrier
	ds_read_u8 v14, v6
	ds_read_u8 v13, v6 offset:64
	ds_read_u8 v12, v6 offset:128
	; wave barrier
	s_waitcnt lgkmcnt(2)
	v_and_b32_e32 v1, 0xff, v14
	v_lshl_add_u32 v15, v1, 2, v9
	v_and_b32_e32 v1, 1, v14
	v_add_co_u32_e64 v2, s[12:13], -1, v1
	v_addc_co_u32_e64 v4, s[12:13], 0, -1, s[12:13]
	v_cmp_ne_u32_e64 s[12:13], 0, v1
	v_xor_b32_e32 v1, s13, v4
	v_lshlrev_b32_e32 v4, 30, v14
	v_xor_b32_e32 v2, s12, v2
	v_cmp_gt_i64_e64 s[12:13], 0, v[3:4]
	v_not_b32_e32 v4, v4
	v_ashrrev_i32_e32 v4, 31, v4
	v_and_b32_e32 v2, exec_lo, v2
	v_xor_b32_e32 v5, s13, v4
	v_xor_b32_e32 v4, s12, v4
	v_and_b32_e32 v2, v2, v4
	v_lshlrev_b32_e32 v4, 29, v14
	v_cmp_gt_i64_e64 s[12:13], 0, v[3:4]
	v_not_b32_e32 v4, v4
	v_and_b32_e32 v1, exec_hi, v1
	v_ashrrev_i32_e32 v4, 31, v4
	v_and_b32_e32 v1, v1, v5
	v_xor_b32_e32 v5, s13, v4
	v_xor_b32_e32 v4, s12, v4
	v_and_b32_e32 v2, v2, v4
	v_lshlrev_b32_e32 v4, 28, v14
	v_cmp_gt_i64_e64 s[12:13], 0, v[3:4]
	v_not_b32_e32 v4, v4
	v_ashrrev_i32_e32 v4, 31, v4
	v_and_b32_e32 v1, v1, v5
	v_xor_b32_e32 v5, s13, v4
	v_xor_b32_e32 v4, s12, v4
	v_and_b32_e32 v2, v2, v4
	v_lshlrev_b32_e32 v4, 27, v14
	v_cmp_gt_i64_e64 s[12:13], 0, v[3:4]
	v_not_b32_e32 v4, v4
	;; [unrolled: 8-line block ×4, first 2 shown]
	v_ashrrev_i32_e32 v4, 31, v4
	v_and_b32_e32 v1, v1, v5
	v_xor_b32_e32 v5, s13, v4
	v_xor_b32_e32 v4, s12, v4
	v_and_b32_e32 v1, v1, v5
	v_and_b32_e32 v5, v2, v4
	v_lshlrev_b32_e32 v4, 24, v14
	v_cmp_gt_i64_e64 s[12:13], 0, v[3:4]
	v_not_b32_e32 v2, v4
	v_ashrrev_i32_e32 v2, 31, v2
	v_xor_b32_e32 v4, s13, v2
	v_xor_b32_e32 v16, s12, v2
	v_and_b32_e32 v2, v1, v4
	v_and_b32_e32 v1, v5, v16
	v_mbcnt_lo_u32_b32 v4, v1, 0
	v_mbcnt_hi_u32_b32 v16, v2, v4
	v_cmp_ne_u64_e64 s[12:13], 0, v[1:2]
	v_cmp_eq_u32_e64 s[14:15], 0, v16
	s_and_b64 s[14:15], s[12:13], s[14:15]
	; wave barrier
	s_waitcnt lgkmcnt(0)
	; wave barrier
	ds_write2_b32 v8, v3, v3 offset0:1 offset1:2
	ds_write2_b32 v8, v3, v3 offset0:3 offset1:4
	s_waitcnt lgkmcnt(0)
	; wave barrier
	; wave barrier
	s_and_saveexec_b64 s[12:13], s[14:15]
; %bb.3:                                ;   in Loop: Header=BB50_2 Depth=1
	v_bcnt_u32_b32 v1, v1, 0
	v_bcnt_u32_b32 v1, v2, v1
	ds_write_b32 v15, v1 offset:4
; %bb.4:                                ;   in Loop: Header=BB50_2 Depth=1
	s_or_b64 exec, exec, s[12:13]
	v_and_b32_e32 v1, 0xff, v13
	v_lshl_add_u32 v18, v1, 2, v9
	v_and_b32_e32 v1, 1, v13
	v_add_co_u32_e64 v2, s[12:13], -1, v1
	v_addc_co_u32_e64 v4, s[12:13], 0, -1, s[12:13]
	v_cmp_ne_u32_e64 s[12:13], 0, v1
	v_xor_b32_e32 v1, s13, v4
	v_lshlrev_b32_e32 v4, 30, v13
	v_xor_b32_e32 v2, s12, v2
	v_cmp_gt_i64_e64 s[12:13], 0, v[3:4]
	v_not_b32_e32 v4, v4
	v_ashrrev_i32_e32 v4, 31, v4
	v_and_b32_e32 v2, exec_lo, v2
	v_xor_b32_e32 v5, s13, v4
	v_xor_b32_e32 v4, s12, v4
	v_and_b32_e32 v2, v2, v4
	v_lshlrev_b32_e32 v4, 29, v13
	v_cmp_gt_i64_e64 s[12:13], 0, v[3:4]
	v_not_b32_e32 v4, v4
	v_and_b32_e32 v1, exec_hi, v1
	v_ashrrev_i32_e32 v4, 31, v4
	v_and_b32_e32 v1, v1, v5
	v_xor_b32_e32 v5, s13, v4
	v_xor_b32_e32 v4, s12, v4
	v_and_b32_e32 v2, v2, v4
	v_lshlrev_b32_e32 v4, 28, v13
	v_cmp_gt_i64_e64 s[12:13], 0, v[3:4]
	v_not_b32_e32 v4, v4
	v_ashrrev_i32_e32 v4, 31, v4
	v_and_b32_e32 v1, v1, v5
	v_xor_b32_e32 v5, s13, v4
	v_xor_b32_e32 v4, s12, v4
	v_and_b32_e32 v2, v2, v4
	v_lshlrev_b32_e32 v4, 27, v13
	v_cmp_gt_i64_e64 s[12:13], 0, v[3:4]
	v_not_b32_e32 v4, v4
	;; [unrolled: 8-line block ×4, first 2 shown]
	v_ashrrev_i32_e32 v4, 31, v4
	v_and_b32_e32 v1, v1, v5
	v_xor_b32_e32 v5, s13, v4
	v_xor_b32_e32 v4, s12, v4
	v_and_b32_e32 v1, v1, v5
	v_and_b32_e32 v5, v2, v4
	v_lshlrev_b32_e32 v4, 24, v13
	v_cmp_gt_i64_e64 s[12:13], 0, v[3:4]
	v_not_b32_e32 v2, v4
	v_ashrrev_i32_e32 v2, 31, v2
	v_xor_b32_e32 v4, s13, v2
	v_xor_b32_e32 v19, s12, v2
	; wave barrier
	ds_read_b32 v17, v18 offset:4
	v_and_b32_e32 v2, v1, v4
	v_and_b32_e32 v1, v5, v19
	v_mbcnt_lo_u32_b32 v4, v1, 0
	v_mbcnt_hi_u32_b32 v19, v2, v4
	v_cmp_ne_u64_e64 s[12:13], 0, v[1:2]
	v_cmp_eq_u32_e64 s[14:15], 0, v19
	s_and_b64 s[14:15], s[12:13], s[14:15]
	; wave barrier
	s_and_saveexec_b64 s[12:13], s[14:15]
	s_cbranch_execz .LBB50_6
; %bb.5:                                ;   in Loop: Header=BB50_2 Depth=1
	v_bcnt_u32_b32 v1, v1, 0
	v_bcnt_u32_b32 v1, v2, v1
	s_waitcnt lgkmcnt(0)
	v_add_u32_e32 v1, v17, v1
	ds_write_b32 v18, v1 offset:4
.LBB50_6:                               ;   in Loop: Header=BB50_2 Depth=1
	s_or_b64 exec, exec, s[12:13]
	v_and_b32_e32 v1, 0xff, v12
	v_lshl_add_u32 v21, v1, 2, v9
	v_and_b32_e32 v1, 1, v12
	v_add_co_u32_e64 v2, s[12:13], -1, v1
	v_addc_co_u32_e64 v4, s[12:13], 0, -1, s[12:13]
	v_cmp_ne_u32_e64 s[12:13], 0, v1
	v_xor_b32_e32 v1, s13, v4
	v_lshlrev_b32_e32 v4, 30, v12
	v_xor_b32_e32 v2, s12, v2
	v_cmp_gt_i64_e64 s[12:13], 0, v[3:4]
	v_not_b32_e32 v4, v4
	v_ashrrev_i32_e32 v4, 31, v4
	v_and_b32_e32 v2, exec_lo, v2
	v_xor_b32_e32 v5, s13, v4
	v_xor_b32_e32 v4, s12, v4
	v_and_b32_e32 v2, v2, v4
	v_lshlrev_b32_e32 v4, 29, v12
	v_cmp_gt_i64_e64 s[12:13], 0, v[3:4]
	v_not_b32_e32 v4, v4
	v_and_b32_e32 v1, exec_hi, v1
	v_ashrrev_i32_e32 v4, 31, v4
	v_and_b32_e32 v1, v1, v5
	v_xor_b32_e32 v5, s13, v4
	v_xor_b32_e32 v4, s12, v4
	v_and_b32_e32 v2, v2, v4
	v_lshlrev_b32_e32 v4, 28, v12
	v_cmp_gt_i64_e64 s[12:13], 0, v[3:4]
	v_not_b32_e32 v4, v4
	v_ashrrev_i32_e32 v4, 31, v4
	v_and_b32_e32 v1, v1, v5
	v_xor_b32_e32 v5, s13, v4
	v_xor_b32_e32 v4, s12, v4
	v_and_b32_e32 v2, v2, v4
	v_lshlrev_b32_e32 v4, 27, v12
	v_cmp_gt_i64_e64 s[12:13], 0, v[3:4]
	v_not_b32_e32 v4, v4
	;; [unrolled: 8-line block ×4, first 2 shown]
	v_ashrrev_i32_e32 v4, 31, v4
	v_and_b32_e32 v1, v1, v5
	v_xor_b32_e32 v5, s13, v4
	v_xor_b32_e32 v4, s12, v4
	v_and_b32_e32 v1, v1, v5
	v_and_b32_e32 v5, v2, v4
	v_lshlrev_b32_e32 v4, 24, v12
	v_cmp_gt_i64_e64 s[12:13], 0, v[3:4]
	v_not_b32_e32 v2, v4
	v_ashrrev_i32_e32 v2, 31, v2
	v_xor_b32_e32 v4, s13, v2
	v_xor_b32_e32 v22, s12, v2
	; wave barrier
	ds_read_b32 v20, v21 offset:4
	v_and_b32_e32 v2, v1, v4
	v_and_b32_e32 v1, v5, v22
	v_mbcnt_lo_u32_b32 v4, v1, 0
	v_mbcnt_hi_u32_b32 v22, v2, v4
	v_cmp_ne_u64_e64 s[12:13], 0, v[1:2]
	v_cmp_eq_u32_e64 s[14:15], 0, v22
	s_and_b64 s[14:15], s[12:13], s[14:15]
	; wave barrier
	s_and_saveexec_b64 s[12:13], s[14:15]
	s_cbranch_execz .LBB50_8
; %bb.7:                                ;   in Loop: Header=BB50_2 Depth=1
	v_bcnt_u32_b32 v1, v1, 0
	v_bcnt_u32_b32 v1, v2, v1
	s_waitcnt lgkmcnt(0)
	v_add_u32_e32 v1, v20, v1
	ds_write_b32 v21, v1 offset:4
.LBB50_8:                               ;   in Loop: Header=BB50_2 Depth=1
	s_or_b64 exec, exec, s[12:13]
	; wave barrier
	s_waitcnt lgkmcnt(0)
	; wave barrier
	ds_read2_b32 v[4:5], v8 offset0:1 offset1:2
	ds_read2_b32 v[1:2], v8 offset0:3 offset1:4
	s_waitcnt lgkmcnt(1)
	v_add_u32_e32 v23, v5, v4
	s_waitcnt lgkmcnt(0)
	v_add3_u32 v2, v23, v1, v2
	s_nop 1
	v_mov_b32_dpp v23, v2 row_shr:1 row_mask:0xf bank_mask:0xf
	v_cndmask_b32_e64 v23, v23, 0, vcc
	v_add_u32_e32 v2, v23, v2
	s_nop 1
	v_mov_b32_dpp v23, v2 row_shr:2 row_mask:0xf bank_mask:0xf
	v_cndmask_b32_e64 v23, 0, v23, s[0:1]
	v_add_u32_e32 v2, v2, v23
	s_nop 1
	v_mov_b32_dpp v23, v2 row_shr:4 row_mask:0xf bank_mask:0xf
	v_cndmask_b32_e64 v23, 0, v23, s[2:3]
	;; [unrolled: 4-line block ×3, first 2 shown]
	v_add_u32_e32 v2, v2, v23
	s_nop 1
	v_mov_b32_dpp v23, v2 row_bcast:15 row_mask:0xf bank_mask:0xf
	v_cndmask_b32_e64 v23, v23, 0, s[6:7]
	v_add_u32_e32 v2, v2, v23
	s_nop 1
	v_mov_b32_dpp v23, v2 row_bcast:31 row_mask:0xf bank_mask:0xf
	v_cndmask_b32_e64 v23, 0, v23, s[8:9]
	v_add_u32_e32 v2, v2, v23
	s_and_saveexec_b64 s[12:13], s[10:11]
	s_cbranch_execz .LBB50_1
; %bb.9:                                ;   in Loop: Header=BB50_2 Depth=1
	ds_write_b32 v3, v2
	s_branch .LBB50_1
.LBB50_10:
	s_add_u32 s0, s18, s20
	s_addc_u32 s1, s19, 0
	v_mov_b32_e32 v1, s1
	v_add_co_u32_e32 v0, vcc, s0, v0
	v_and_b32_e32 v2, 0xffff, v5
	v_addc_co_u32_e32 v1, vcc, 0, v1, vcc
	global_store_byte v[0:1], v4, off
	global_store_byte v[0:1], v2, off offset:64
	v_lshrrev_b16_e32 v2, 8, v2
	global_store_byte v[0:1], v2, off offset:128
	s_endpgm
	.section	.rodata,"a",@progbits
	.p2align	6, 0x0
	.amdhsa_kernel _Z16sort_keys_kernelI22helper_blocked_blockedaLj64ELj3ELj10EEvPKT0_PS1_
		.amdhsa_group_segment_fixed_size 1040
		.amdhsa_private_segment_fixed_size 0
		.amdhsa_kernarg_size 272
		.amdhsa_user_sgpr_count 6
		.amdhsa_user_sgpr_private_segment_buffer 1
		.amdhsa_user_sgpr_dispatch_ptr 0
		.amdhsa_user_sgpr_queue_ptr 0
		.amdhsa_user_sgpr_kernarg_segment_ptr 1
		.amdhsa_user_sgpr_dispatch_id 0
		.amdhsa_user_sgpr_flat_scratch_init 0
		.amdhsa_user_sgpr_private_segment_size 0
		.amdhsa_uses_dynamic_stack 0
		.amdhsa_system_sgpr_private_segment_wavefront_offset 0
		.amdhsa_system_sgpr_workgroup_id_x 1
		.amdhsa_system_sgpr_workgroup_id_y 0
		.amdhsa_system_sgpr_workgroup_id_z 0
		.amdhsa_system_sgpr_workgroup_info 0
		.amdhsa_system_vgpr_workitem_id 2
		.amdhsa_next_free_vgpr 24
		.amdhsa_next_free_sgpr 22
		.amdhsa_reserve_vcc 1
		.amdhsa_reserve_flat_scratch 0
		.amdhsa_float_round_mode_32 0
		.amdhsa_float_round_mode_16_64 0
		.amdhsa_float_denorm_mode_32 3
		.amdhsa_float_denorm_mode_16_64 3
		.amdhsa_dx10_clamp 1
		.amdhsa_ieee_mode 1
		.amdhsa_fp16_overflow 0
		.amdhsa_exception_fp_ieee_invalid_op 0
		.amdhsa_exception_fp_denorm_src 0
		.amdhsa_exception_fp_ieee_div_zero 0
		.amdhsa_exception_fp_ieee_overflow 0
		.amdhsa_exception_fp_ieee_underflow 0
		.amdhsa_exception_fp_ieee_inexact 0
		.amdhsa_exception_int_div_zero 0
	.end_amdhsa_kernel
	.section	.text._Z16sort_keys_kernelI22helper_blocked_blockedaLj64ELj3ELj10EEvPKT0_PS1_,"axG",@progbits,_Z16sort_keys_kernelI22helper_blocked_blockedaLj64ELj3ELj10EEvPKT0_PS1_,comdat
.Lfunc_end50:
	.size	_Z16sort_keys_kernelI22helper_blocked_blockedaLj64ELj3ELj10EEvPKT0_PS1_, .Lfunc_end50-_Z16sort_keys_kernelI22helper_blocked_blockedaLj64ELj3ELj10EEvPKT0_PS1_
                                        ; -- End function
	.set _Z16sort_keys_kernelI22helper_blocked_blockedaLj64ELj3ELj10EEvPKT0_PS1_.num_vgpr, 24
	.set _Z16sort_keys_kernelI22helper_blocked_blockedaLj64ELj3ELj10EEvPKT0_PS1_.num_agpr, 0
	.set _Z16sort_keys_kernelI22helper_blocked_blockedaLj64ELj3ELj10EEvPKT0_PS1_.numbered_sgpr, 22
	.set _Z16sort_keys_kernelI22helper_blocked_blockedaLj64ELj3ELj10EEvPKT0_PS1_.num_named_barrier, 0
	.set _Z16sort_keys_kernelI22helper_blocked_blockedaLj64ELj3ELj10EEvPKT0_PS1_.private_seg_size, 0
	.set _Z16sort_keys_kernelI22helper_blocked_blockedaLj64ELj3ELj10EEvPKT0_PS1_.uses_vcc, 1
	.set _Z16sort_keys_kernelI22helper_blocked_blockedaLj64ELj3ELj10EEvPKT0_PS1_.uses_flat_scratch, 0
	.set _Z16sort_keys_kernelI22helper_blocked_blockedaLj64ELj3ELj10EEvPKT0_PS1_.has_dyn_sized_stack, 0
	.set _Z16sort_keys_kernelI22helper_blocked_blockedaLj64ELj3ELj10EEvPKT0_PS1_.has_recursion, 0
	.set _Z16sort_keys_kernelI22helper_blocked_blockedaLj64ELj3ELj10EEvPKT0_PS1_.has_indirect_call, 0
	.section	.AMDGPU.csdata,"",@progbits
; Kernel info:
; codeLenInByte = 2008
; TotalNumSgprs: 26
; NumVgprs: 24
; ScratchSize: 0
; MemoryBound: 0
; FloatMode: 240
; IeeeMode: 1
; LDSByteSize: 1040 bytes/workgroup (compile time only)
; SGPRBlocks: 3
; VGPRBlocks: 5
; NumSGPRsForWavesPerEU: 26
; NumVGPRsForWavesPerEU: 24
; Occupancy: 10
; WaveLimiterHint : 0
; COMPUTE_PGM_RSRC2:SCRATCH_EN: 0
; COMPUTE_PGM_RSRC2:USER_SGPR: 6
; COMPUTE_PGM_RSRC2:TRAP_HANDLER: 0
; COMPUTE_PGM_RSRC2:TGID_X_EN: 1
; COMPUTE_PGM_RSRC2:TGID_Y_EN: 0
; COMPUTE_PGM_RSRC2:TGID_Z_EN: 0
; COMPUTE_PGM_RSRC2:TIDIG_COMP_CNT: 2
	.section	.text._Z17sort_pairs_kernelI22helper_blocked_blockedaLj64ELj3ELj10EEvPKT0_PS1_,"axG",@progbits,_Z17sort_pairs_kernelI22helper_blocked_blockedaLj64ELj3ELj10EEvPKT0_PS1_,comdat
	.protected	_Z17sort_pairs_kernelI22helper_blocked_blockedaLj64ELj3ELj10EEvPKT0_PS1_ ; -- Begin function _Z17sort_pairs_kernelI22helper_blocked_blockedaLj64ELj3ELj10EEvPKT0_PS1_
	.globl	_Z17sort_pairs_kernelI22helper_blocked_blockedaLj64ELj3ELj10EEvPKT0_PS1_
	.p2align	8
	.type	_Z17sort_pairs_kernelI22helper_blocked_blockedaLj64ELj3ELj10EEvPKT0_PS1_,@function
_Z17sort_pairs_kernelI22helper_blocked_blockedaLj64ELj3ELj10EEvPKT0_PS1_: ; @_Z17sort_pairs_kernelI22helper_blocked_blockedaLj64ELj3ELj10EEvPKT0_PS1_
; %bb.0:
	s_load_dwordx4 s[16:19], s[4:5], 0x0
	s_load_dword s22, s[4:5], 0x1c
	s_mul_i32 s20, s6, 0xc0
	v_mbcnt_lo_u32_b32 v6, -1, 0
	v_mbcnt_hi_u32_b32 v6, -1, v6
	s_waitcnt lgkmcnt(0)
	s_add_u32 s0, s16, s20
	s_addc_u32 s1, s17, 0
	global_load_ubyte v4, v0, s[0:1]
	global_load_ubyte v5, v0, s[0:1] offset:64
	global_load_ubyte v12, v0, s[0:1] offset:128
	s_lshr_b32 s23, s22, 16
	s_and_b32 s22, s22, 0xffff
	v_mad_u32_u24 v1, v2, s23, v1
	v_subrev_co_u32_e64 v13, s[14:15], 1, v6
	v_and_b32_e32 v14, 64, v6
	v_mad_u32_u24 v1, v1, s22, v0
	v_and_b32_e32 v10, 15, v6
	v_and_b32_e32 v11, 16, v6
	v_cmp_lt_i32_e64 s[16:17], v13, v14
	v_lshrrev_b32_e32 v1, 4, v1
	v_cmp_eq_u32_e64 s[2:3], 0, v10
	v_cmp_lt_u32_e64 s[4:5], 1, v10
	v_cmp_lt_u32_e64 s[6:7], 3, v10
	;; [unrolled: 1-line block ×3, first 2 shown]
	v_cmp_eq_u32_e64 s[10:11], 0, v11
	v_cndmask_b32_e64 v10, v13, v6, s[16:17]
	v_and_b32_e32 v11, 0xffffffc, v1
	v_lshlrev_b32_e32 v7, 4, v0
	v_cmp_eq_u32_e64 s[12:13], 0, v0
	v_mul_i32_i24_e32 v9, -13, v0
	v_mov_b32_e32 v3, 0
	s_mov_b32 s21, 10
	v_cmp_eq_u32_e32 vcc, 63, v0
	v_mul_u32_u24_e32 v8, 3, v6
	v_cmp_lt_u32_e64 s[0:1], 31, v6
	v_add_u32_e32 v9, v7, v9
	v_lshlrev_b32_e32 v10, 2, v10
	s_or_b64 s[16:17], s[12:13], s[14:15]
	s_mov_b32 s22, 0xc0c0104
	s_waitcnt vmcnt(2)
	v_add_u16_e32 v1, 1, v4
	s_waitcnt vmcnt(1)
	v_lshlrev_b16_e32 v2, 8, v5
	s_waitcnt vmcnt(0)
	v_add_u16_e32 v13, 1, v12
	v_or_b32_sdwa v1, v2, v1 dst_sel:DWORD dst_unused:UNUSED_PAD src0_sel:DWORD src1_sel:BYTE_0
	v_and_b32_e32 v2, 0xff, v13
	v_add_u16_e32 v1, 0x100, v1
	v_lshlrev_b32_e32 v2, 16, v2
	v_or_b32_e32 v1, v1, v2
	s_branch .LBB51_2
.LBB51_1:                               ;   in Loop: Header=BB51_2 Depth=1
	s_or_b64 exec, exec, s[12:13]
	ds_bpermute_b32 v2, v10, v2
	s_waitcnt lgkmcnt(0)
	; wave barrier
	s_add_i32 s21, s21, -1
	s_cmp_eq_u32 s21, 0
	v_cndmask_b32_e64 v2, v2, 0, s[16:17]
	v_add_u32_e32 v4, v2, v4
	v_add_u32_e32 v5, v4, v5
	;; [unrolled: 1-line block ×3, first 2 shown]
	ds_write2_b32 v7, v2, v4 offset0:1 offset1:2
	ds_write2_b32 v7, v5, v1 offset0:3 offset1:4
	s_waitcnt lgkmcnt(0)
	; wave barrier
	ds_read_b32 v1, v18 offset:4
	ds_read_b32 v2, v21 offset:4
	;; [unrolled: 1-line block ×3, first 2 shown]
	s_waitcnt lgkmcnt(0)
	; wave barrier
	v_add_u32_e32 v1, v1, v19
	v_add3_u32 v2, v22, v20, v2
	v_add3_u32 v4, v25, v23, v4
	ds_write_b8 v1, v14
	ds_write_b8 v2, v13
	;; [unrolled: 1-line block ×3, first 2 shown]
	s_waitcnt lgkmcnt(0)
	; wave barrier
	ds_read_u8 v5, v9
	ds_read_u16 v12, v9 offset:1
	s_waitcnt lgkmcnt(0)
	; wave barrier
	ds_write_b8 v1, v15
	ds_write_b8 v2, v16
	;; [unrolled: 1-line block ×3, first 2 shown]
	s_waitcnt lgkmcnt(0)
	; wave barrier
	ds_read_u16 v2, v9 offset:1
	ds_read_u8 v13, v9
	v_xor_b32_e32 v4, 0xffffff80, v5
	s_waitcnt lgkmcnt(1)
	v_lshlrev_b16_e32 v1, 8, v2
	v_lshrrev_b16_e32 v5, 8, v2
	v_lshlrev_b32_e32 v5, 16, v5
	s_waitcnt lgkmcnt(0)
	v_perm_b32 v1, v13, v1, s22
	v_or_b32_e32 v1, v1, v5
	v_and_b32_e32 v5, 0xffffff00, v12
	v_xor_b32_e32 v14, 0xffff8000, v5
	v_xor_b32_e32 v5, 0x80, v12
	v_or_b32_sdwa v5, v5, v14 dst_sel:DWORD dst_unused:UNUSED_PAD src0_sel:BYTE_0 src1_sel:DWORD
	v_lshrrev_b16_e32 v12, 8, v14
	s_cbranch_scc1 .LBB51_10
.LBB51_2:                               ; =>This Inner Loop Header: Depth=1
	v_xor_b32_e32 v2, 0x80, v4
	v_xor_b32_e32 v4, 0x80, v5
	;; [unrolled: 1-line block ×3, first 2 shown]
	ds_write_b8 v8, v2
	ds_write_b8 v8, v4 offset:1
	ds_write_b8 v8, v5 offset:2
	; wave barrier
	ds_read_u8 v14, v6
	ds_read_u8 v13, v6 offset:64
	ds_read_u8 v12, v6 offset:128
	v_lshrrev_b32_e32 v2, 8, v1
	; wave barrier
	ds_write_b8 v8, v1
	ds_write_b8 v8, v2 offset:1
	ds_write_b8_d16_hi v8, v1 offset:2
	s_waitcnt lgkmcnt(5)
	v_and_b32_e32 v1, 0xff, v14
	v_lshl_add_u32 v18, v1, 2, v11
	v_and_b32_e32 v1, 1, v14
	v_add_co_u32_e64 v2, s[12:13], -1, v1
	v_addc_co_u32_e64 v4, s[12:13], 0, -1, s[12:13]
	v_cmp_ne_u32_e64 s[12:13], 0, v1
	v_xor_b32_e32 v1, s13, v4
	v_lshlrev_b32_e32 v4, 30, v14
	v_xor_b32_e32 v2, s12, v2
	v_cmp_gt_i64_e64 s[12:13], 0, v[3:4]
	v_not_b32_e32 v4, v4
	v_ashrrev_i32_e32 v4, 31, v4
	v_and_b32_e32 v2, exec_lo, v2
	v_xor_b32_e32 v5, s13, v4
	v_xor_b32_e32 v4, s12, v4
	v_and_b32_e32 v2, v2, v4
	v_lshlrev_b32_e32 v4, 29, v14
	v_cmp_gt_i64_e64 s[12:13], 0, v[3:4]
	v_not_b32_e32 v4, v4
	v_and_b32_e32 v1, exec_hi, v1
	v_ashrrev_i32_e32 v4, 31, v4
	v_and_b32_e32 v1, v1, v5
	v_xor_b32_e32 v5, s13, v4
	v_xor_b32_e32 v4, s12, v4
	v_and_b32_e32 v2, v2, v4
	v_lshlrev_b32_e32 v4, 28, v14
	v_cmp_gt_i64_e64 s[12:13], 0, v[3:4]
	v_not_b32_e32 v4, v4
	v_ashrrev_i32_e32 v4, 31, v4
	v_and_b32_e32 v1, v1, v5
	v_xor_b32_e32 v5, s13, v4
	v_xor_b32_e32 v4, s12, v4
	v_and_b32_e32 v2, v2, v4
	v_lshlrev_b32_e32 v4, 27, v14
	v_cmp_gt_i64_e64 s[12:13], 0, v[3:4]
	v_not_b32_e32 v4, v4
	;; [unrolled: 8-line block ×4, first 2 shown]
	v_ashrrev_i32_e32 v4, 31, v4
	v_and_b32_e32 v1, v1, v5
	v_xor_b32_e32 v5, s13, v4
	v_xor_b32_e32 v4, s12, v4
	v_and_b32_e32 v1, v1, v5
	v_and_b32_e32 v5, v2, v4
	v_lshlrev_b32_e32 v4, 24, v14
	v_cmp_gt_i64_e64 s[12:13], 0, v[3:4]
	v_not_b32_e32 v2, v4
	v_ashrrev_i32_e32 v2, 31, v2
	; wave barrier
	ds_read_u8 v15, v6
	ds_read_u8 v16, v6 offset:64
	ds_read_u8 v17, v6 offset:128
	v_xor_b32_e32 v4, s13, v2
	v_xor_b32_e32 v19, s12, v2
	v_and_b32_e32 v2, v1, v4
	v_and_b32_e32 v1, v5, v19
	v_mbcnt_lo_u32_b32 v4, v1, 0
	v_mbcnt_hi_u32_b32 v19, v2, v4
	v_cmp_ne_u64_e64 s[12:13], 0, v[1:2]
	v_cmp_eq_u32_e64 s[14:15], 0, v19
	s_and_b64 s[14:15], s[12:13], s[14:15]
	s_waitcnt lgkmcnt(0)
	; wave barrier
	ds_write2_b32 v7, v3, v3 offset0:1 offset1:2
	ds_write2_b32 v7, v3, v3 offset0:3 offset1:4
	s_waitcnt lgkmcnt(0)
	; wave barrier
	; wave barrier
	s_and_saveexec_b64 s[12:13], s[14:15]
; %bb.3:                                ;   in Loop: Header=BB51_2 Depth=1
	v_bcnt_u32_b32 v1, v1, 0
	v_bcnt_u32_b32 v1, v2, v1
	ds_write_b32 v18, v1 offset:4
; %bb.4:                                ;   in Loop: Header=BB51_2 Depth=1
	s_or_b64 exec, exec, s[12:13]
	v_and_b32_e32 v1, 0xff, v13
	v_lshl_add_u32 v21, v1, 2, v11
	v_and_b32_e32 v1, 1, v13
	v_add_co_u32_e64 v2, s[12:13], -1, v1
	v_addc_co_u32_e64 v4, s[12:13], 0, -1, s[12:13]
	v_cmp_ne_u32_e64 s[12:13], 0, v1
	v_xor_b32_e32 v1, s13, v4
	v_lshlrev_b32_e32 v4, 30, v13
	v_xor_b32_e32 v2, s12, v2
	v_cmp_gt_i64_e64 s[12:13], 0, v[3:4]
	v_not_b32_e32 v4, v4
	v_ashrrev_i32_e32 v4, 31, v4
	v_and_b32_e32 v2, exec_lo, v2
	v_xor_b32_e32 v5, s13, v4
	v_xor_b32_e32 v4, s12, v4
	v_and_b32_e32 v2, v2, v4
	v_lshlrev_b32_e32 v4, 29, v13
	v_cmp_gt_i64_e64 s[12:13], 0, v[3:4]
	v_not_b32_e32 v4, v4
	v_and_b32_e32 v1, exec_hi, v1
	v_ashrrev_i32_e32 v4, 31, v4
	v_and_b32_e32 v1, v1, v5
	v_xor_b32_e32 v5, s13, v4
	v_xor_b32_e32 v4, s12, v4
	v_and_b32_e32 v2, v2, v4
	v_lshlrev_b32_e32 v4, 28, v13
	v_cmp_gt_i64_e64 s[12:13], 0, v[3:4]
	v_not_b32_e32 v4, v4
	v_ashrrev_i32_e32 v4, 31, v4
	v_and_b32_e32 v1, v1, v5
	v_xor_b32_e32 v5, s13, v4
	v_xor_b32_e32 v4, s12, v4
	v_and_b32_e32 v2, v2, v4
	v_lshlrev_b32_e32 v4, 27, v13
	v_cmp_gt_i64_e64 s[12:13], 0, v[3:4]
	v_not_b32_e32 v4, v4
	;; [unrolled: 8-line block ×4, first 2 shown]
	v_ashrrev_i32_e32 v4, 31, v4
	v_and_b32_e32 v1, v1, v5
	v_xor_b32_e32 v5, s13, v4
	v_xor_b32_e32 v4, s12, v4
	v_and_b32_e32 v1, v1, v5
	v_and_b32_e32 v5, v2, v4
	v_lshlrev_b32_e32 v4, 24, v13
	v_cmp_gt_i64_e64 s[12:13], 0, v[3:4]
	v_not_b32_e32 v2, v4
	v_ashrrev_i32_e32 v2, 31, v2
	v_xor_b32_e32 v4, s13, v2
	v_xor_b32_e32 v22, s12, v2
	; wave barrier
	ds_read_b32 v20, v21 offset:4
	v_and_b32_e32 v2, v1, v4
	v_and_b32_e32 v1, v5, v22
	v_mbcnt_lo_u32_b32 v4, v1, 0
	v_mbcnt_hi_u32_b32 v22, v2, v4
	v_cmp_ne_u64_e64 s[12:13], 0, v[1:2]
	v_cmp_eq_u32_e64 s[14:15], 0, v22
	s_and_b64 s[14:15], s[12:13], s[14:15]
	; wave barrier
	s_and_saveexec_b64 s[12:13], s[14:15]
	s_cbranch_execz .LBB51_6
; %bb.5:                                ;   in Loop: Header=BB51_2 Depth=1
	v_bcnt_u32_b32 v1, v1, 0
	v_bcnt_u32_b32 v1, v2, v1
	s_waitcnt lgkmcnt(0)
	v_add_u32_e32 v1, v20, v1
	ds_write_b32 v21, v1 offset:4
.LBB51_6:                               ;   in Loop: Header=BB51_2 Depth=1
	s_or_b64 exec, exec, s[12:13]
	v_and_b32_e32 v1, 0xff, v12
	v_lshl_add_u32 v24, v1, 2, v11
	v_and_b32_e32 v1, 1, v12
	v_add_co_u32_e64 v2, s[12:13], -1, v1
	v_addc_co_u32_e64 v4, s[12:13], 0, -1, s[12:13]
	v_cmp_ne_u32_e64 s[12:13], 0, v1
	v_xor_b32_e32 v1, s13, v4
	v_lshlrev_b32_e32 v4, 30, v12
	v_xor_b32_e32 v2, s12, v2
	v_cmp_gt_i64_e64 s[12:13], 0, v[3:4]
	v_not_b32_e32 v4, v4
	v_ashrrev_i32_e32 v4, 31, v4
	v_and_b32_e32 v2, exec_lo, v2
	v_xor_b32_e32 v5, s13, v4
	v_xor_b32_e32 v4, s12, v4
	v_and_b32_e32 v2, v2, v4
	v_lshlrev_b32_e32 v4, 29, v12
	v_cmp_gt_i64_e64 s[12:13], 0, v[3:4]
	v_not_b32_e32 v4, v4
	v_and_b32_e32 v1, exec_hi, v1
	v_ashrrev_i32_e32 v4, 31, v4
	v_and_b32_e32 v1, v1, v5
	v_xor_b32_e32 v5, s13, v4
	v_xor_b32_e32 v4, s12, v4
	v_and_b32_e32 v2, v2, v4
	v_lshlrev_b32_e32 v4, 28, v12
	v_cmp_gt_i64_e64 s[12:13], 0, v[3:4]
	v_not_b32_e32 v4, v4
	v_ashrrev_i32_e32 v4, 31, v4
	v_and_b32_e32 v1, v1, v5
	v_xor_b32_e32 v5, s13, v4
	v_xor_b32_e32 v4, s12, v4
	v_and_b32_e32 v2, v2, v4
	v_lshlrev_b32_e32 v4, 27, v12
	v_cmp_gt_i64_e64 s[12:13], 0, v[3:4]
	v_not_b32_e32 v4, v4
	;; [unrolled: 8-line block ×4, first 2 shown]
	v_ashrrev_i32_e32 v4, 31, v4
	v_and_b32_e32 v1, v1, v5
	v_xor_b32_e32 v5, s13, v4
	v_xor_b32_e32 v4, s12, v4
	v_and_b32_e32 v1, v1, v5
	v_and_b32_e32 v5, v2, v4
	v_lshlrev_b32_e32 v4, 24, v12
	v_cmp_gt_i64_e64 s[12:13], 0, v[3:4]
	v_not_b32_e32 v2, v4
	v_ashrrev_i32_e32 v2, 31, v2
	v_xor_b32_e32 v4, s13, v2
	v_xor_b32_e32 v25, s12, v2
	; wave barrier
	ds_read_b32 v23, v24 offset:4
	v_and_b32_e32 v2, v1, v4
	v_and_b32_e32 v1, v5, v25
	v_mbcnt_lo_u32_b32 v4, v1, 0
	v_mbcnt_hi_u32_b32 v25, v2, v4
	v_cmp_ne_u64_e64 s[12:13], 0, v[1:2]
	v_cmp_eq_u32_e64 s[14:15], 0, v25
	s_and_b64 s[14:15], s[12:13], s[14:15]
	; wave barrier
	s_and_saveexec_b64 s[12:13], s[14:15]
	s_cbranch_execz .LBB51_8
; %bb.7:                                ;   in Loop: Header=BB51_2 Depth=1
	v_bcnt_u32_b32 v1, v1, 0
	v_bcnt_u32_b32 v1, v2, v1
	s_waitcnt lgkmcnt(0)
	v_add_u32_e32 v1, v23, v1
	ds_write_b32 v24, v1 offset:4
.LBB51_8:                               ;   in Loop: Header=BB51_2 Depth=1
	s_or_b64 exec, exec, s[12:13]
	; wave barrier
	s_waitcnt lgkmcnt(0)
	; wave barrier
	ds_read2_b32 v[4:5], v7 offset0:1 offset1:2
	ds_read2_b32 v[1:2], v7 offset0:3 offset1:4
	s_waitcnt lgkmcnt(1)
	v_add_u32_e32 v26, v5, v4
	s_waitcnt lgkmcnt(0)
	v_add3_u32 v2, v26, v1, v2
	s_nop 1
	v_mov_b32_dpp v26, v2 row_shr:1 row_mask:0xf bank_mask:0xf
	v_cndmask_b32_e64 v26, v26, 0, s[2:3]
	v_add_u32_e32 v2, v26, v2
	s_nop 1
	v_mov_b32_dpp v26, v2 row_shr:2 row_mask:0xf bank_mask:0xf
	v_cndmask_b32_e64 v26, 0, v26, s[4:5]
	v_add_u32_e32 v2, v2, v26
	;; [unrolled: 4-line block ×4, first 2 shown]
	s_nop 1
	v_mov_b32_dpp v26, v2 row_bcast:15 row_mask:0xf bank_mask:0xf
	v_cndmask_b32_e64 v26, v26, 0, s[10:11]
	v_add_u32_e32 v2, v2, v26
	s_nop 1
	v_mov_b32_dpp v26, v2 row_bcast:31 row_mask:0xf bank_mask:0xf
	v_cndmask_b32_e64 v26, 0, v26, s[0:1]
	v_add_u32_e32 v2, v2, v26
	s_and_saveexec_b64 s[12:13], vcc
	s_cbranch_execz .LBB51_1
; %bb.9:                                ;   in Loop: Header=BB51_2 Depth=1
	ds_write_b32 v3, v2
	s_branch .LBB51_1
.LBB51_10:
	s_add_u32 s0, s18, s20
	s_addc_u32 s1, s19, 0
	v_mov_b32_e32 v1, s1
	v_add_co_u32_e32 v0, vcc, s0, v0
	v_add_u16_e32 v3, v4, v13
	v_addc_co_u32_e32 v1, vcc, 0, v1, vcc
	v_add_u16_sdwa v4, v12, v2 dst_sel:DWORD dst_unused:UNUSED_PAD src0_sel:DWORD src1_sel:BYTE_1
	v_add_u16_e32 v2, v5, v2
	global_store_byte v[0:1], v3, off
	global_store_byte v[0:1], v2, off offset:64
	global_store_byte v[0:1], v4, off offset:128
	s_endpgm
	.section	.rodata,"a",@progbits
	.p2align	6, 0x0
	.amdhsa_kernel _Z17sort_pairs_kernelI22helper_blocked_blockedaLj64ELj3ELj10EEvPKT0_PS1_
		.amdhsa_group_segment_fixed_size 1040
		.amdhsa_private_segment_fixed_size 0
		.amdhsa_kernarg_size 272
		.amdhsa_user_sgpr_count 6
		.amdhsa_user_sgpr_private_segment_buffer 1
		.amdhsa_user_sgpr_dispatch_ptr 0
		.amdhsa_user_sgpr_queue_ptr 0
		.amdhsa_user_sgpr_kernarg_segment_ptr 1
		.amdhsa_user_sgpr_dispatch_id 0
		.amdhsa_user_sgpr_flat_scratch_init 0
		.amdhsa_user_sgpr_private_segment_size 0
		.amdhsa_uses_dynamic_stack 0
		.amdhsa_system_sgpr_private_segment_wavefront_offset 0
		.amdhsa_system_sgpr_workgroup_id_x 1
		.amdhsa_system_sgpr_workgroup_id_y 0
		.amdhsa_system_sgpr_workgroup_id_z 0
		.amdhsa_system_sgpr_workgroup_info 0
		.amdhsa_system_vgpr_workitem_id 2
		.amdhsa_next_free_vgpr 27
		.amdhsa_next_free_sgpr 24
		.amdhsa_reserve_vcc 1
		.amdhsa_reserve_flat_scratch 0
		.amdhsa_float_round_mode_32 0
		.amdhsa_float_round_mode_16_64 0
		.amdhsa_float_denorm_mode_32 3
		.amdhsa_float_denorm_mode_16_64 3
		.amdhsa_dx10_clamp 1
		.amdhsa_ieee_mode 1
		.amdhsa_fp16_overflow 0
		.amdhsa_exception_fp_ieee_invalid_op 0
		.amdhsa_exception_fp_denorm_src 0
		.amdhsa_exception_fp_ieee_div_zero 0
		.amdhsa_exception_fp_ieee_overflow 0
		.amdhsa_exception_fp_ieee_underflow 0
		.amdhsa_exception_fp_ieee_inexact 0
		.amdhsa_exception_int_div_zero 0
	.end_amdhsa_kernel
	.section	.text._Z17sort_pairs_kernelI22helper_blocked_blockedaLj64ELj3ELj10EEvPKT0_PS1_,"axG",@progbits,_Z17sort_pairs_kernelI22helper_blocked_blockedaLj64ELj3ELj10EEvPKT0_PS1_,comdat
.Lfunc_end51:
	.size	_Z17sort_pairs_kernelI22helper_blocked_blockedaLj64ELj3ELj10EEvPKT0_PS1_, .Lfunc_end51-_Z17sort_pairs_kernelI22helper_blocked_blockedaLj64ELj3ELj10EEvPKT0_PS1_
                                        ; -- End function
	.set _Z17sort_pairs_kernelI22helper_blocked_blockedaLj64ELj3ELj10EEvPKT0_PS1_.num_vgpr, 27
	.set _Z17sort_pairs_kernelI22helper_blocked_blockedaLj64ELj3ELj10EEvPKT0_PS1_.num_agpr, 0
	.set _Z17sort_pairs_kernelI22helper_blocked_blockedaLj64ELj3ELj10EEvPKT0_PS1_.numbered_sgpr, 24
	.set _Z17sort_pairs_kernelI22helper_blocked_blockedaLj64ELj3ELj10EEvPKT0_PS1_.num_named_barrier, 0
	.set _Z17sort_pairs_kernelI22helper_blocked_blockedaLj64ELj3ELj10EEvPKT0_PS1_.private_seg_size, 0
	.set _Z17sort_pairs_kernelI22helper_blocked_blockedaLj64ELj3ELj10EEvPKT0_PS1_.uses_vcc, 1
	.set _Z17sort_pairs_kernelI22helper_blocked_blockedaLj64ELj3ELj10EEvPKT0_PS1_.uses_flat_scratch, 0
	.set _Z17sort_pairs_kernelI22helper_blocked_blockedaLj64ELj3ELj10EEvPKT0_PS1_.has_dyn_sized_stack, 0
	.set _Z17sort_pairs_kernelI22helper_blocked_blockedaLj64ELj3ELj10EEvPKT0_PS1_.has_recursion, 0
	.set _Z17sort_pairs_kernelI22helper_blocked_blockedaLj64ELj3ELj10EEvPKT0_PS1_.has_indirect_call, 0
	.section	.AMDGPU.csdata,"",@progbits
; Kernel info:
; codeLenInByte = 2196
; TotalNumSgprs: 28
; NumVgprs: 27
; ScratchSize: 0
; MemoryBound: 0
; FloatMode: 240
; IeeeMode: 1
; LDSByteSize: 1040 bytes/workgroup (compile time only)
; SGPRBlocks: 3
; VGPRBlocks: 6
; NumSGPRsForWavesPerEU: 28
; NumVGPRsForWavesPerEU: 27
; Occupancy: 9
; WaveLimiterHint : 0
; COMPUTE_PGM_RSRC2:SCRATCH_EN: 0
; COMPUTE_PGM_RSRC2:USER_SGPR: 6
; COMPUTE_PGM_RSRC2:TRAP_HANDLER: 0
; COMPUTE_PGM_RSRC2:TGID_X_EN: 1
; COMPUTE_PGM_RSRC2:TGID_Y_EN: 0
; COMPUTE_PGM_RSRC2:TGID_Z_EN: 0
; COMPUTE_PGM_RSRC2:TIDIG_COMP_CNT: 2
	.section	.text._Z16sort_keys_kernelI22helper_blocked_blockedaLj64ELj4ELj10EEvPKT0_PS1_,"axG",@progbits,_Z16sort_keys_kernelI22helper_blocked_blockedaLj64ELj4ELj10EEvPKT0_PS1_,comdat
	.protected	_Z16sort_keys_kernelI22helper_blocked_blockedaLj64ELj4ELj10EEvPKT0_PS1_ ; -- Begin function _Z16sort_keys_kernelI22helper_blocked_blockedaLj64ELj4ELj10EEvPKT0_PS1_
	.globl	_Z16sort_keys_kernelI22helper_blocked_blockedaLj64ELj4ELj10EEvPKT0_PS1_
	.p2align	8
	.type	_Z16sort_keys_kernelI22helper_blocked_blockedaLj64ELj4ELj10EEvPKT0_PS1_,@function
_Z16sort_keys_kernelI22helper_blocked_blockedaLj64ELj4ELj10EEvPKT0_PS1_: ; @_Z16sort_keys_kernelI22helper_blocked_blockedaLj64ELj4ELj10EEvPKT0_PS1_
; %bb.0:
	s_load_dwordx4 s[24:27], s[4:5], 0x0
	s_load_dword s7, s[4:5], 0x1c
	s_lshl_b32 s28, s6, 8
	v_mbcnt_lo_u32_b32 v6, -1, 0
	v_mbcnt_hi_u32_b32 v12, -1, v6
	s_waitcnt lgkmcnt(0)
	s_add_u32 s0, s24, s28
	s_addc_u32 s1, s25, 0
	global_load_ubyte v14, v0, s[0:1] offset:192
	global_load_ubyte v4, v0, s[0:1] offset:128
	;; [unrolled: 1-line block ×3, first 2 shown]
	global_load_ubyte v5, v0, s[0:1]
	s_lshr_b32 s6, s7, 16
	s_and_b32 s7, s7, 0xffff
	v_mad_u32_u24 v1, v2, s6, v1
	v_mad_u32_u24 v1, v1, s7, v0
	v_lshrrev_b32_e32 v1, 4, v1
	v_and_b32_e32 v11, 0xffffffc, v1
	v_and_b32_e32 v1, 15, v12
	v_cmp_eq_u32_e64 s[6:7], 0, v1
	v_cmp_lt_u32_e64 s[8:9], 1, v1
	v_cmp_lt_u32_e64 s[10:11], 3, v1
	;; [unrolled: 1-line block ×3, first 2 shown]
	v_and_b32_e32 v1, 16, v12
	v_and_b32_e32 v13, 64, v12
	v_cmp_eq_u32_e64 s[14:15], 0, v1
	v_subrev_co_u32_e64 v1, s[20:21], 1, v12
	v_lshrrev_b32_e32 v9, 2, v12
	v_and_b32_e32 v6, 3, v12
	v_cmp_lt_i32_e64 s[22:23], v1, v13
	v_cmp_eq_u32_e32 vcc, 3, v6
	v_cmp_eq_u32_e64 s[0:1], 2, v6
	v_cmp_eq_u32_e64 s[2:3], 1, v6
	;; [unrolled: 1-line block ×3, first 2 shown]
	v_or_b32_e32 v6, v9, v13
	v_add_u32_e32 v9, 48, v9
	v_cndmask_b32_e64 v1, v1, v12, s[22:23]
	v_lshlrev_b32_e32 v6, 2, v6
	v_and_or_b32 v9, v9, 63, v13
	v_lshlrev_b32_e32 v10, 4, v0
	v_cmp_lt_u32_e64 s[16:17], 31, v12
	v_lshlrev_b32_e32 v12, 2, v1
	v_cmp_eq_u32_e64 s[22:23], 0, v0
	v_mul_i32_i24_e32 v1, -12, v0
	v_mov_b32_e32 v3, 0
	v_add_u32_e32 v7, 64, v6
	s_movk_i32 s29, 0x80
	v_or_b32_e32 v8, 0x80, v6
	v_lshlrev_b32_e32 v9, 2, v9
	s_mov_b32 s30, 0xffff
	v_cmp_eq_u32_e64 s[18:19], 63, v0
	s_or_b64 s[24:25], s[22:23], s[20:21]
	s_mov_b32 s31, 10
	s_movk_i32 s33, 0xff
	s_mov_b32 s34, 0x3020104
	s_mov_b32 s35, 0xffff0000
	;; [unrolled: 1-line block ×3, first 2 shown]
	v_add_u32_e32 v13, v10, v1
	s_movk_i32 s37, 0xff00
	s_branch .LBB52_2
.LBB52_1:                               ;   in Loop: Header=BB52_2 Depth=1
	s_or_b64 exec, exec, s[20:21]
	ds_bpermute_b32 v2, v12, v2
	s_waitcnt lgkmcnt(0)
	; wave barrier
	s_add_i32 s31, s31, -1
	s_cmp_eq_u32 s31, 0
	v_cndmask_b32_e64 v2, v2, 0, s[24:25]
	v_add_u32_e32 v4, v2, v4
	v_add_u32_e32 v5, v4, v5
	;; [unrolled: 1-line block ×3, first 2 shown]
	ds_write2_b32 v10, v2, v4 offset0:1 offset1:2
	ds_write2_b32 v10, v5, v1 offset0:3 offset1:4
	s_waitcnt lgkmcnt(0)
	; wave barrier
	ds_read_b32 v1, v15 offset:4
	ds_read_b32 v2, v19 offset:4
	;; [unrolled: 1-line block ×4, first 2 shown]
	s_waitcnt lgkmcnt(0)
	v_add_u32_e32 v1, v1, v16
	; wave barrier
	ds_write_b8 v1, v14
	v_add3_u32 v1, v20, v18, v2
	ds_write_b8 v1, v17
	v_add3_u32 v1, v24, v22, v4
	;; [unrolled: 2-line block ×3, first 2 shown]
	ds_write_b8 v1, v25
	s_waitcnt lgkmcnt(0)
	; wave barrier
	ds_read_b32 v1, v13
	s_waitcnt lgkmcnt(0)
	v_and_b32_e32 v2, 0xffffff00, v1
	v_xor_b32_e32 v4, 0x80, v1
	v_or_b32_sdwa v2, v4, v2 dst_sel:DWORD dst_unused:UNUSED_PAD src0_sel:BYTE_0 src1_sel:DWORD
	v_add_u16_e32 v5, 0x8000, v2
	v_and_b32_sdwa v2, v1, s37 dst_sel:DWORD dst_unused:UNUSED_PAD src0_sel:WORD_1 src1_sel:DWORD
	v_xor_b32_sdwa v1, v1, s29 dst_sel:DWORD dst_unused:UNUSED_PAD src0_sel:WORD_1 src1_sel:DWORD
	v_or_b32_sdwa v1, v1, v2 dst_sel:DWORD dst_unused:UNUSED_PAD src0_sel:BYTE_0 src1_sel:DWORD
	v_add_u16_e32 v4, 0x8000, v1
	v_lshlrev_b32_e32 v2, 16, v4
	v_or_b32_e32 v1, v5, v2
	v_lshrrev_b32_e32 v15, 8, v1
	v_lshrrev_b32_e32 v14, 24, v2
	s_cbranch_scc1 .LBB52_12
.LBB52_2:                               ; =>This Inner Loop Header: Depth=1
	s_waitcnt vmcnt(0)
	v_xor_b32_e32 v1, 0x80, v5
	v_xor_b32_e32 v2, 0x80, v15
	v_and_b32_e32 v1, 0xff, v1
	ds_bpermute_b32 v5, v6, v1
	v_xor_b32_e32 v4, 0x80, v4
	v_and_b32_e32 v2, 0xff, v2
	ds_bpermute_b32 v15, v6, v2
	v_and_b32_e32 v4, 0xff, v4
	ds_bpermute_b32 v16, v6, v4
	v_xor_b32_e32 v14, 0x80, v14
	v_and_b32_e32 v14, 0xff, v14
	s_waitcnt lgkmcnt(2)
	v_and_b32_e32 v5, 0xff, v5
	ds_bpermute_b32 v17, v6, v14
	v_cndmask_b32_e64 v5, 0, v5, s[4:5]
	s_waitcnt lgkmcnt(2)
	v_and_b32_e32 v15, 0xff, v15
	v_cndmask_b32_e64 v5, v5, v15, s[2:3]
	s_waitcnt lgkmcnt(1)
	v_and_b32_e32 v15, 0xff, v16
	ds_bpermute_b32 v16, v7, v1
	v_cndmask_b32_e64 v5, v5, v15, s[0:1]
	s_waitcnt lgkmcnt(1)
	v_perm_b32 v15, v17, v5, s34
	v_cndmask_b32_e32 v5, v5, v15, vcc
	ds_bpermute_b32 v15, v7, v2
	s_waitcnt lgkmcnt(1)
	v_lshlrev_b16_e32 v16, 8, v16
	v_or_b32_sdwa v16, v5, v16 dst_sel:DWORD dst_unused:UNUSED_PAD src0_sel:BYTE_0 src1_sel:DWORD
	v_and_b32_e32 v16, 0xffff, v16
	v_cndmask_b32_e64 v5, v5, v16, s[4:5]
	ds_bpermute_b32 v16, v7, v4
	s_waitcnt lgkmcnt(1)
	v_lshlrev_b16_e32 v15, 8, v15
	v_or_b32_sdwa v15, v5, v15 dst_sel:DWORD dst_unused:UNUSED_PAD src0_sel:BYTE_0 src1_sel:DWORD
	v_and_b32_e32 v15, 0xffff, v15
	v_and_or_b32 v15, v5, s35, v15
	v_cndmask_b32_e64 v5, v5, v15, s[2:3]
	s_waitcnt lgkmcnt(0)
	v_lshlrev_b16_e32 v15, 8, v16
	ds_bpermute_b32 v16, v7, v14
	v_or_b32_sdwa v15, v5, v15 dst_sel:DWORD dst_unused:UNUSED_PAD src0_sel:BYTE_0 src1_sel:DWORD
	v_and_b32_e32 v15, 0xffff, v15
	v_and_or_b32 v15, v5, s35, v15
	v_cndmask_b32_e64 v5, v5, v15, s[0:1]
	s_waitcnt lgkmcnt(0)
	v_lshlrev_b16_e32 v15, 8, v16
	ds_bpermute_b32 v16, v8, v1
	v_or_b32_sdwa v15, v5, v15 dst_sel:DWORD dst_unused:UNUSED_PAD src0_sel:BYTE_0 src1_sel:DWORD
	v_and_b32_e32 v15, 0xffff, v15
	v_and_or_b32 v15, v5, s35, v15
	v_cndmask_b32_e32 v5, v5, v15, vcc
	ds_bpermute_b32 v15, v8, v2
	s_waitcnt lgkmcnt(1)
	v_perm_b32 v16, v16, v5, s36
	v_lshlrev_b32_e32 v16, 16, v16
	v_and_or_b32 v16, v5, s30, v16
	v_cndmask_b32_e64 v5, v5, v16, s[4:5]
	ds_bpermute_b32 v16, v8, v4
	s_waitcnt lgkmcnt(1)
	v_perm_b32 v15, v15, v5, s36
	v_lshlrev_b32_e32 v15, 16, v15
	v_and_or_b32 v15, v5, s30, v15
	v_cndmask_b32_e64 v5, v5, v15, s[2:3]
	;; [unrolled: 6-line block ×3, first 2 shown]
	ds_bpermute_b32 v1, v9, v1
	s_waitcnt lgkmcnt(1)
	v_perm_b32 v15, v15, v5, s36
	v_lshlrev_b32_e32 v15, 16, v15
	v_and_or_b32 v15, v5, s30, v15
	v_cndmask_b32_e32 v5, v5, v15, vcc
	ds_bpermute_b32 v2, v9, v2
	v_and_b32_sdwa v15, v5, s33 dst_sel:DWORD dst_unused:UNUSED_PAD src0_sel:WORD_1 src1_sel:DWORD
	s_waitcnt lgkmcnt(1)
	v_lshlrev_b16_e32 v1, 8, v1
	v_or_b32_sdwa v1, v15, v1 dst_sel:WORD_1 dst_unused:UNUSED_PAD src0_sel:DWORD src1_sel:DWORD
	v_and_or_b32 v1, v5, s30, v1
	v_cndmask_b32_e64 v1, v5, v1, s[4:5]
	ds_bpermute_b32 v4, v9, v4
	v_and_b32_sdwa v5, v1, s33 dst_sel:DWORD dst_unused:UNUSED_PAD src0_sel:WORD_1 src1_sel:DWORD
	s_waitcnt lgkmcnt(1)
	v_lshlrev_b16_e32 v2, 8, v2
	v_or_b32_sdwa v2, v5, v2 dst_sel:WORD_1 dst_unused:UNUSED_PAD src0_sel:DWORD src1_sel:DWORD
	v_and_or_b32 v2, v1, s30, v2
	v_cndmask_b32_e64 v1, v1, v2, s[2:3]
	;; [unrolled: 7-line block ×3, first 2 shown]
	v_and_b32_sdwa v2, v1, s33 dst_sel:DWORD dst_unused:UNUSED_PAD src0_sel:WORD_1 src1_sel:DWORD
	s_waitcnt lgkmcnt(0)
	v_lshlrev_b16_e32 v4, 8, v5
	v_or_b32_sdwa v2, v2, v4 dst_sel:WORD_1 dst_unused:UNUSED_PAD src0_sel:DWORD src1_sel:DWORD
	v_and_or_b32 v2, v1, s30, v2
	v_cndmask_b32_e32 v14, v1, v2, vcc
	v_and_b32_e32 v1, 0xff, v14
	v_lshl_add_u32 v15, v1, 2, v11
	v_and_b32_e32 v1, 1, v14
	v_add_co_u32_e64 v2, s[20:21], -1, v1
	v_addc_co_u32_e64 v4, s[20:21], 0, -1, s[20:21]
	v_cmp_ne_u32_e64 s[20:21], 0, v1
	v_xor_b32_e32 v1, s21, v4
	v_lshlrev_b32_e32 v4, 30, v14
	v_xor_b32_e32 v2, s20, v2
	v_cmp_gt_i64_e64 s[20:21], 0, v[3:4]
	v_not_b32_e32 v4, v4
	v_ashrrev_i32_e32 v4, 31, v4
	v_and_b32_e32 v2, exec_lo, v2
	v_xor_b32_e32 v5, s21, v4
	v_xor_b32_e32 v4, s20, v4
	v_and_b32_e32 v2, v2, v4
	v_lshlrev_b32_e32 v4, 29, v14
	v_cmp_gt_i64_e64 s[20:21], 0, v[3:4]
	v_not_b32_e32 v4, v4
	v_and_b32_e32 v1, exec_hi, v1
	v_ashrrev_i32_e32 v4, 31, v4
	v_and_b32_e32 v1, v1, v5
	v_xor_b32_e32 v5, s21, v4
	v_xor_b32_e32 v4, s20, v4
	v_and_b32_e32 v2, v2, v4
	v_lshlrev_b32_e32 v4, 28, v14
	v_cmp_gt_i64_e64 s[20:21], 0, v[3:4]
	v_not_b32_e32 v4, v4
	v_ashrrev_i32_e32 v4, 31, v4
	v_and_b32_e32 v1, v1, v5
	v_xor_b32_e32 v5, s21, v4
	v_xor_b32_e32 v4, s20, v4
	v_and_b32_e32 v2, v2, v4
	v_lshlrev_b32_e32 v4, 27, v14
	v_cmp_gt_i64_e64 s[20:21], 0, v[3:4]
	v_not_b32_e32 v4, v4
	;; [unrolled: 8-line block ×4, first 2 shown]
	v_ashrrev_i32_e32 v4, 31, v4
	v_and_b32_e32 v1, v1, v5
	v_xor_b32_e32 v5, s21, v4
	v_xor_b32_e32 v4, s20, v4
	v_and_b32_e32 v1, v1, v5
	v_and_b32_e32 v5, v2, v4
	v_lshlrev_b32_e32 v4, 24, v14
	v_cmp_gt_i64_e64 s[20:21], 0, v[3:4]
	v_not_b32_e32 v2, v4
	v_ashrrev_i32_e32 v2, 31, v2
	v_xor_b32_e32 v4, s21, v2
	v_xor_b32_e32 v16, s20, v2
	v_and_b32_e32 v2, v1, v4
	v_and_b32_e32 v1, v5, v16
	v_mbcnt_lo_u32_b32 v4, v1, 0
	v_mbcnt_hi_u32_b32 v16, v2, v4
	v_cmp_ne_u64_e64 s[20:21], 0, v[1:2]
	v_cmp_eq_u32_e64 s[22:23], 0, v16
	s_and_b64 s[22:23], s[22:23], s[20:21]
	; wave barrier
	ds_write2_b32 v10, v3, v3 offset0:1 offset1:2
	ds_write2_b32 v10, v3, v3 offset0:3 offset1:4
	s_waitcnt lgkmcnt(0)
	; wave barrier
	; wave barrier
	s_and_saveexec_b64 s[20:21], s[22:23]
; %bb.3:                                ;   in Loop: Header=BB52_2 Depth=1
	v_bcnt_u32_b32 v1, v1, 0
	v_bcnt_u32_b32 v1, v2, v1
	ds_write_b32 v15, v1 offset:4
; %bb.4:                                ;   in Loop: Header=BB52_2 Depth=1
	s_or_b64 exec, exec, s[20:21]
	v_bfe_u32 v1, v14, 8, 8
	v_lshl_add_u32 v19, v1, 2, v11
	v_bfe_u32 v1, v14, 8, 1
	v_add_co_u32_e64 v2, s[20:21], -1, v1
	v_addc_co_u32_e64 v4, s[20:21], 0, -1, s[20:21]
	v_lshrrev_b32_e32 v17, 8, v14
	v_cmp_ne_u32_e64 s[20:21], 0, v1
	v_xor_b32_e32 v1, s21, v4
	v_lshlrev_b32_e32 v4, 30, v17
	v_xor_b32_e32 v2, s20, v2
	v_cmp_gt_i64_e64 s[20:21], 0, v[3:4]
	v_not_b32_e32 v4, v4
	v_ashrrev_i32_e32 v4, 31, v4
	v_and_b32_e32 v2, exec_lo, v2
	v_xor_b32_e32 v5, s21, v4
	v_xor_b32_e32 v4, s20, v4
	v_and_b32_e32 v2, v2, v4
	v_lshlrev_b32_e32 v4, 29, v17
	v_cmp_gt_i64_e64 s[20:21], 0, v[3:4]
	v_not_b32_e32 v4, v4
	v_and_b32_e32 v1, exec_hi, v1
	v_ashrrev_i32_e32 v4, 31, v4
	v_and_b32_e32 v1, v1, v5
	v_xor_b32_e32 v5, s21, v4
	v_xor_b32_e32 v4, s20, v4
	v_and_b32_e32 v2, v2, v4
	v_lshlrev_b32_e32 v4, 28, v17
	v_cmp_gt_i64_e64 s[20:21], 0, v[3:4]
	v_not_b32_e32 v4, v4
	v_ashrrev_i32_e32 v4, 31, v4
	v_and_b32_e32 v1, v1, v5
	v_xor_b32_e32 v5, s21, v4
	v_xor_b32_e32 v4, s20, v4
	v_and_b32_e32 v2, v2, v4
	v_lshlrev_b32_e32 v4, 27, v17
	v_cmp_gt_i64_e64 s[20:21], 0, v[3:4]
	v_not_b32_e32 v4, v4
	;; [unrolled: 8-line block ×4, first 2 shown]
	v_ashrrev_i32_e32 v4, 31, v4
	v_and_b32_e32 v1, v1, v5
	v_xor_b32_e32 v5, s21, v4
	v_xor_b32_e32 v4, s20, v4
	v_and_b32_e32 v1, v1, v5
	v_and_b32_e32 v5, v2, v4
	v_lshlrev_b32_e32 v4, 24, v17
	v_cmp_gt_i64_e64 s[20:21], 0, v[3:4]
	v_not_b32_e32 v2, v4
	v_ashrrev_i32_e32 v2, 31, v2
	v_xor_b32_e32 v4, s21, v2
	v_xor_b32_e32 v20, s20, v2
	; wave barrier
	ds_read_b32 v18, v19 offset:4
	v_and_b32_e32 v2, v1, v4
	v_and_b32_e32 v1, v5, v20
	v_mbcnt_lo_u32_b32 v4, v1, 0
	v_mbcnt_hi_u32_b32 v20, v2, v4
	v_cmp_ne_u64_e64 s[20:21], 0, v[1:2]
	v_cmp_eq_u32_e64 s[22:23], 0, v20
	s_and_b64 s[22:23], s[20:21], s[22:23]
	; wave barrier
	s_and_saveexec_b64 s[20:21], s[22:23]
	s_cbranch_execz .LBB52_6
; %bb.5:                                ;   in Loop: Header=BB52_2 Depth=1
	v_bcnt_u32_b32 v1, v1, 0
	v_bcnt_u32_b32 v1, v2, v1
	s_waitcnt lgkmcnt(0)
	v_add_u32_e32 v1, v18, v1
	ds_write_b32 v19, v1 offset:4
.LBB52_6:                               ;   in Loop: Header=BB52_2 Depth=1
	s_or_b64 exec, exec, s[20:21]
	v_bfe_u32 v1, v14, 16, 8
	v_lshl_add_u32 v23, v1, 2, v11
	v_bfe_u32 v1, v14, 16, 1
	v_add_co_u32_e64 v2, s[20:21], -1, v1
	v_addc_co_u32_e64 v4, s[20:21], 0, -1, s[20:21]
	v_lshrrev_b32_e32 v21, 16, v14
	v_cmp_ne_u32_e64 s[20:21], 0, v1
	v_xor_b32_e32 v1, s21, v4
	v_lshlrev_b32_e32 v4, 30, v21
	v_xor_b32_e32 v2, s20, v2
	v_cmp_gt_i64_e64 s[20:21], 0, v[3:4]
	v_not_b32_e32 v4, v4
	v_ashrrev_i32_e32 v4, 31, v4
	v_and_b32_e32 v2, exec_lo, v2
	v_xor_b32_e32 v5, s21, v4
	v_xor_b32_e32 v4, s20, v4
	v_and_b32_e32 v2, v2, v4
	v_lshlrev_b32_e32 v4, 29, v21
	v_cmp_gt_i64_e64 s[20:21], 0, v[3:4]
	v_not_b32_e32 v4, v4
	v_and_b32_e32 v1, exec_hi, v1
	v_ashrrev_i32_e32 v4, 31, v4
	v_and_b32_e32 v1, v1, v5
	v_xor_b32_e32 v5, s21, v4
	v_xor_b32_e32 v4, s20, v4
	v_and_b32_e32 v2, v2, v4
	v_lshlrev_b32_e32 v4, 28, v21
	v_cmp_gt_i64_e64 s[20:21], 0, v[3:4]
	v_not_b32_e32 v4, v4
	v_ashrrev_i32_e32 v4, 31, v4
	v_and_b32_e32 v1, v1, v5
	v_xor_b32_e32 v5, s21, v4
	v_xor_b32_e32 v4, s20, v4
	v_and_b32_e32 v2, v2, v4
	v_lshlrev_b32_e32 v4, 27, v21
	v_cmp_gt_i64_e64 s[20:21], 0, v[3:4]
	v_not_b32_e32 v4, v4
	;; [unrolled: 8-line block ×4, first 2 shown]
	v_ashrrev_i32_e32 v4, 31, v4
	v_and_b32_e32 v1, v1, v5
	v_xor_b32_e32 v5, s21, v4
	v_xor_b32_e32 v4, s20, v4
	v_and_b32_e32 v1, v1, v5
	v_and_b32_e32 v5, v2, v4
	v_lshlrev_b32_e32 v4, 24, v21
	v_cmp_gt_i64_e64 s[20:21], 0, v[3:4]
	v_not_b32_e32 v2, v4
	v_ashrrev_i32_e32 v2, 31, v2
	v_xor_b32_e32 v4, s21, v2
	v_xor_b32_e32 v24, s20, v2
	; wave barrier
	ds_read_b32 v22, v23 offset:4
	v_and_b32_e32 v2, v1, v4
	v_and_b32_e32 v1, v5, v24
	v_mbcnt_lo_u32_b32 v4, v1, 0
	v_mbcnt_hi_u32_b32 v24, v2, v4
	v_cmp_ne_u64_e64 s[20:21], 0, v[1:2]
	v_cmp_eq_u32_e64 s[22:23], 0, v24
	s_and_b64 s[22:23], s[20:21], s[22:23]
	; wave barrier
	s_and_saveexec_b64 s[20:21], s[22:23]
	s_cbranch_execz .LBB52_8
; %bb.7:                                ;   in Loop: Header=BB52_2 Depth=1
	v_bcnt_u32_b32 v1, v1, 0
	v_bcnt_u32_b32 v1, v2, v1
	s_waitcnt lgkmcnt(0)
	v_add_u32_e32 v1, v22, v1
	ds_write_b32 v23, v1 offset:4
.LBB52_8:                               ;   in Loop: Header=BB52_2 Depth=1
	s_or_b64 exec, exec, s[20:21]
	v_bfe_u32 v1, v14, 24, 1
	v_add_co_u32_e64 v2, s[20:21], -1, v1
	v_addc_co_u32_e64 v4, s[20:21], 0, -1, s[20:21]
	v_lshrrev_b32_e32 v25, 24, v14
	v_cmp_ne_u32_e64 s[20:21], 0, v1
	v_xor_b32_e32 v1, s21, v4
	v_lshlrev_b32_e32 v4, 30, v25
	v_xor_b32_e32 v2, s20, v2
	v_cmp_gt_i64_e64 s[20:21], 0, v[3:4]
	v_not_b32_e32 v4, v4
	v_ashrrev_i32_e32 v4, 31, v4
	v_and_b32_e32 v2, exec_lo, v2
	v_xor_b32_e32 v5, s21, v4
	v_xor_b32_e32 v4, s20, v4
	v_and_b32_e32 v2, v2, v4
	v_lshlrev_b32_e32 v4, 29, v25
	v_cmp_gt_i64_e64 s[20:21], 0, v[3:4]
	v_not_b32_e32 v4, v4
	v_and_b32_e32 v1, exec_hi, v1
	v_ashrrev_i32_e32 v4, 31, v4
	v_and_b32_e32 v1, v1, v5
	v_xor_b32_e32 v5, s21, v4
	v_xor_b32_e32 v4, s20, v4
	v_and_b32_e32 v2, v2, v4
	v_lshlrev_b32_e32 v4, 28, v25
	v_cmp_gt_i64_e64 s[20:21], 0, v[3:4]
	v_not_b32_e32 v4, v4
	v_ashrrev_i32_e32 v4, 31, v4
	v_and_b32_e32 v1, v1, v5
	v_xor_b32_e32 v5, s21, v4
	v_xor_b32_e32 v4, s20, v4
	v_and_b32_e32 v2, v2, v4
	v_lshlrev_b32_e32 v4, 27, v25
	v_cmp_gt_i64_e64 s[20:21], 0, v[3:4]
	v_not_b32_e32 v4, v4
	;; [unrolled: 8-line block ×4, first 2 shown]
	v_ashrrev_i32_e32 v4, 31, v4
	v_and_b32_e32 v1, v1, v5
	v_xor_b32_e32 v5, s21, v4
	v_xor_b32_e32 v4, s20, v4
	v_and_b32_e32 v1, v1, v5
	v_and_b32_e32 v5, v2, v4
	;; [unrolled: 1-line block ×3, first 2 shown]
	v_cmp_gt_i64_e64 s[20:21], 0, v[3:4]
	v_not_b32_e32 v2, v4
	v_ashrrev_i32_e32 v2, 31, v2
	v_lshl_add_u32 v27, v25, 2, v11
	v_xor_b32_e32 v4, s21, v2
	v_xor_b32_e32 v28, s20, v2
	; wave barrier
	ds_read_b32 v26, v27 offset:4
	v_and_b32_e32 v2, v1, v4
	v_and_b32_e32 v1, v5, v28
	v_mbcnt_lo_u32_b32 v4, v1, 0
	v_mbcnt_hi_u32_b32 v28, v2, v4
	v_cmp_ne_u64_e64 s[20:21], 0, v[1:2]
	v_cmp_eq_u32_e64 s[22:23], 0, v28
	s_and_b64 s[22:23], s[20:21], s[22:23]
	; wave barrier
	s_and_saveexec_b64 s[20:21], s[22:23]
	s_cbranch_execz .LBB52_10
; %bb.9:                                ;   in Loop: Header=BB52_2 Depth=1
	v_bcnt_u32_b32 v1, v1, 0
	v_bcnt_u32_b32 v1, v2, v1
	s_waitcnt lgkmcnt(0)
	v_add_u32_e32 v1, v26, v1
	ds_write_b32 v27, v1 offset:4
.LBB52_10:                              ;   in Loop: Header=BB52_2 Depth=1
	s_or_b64 exec, exec, s[20:21]
	; wave barrier
	s_waitcnt lgkmcnt(0)
	; wave barrier
	ds_read2_b32 v[4:5], v10 offset0:1 offset1:2
	ds_read2_b32 v[1:2], v10 offset0:3 offset1:4
	s_waitcnt lgkmcnt(1)
	v_add_u32_e32 v29, v5, v4
	s_waitcnt lgkmcnt(0)
	v_add3_u32 v2, v29, v1, v2
	s_nop 1
	v_mov_b32_dpp v29, v2 row_shr:1 row_mask:0xf bank_mask:0xf
	v_cndmask_b32_e64 v29, v29, 0, s[6:7]
	v_add_u32_e32 v2, v29, v2
	s_nop 1
	v_mov_b32_dpp v29, v2 row_shr:2 row_mask:0xf bank_mask:0xf
	v_cndmask_b32_e64 v29, 0, v29, s[8:9]
	v_add_u32_e32 v2, v2, v29
	;; [unrolled: 4-line block ×4, first 2 shown]
	s_nop 1
	v_mov_b32_dpp v29, v2 row_bcast:15 row_mask:0xf bank_mask:0xf
	v_cndmask_b32_e64 v29, v29, 0, s[14:15]
	v_add_u32_e32 v2, v2, v29
	s_nop 1
	v_mov_b32_dpp v29, v2 row_bcast:31 row_mask:0xf bank_mask:0xf
	v_cndmask_b32_e64 v29, 0, v29, s[16:17]
	v_add_u32_e32 v2, v2, v29
	s_and_saveexec_b64 s[20:21], s[18:19]
	s_cbranch_execz .LBB52_1
; %bb.11:                               ;   in Loop: Header=BB52_2 Depth=1
	ds_write_b32 v3, v2
	s_branch .LBB52_1
.LBB52_12:
	s_add_u32 s0, s26, s28
	s_addc_u32 s1, s27, 0
	v_mov_b32_e32 v3, s1
	v_add_co_u32_e32 v2, vcc, s0, v0
	v_addc_co_u32_e32 v3, vcc, 0, v3, vcc
	v_lshrrev_b32_e32 v0, 8, v1
	global_store_byte v[2:3], v1, off
	global_store_byte v[2:3], v0, off offset:64
	global_store_byte_d16_hi v[2:3], v1, off offset:128
	v_lshrrev_b32_e32 v0, 24, v1
	global_store_byte v[2:3], v0, off offset:192
	s_endpgm
	.section	.rodata,"a",@progbits
	.p2align	6, 0x0
	.amdhsa_kernel _Z16sort_keys_kernelI22helper_blocked_blockedaLj64ELj4ELj10EEvPKT0_PS1_
		.amdhsa_group_segment_fixed_size 1040
		.amdhsa_private_segment_fixed_size 0
		.amdhsa_kernarg_size 272
		.amdhsa_user_sgpr_count 6
		.amdhsa_user_sgpr_private_segment_buffer 1
		.amdhsa_user_sgpr_dispatch_ptr 0
		.amdhsa_user_sgpr_queue_ptr 0
		.amdhsa_user_sgpr_kernarg_segment_ptr 1
		.amdhsa_user_sgpr_dispatch_id 0
		.amdhsa_user_sgpr_flat_scratch_init 0
		.amdhsa_user_sgpr_private_segment_size 0
		.amdhsa_uses_dynamic_stack 0
		.amdhsa_system_sgpr_private_segment_wavefront_offset 0
		.amdhsa_system_sgpr_workgroup_id_x 1
		.amdhsa_system_sgpr_workgroup_id_y 0
		.amdhsa_system_sgpr_workgroup_id_z 0
		.amdhsa_system_sgpr_workgroup_info 0
		.amdhsa_system_vgpr_workitem_id 2
		.amdhsa_next_free_vgpr 30
		.amdhsa_next_free_sgpr 38
		.amdhsa_reserve_vcc 1
		.amdhsa_reserve_flat_scratch 0
		.amdhsa_float_round_mode_32 0
		.amdhsa_float_round_mode_16_64 0
		.amdhsa_float_denorm_mode_32 3
		.amdhsa_float_denorm_mode_16_64 3
		.amdhsa_dx10_clamp 1
		.amdhsa_ieee_mode 1
		.amdhsa_fp16_overflow 0
		.amdhsa_exception_fp_ieee_invalid_op 0
		.amdhsa_exception_fp_denorm_src 0
		.amdhsa_exception_fp_ieee_div_zero 0
		.amdhsa_exception_fp_ieee_overflow 0
		.amdhsa_exception_fp_ieee_underflow 0
		.amdhsa_exception_fp_ieee_inexact 0
		.amdhsa_exception_int_div_zero 0
	.end_amdhsa_kernel
	.section	.text._Z16sort_keys_kernelI22helper_blocked_blockedaLj64ELj4ELj10EEvPKT0_PS1_,"axG",@progbits,_Z16sort_keys_kernelI22helper_blocked_blockedaLj64ELj4ELj10EEvPKT0_PS1_,comdat
.Lfunc_end52:
	.size	_Z16sort_keys_kernelI22helper_blocked_blockedaLj64ELj4ELj10EEvPKT0_PS1_, .Lfunc_end52-_Z16sort_keys_kernelI22helper_blocked_blockedaLj64ELj4ELj10EEvPKT0_PS1_
                                        ; -- End function
	.set _Z16sort_keys_kernelI22helper_blocked_blockedaLj64ELj4ELj10EEvPKT0_PS1_.num_vgpr, 30
	.set _Z16sort_keys_kernelI22helper_blocked_blockedaLj64ELj4ELj10EEvPKT0_PS1_.num_agpr, 0
	.set _Z16sort_keys_kernelI22helper_blocked_blockedaLj64ELj4ELj10EEvPKT0_PS1_.numbered_sgpr, 38
	.set _Z16sort_keys_kernelI22helper_blocked_blockedaLj64ELj4ELj10EEvPKT0_PS1_.num_named_barrier, 0
	.set _Z16sort_keys_kernelI22helper_blocked_blockedaLj64ELj4ELj10EEvPKT0_PS1_.private_seg_size, 0
	.set _Z16sort_keys_kernelI22helper_blocked_blockedaLj64ELj4ELj10EEvPKT0_PS1_.uses_vcc, 1
	.set _Z16sort_keys_kernelI22helper_blocked_blockedaLj64ELj4ELj10EEvPKT0_PS1_.uses_flat_scratch, 0
	.set _Z16sort_keys_kernelI22helper_blocked_blockedaLj64ELj4ELj10EEvPKT0_PS1_.has_dyn_sized_stack, 0
	.set _Z16sort_keys_kernelI22helper_blocked_blockedaLj64ELj4ELj10EEvPKT0_PS1_.has_recursion, 0
	.set _Z16sort_keys_kernelI22helper_blocked_blockedaLj64ELj4ELj10EEvPKT0_PS1_.has_indirect_call, 0
	.section	.AMDGPU.csdata,"",@progbits
; Kernel info:
; codeLenInByte = 3216
; TotalNumSgprs: 42
; NumVgprs: 30
; ScratchSize: 0
; MemoryBound: 0
; FloatMode: 240
; IeeeMode: 1
; LDSByteSize: 1040 bytes/workgroup (compile time only)
; SGPRBlocks: 5
; VGPRBlocks: 7
; NumSGPRsForWavesPerEU: 42
; NumVGPRsForWavesPerEU: 30
; Occupancy: 8
; WaveLimiterHint : 0
; COMPUTE_PGM_RSRC2:SCRATCH_EN: 0
; COMPUTE_PGM_RSRC2:USER_SGPR: 6
; COMPUTE_PGM_RSRC2:TRAP_HANDLER: 0
; COMPUTE_PGM_RSRC2:TGID_X_EN: 1
; COMPUTE_PGM_RSRC2:TGID_Y_EN: 0
; COMPUTE_PGM_RSRC2:TGID_Z_EN: 0
; COMPUTE_PGM_RSRC2:TIDIG_COMP_CNT: 2
	.section	.text._Z17sort_pairs_kernelI22helper_blocked_blockedaLj64ELj4ELj10EEvPKT0_PS1_,"axG",@progbits,_Z17sort_pairs_kernelI22helper_blocked_blockedaLj64ELj4ELj10EEvPKT0_PS1_,comdat
	.protected	_Z17sort_pairs_kernelI22helper_blocked_blockedaLj64ELj4ELj10EEvPKT0_PS1_ ; -- Begin function _Z17sort_pairs_kernelI22helper_blocked_blockedaLj64ELj4ELj10EEvPKT0_PS1_
	.globl	_Z17sort_pairs_kernelI22helper_blocked_blockedaLj64ELj4ELj10EEvPKT0_PS1_
	.p2align	8
	.type	_Z17sort_pairs_kernelI22helper_blocked_blockedaLj64ELj4ELj10EEvPKT0_PS1_,@function
_Z17sort_pairs_kernelI22helper_blocked_blockedaLj64ELj4ELj10EEvPKT0_PS1_: ; @_Z17sort_pairs_kernelI22helper_blocked_blockedaLj64ELj4ELj10EEvPKT0_PS1_
; %bb.0:
	s_load_dwordx4 s[24:27], s[4:5], 0x0
	s_load_dword s39, s[4:5], 0x1c
	s_lshl_b32 s28, s6, 8
	v_mbcnt_lo_u32_b32 v6, -1, 0
	v_mbcnt_hi_u32_b32 v8, -1, v6
	s_waitcnt lgkmcnt(0)
	s_add_u32 s0, s24, s28
	s_addc_u32 s1, s25, 0
	global_load_ubyte v5, v0, s[0:1]
	global_load_ubyte v14, v0, s[0:1] offset:64
	global_load_ubyte v4, v0, s[0:1] offset:128
	;; [unrolled: 1-line block ×3, first 2 shown]
	s_lshr_b32 s41, s39, 16
	v_lshrrev_b32_e32 v9, 2, v8
	v_and_b32_e32 v10, 3, v8
	v_and_b32_e32 v11, 64, v8
	v_subrev_co_u32_e64 v16, s[22:23], 1, v8
	s_and_b32 s39, s39, 0xffff
	v_mad_u32_u24 v1, v2, s41, v1
	v_and_b32_e32 v12, 15, v8
	v_and_b32_e32 v13, 16, v8
	v_cmp_eq_u32_e64 s[4:5], 3, v10
	v_cmp_eq_u32_e64 s[6:7], 2, v10
	v_cmp_eq_u32_e64 s[8:9], 1, v10
	v_cmp_eq_u32_e32 vcc, 0, v10
	v_or_b32_e32 v10, v9, v11
	v_add_u32_e32 v9, 48, v9
	v_cmp_lt_i32_e64 s[24:25], v16, v11
	v_mad_u32_u24 v1, v1, s39, v0
	v_cmp_eq_u32_e64 s[10:11], 0, v12
	v_cmp_lt_u32_e64 s[12:13], 1, v12
	v_cmp_lt_u32_e64 s[14:15], 3, v12
	v_cmp_lt_u32_e64 s[16:17], 7, v12
	v_cmp_eq_u32_e64 s[18:19], 0, v13
	v_cndmask_b32_e64 v12, v16, v8, s[24:25]
	v_and_or_b32 v13, v9, 63, v11
	v_lshrrev_b32_e32 v1, 4, v1
	v_lshlrev_b32_e32 v9, 2, v12
	v_lshlrev_b32_e32 v12, 2, v13
	v_and_b32_e32 v13, 0xffffffc, v1
	s_movk_i32 s40, 0x100
	v_lshlrev_b32_e32 v6, 4, v0
	v_cmp_eq_u32_e64 s[20:21], 0, v0
	v_mul_i32_i24_e32 v7, -12, v0
	v_cmp_lt_u32_e64 s[2:3], 31, v8
	v_lshlrev_b32_e32 v8, 2, v10
	v_mov_b32_e32 v3, 0
	s_movk_i32 s29, 0xff
	s_movk_i32 s30, 0x80
	s_mov_b32 s31, 0xffff
	s_mov_b32 s33, 10
	;; [unrolled: 1-line block ×7, first 2 shown]
	v_cmp_eq_u32_e64 s[0:1], 63, v0
	v_add_u32_e32 v7, v6, v7
	v_add_u32_e32 v10, 64, v8
	v_or_b32_e32 v11, 0x80, v8
	s_or_b64 s[24:25], s[20:21], s[22:23]
	s_movk_i32 s39, 0xff00
	s_waitcnt vmcnt(3)
	v_add_u16_e32 v1, 1, v5
	s_waitcnt vmcnt(2)
	v_lshlrev_b16_e32 v2, 8, v14
	s_waitcnt vmcnt(1)
	v_add_u16_e32 v16, 1, v4
	s_waitcnt vmcnt(0)
	v_lshlrev_b16_e32 v17, 8, v15
	v_or_b32_sdwa v1, v2, v1 dst_sel:DWORD dst_unused:UNUSED_PAD src0_sel:DWORD src1_sel:BYTE_0
	v_or_b32_sdwa v2, v17, v16 dst_sel:DWORD dst_unused:UNUSED_PAD src0_sel:DWORD src1_sel:BYTE_0
	v_add_u16_e32 v1, 0x100, v1
	v_add_u16_sdwa v2, v2, s40 dst_sel:WORD_1 dst_unused:UNUSED_PAD src0_sel:DWORD src1_sel:DWORD
	v_or_b32_e32 v1, v1, v2
	s_branch .LBB53_2
.LBB53_1:                               ;   in Loop: Header=BB53_2 Depth=1
	s_or_b64 exec, exec, s[20:21]
	v_cndmask_b32_sdwa v15, v3, v15, vcc dst_sel:DWORD dst_unused:UNUSED_PAD src0_sel:DWORD src1_sel:BYTE_0
	v_and_b32_e32 v17, 0xff, v17
	v_cndmask_b32_e64 v15, v15, v17, s[8:9]
	v_and_b32_e32 v17, 0xff, v34
	v_cndmask_b32_e64 v15, v15, v17, s[6:7]
	v_perm_b32 v17, v35, v15, s34
	v_cndmask_b32_e64 v15, v15, v17, s[4:5]
	v_perm_b32 v16, v15, v16, s37
	v_cndmask_b32_e32 v15, v15, v16, vcc
	v_perm_b32 v16, v15, v31, s37
	v_cndmask_b32_e64 v15, v15, v16, s[8:9]
	v_perm_b32 v16, v15, v32, s37
	v_cndmask_b32_e64 v15, v15, v16, s[6:7]
	;; [unrolled: 2-line block ×3, first 2 shown]
	v_perm_b32 v16, v30, v15, s36
	v_lshlrev_b32_e32 v16, 16, v16
	v_and_or_b32 v16, v15, s31, v16
	v_cndmask_b32_e32 v15, v15, v16, vcc
	v_perm_b32 v16, v27, v15, s36
	v_lshlrev_b32_e32 v16, 16, v16
	v_and_or_b32 v16, v15, s31, v16
	v_cndmask_b32_e64 v15, v15, v16, s[8:9]
	v_perm_b32 v16, v28, v15, s36
	v_lshlrev_b32_e32 v16, 16, v16
	v_and_or_b32 v16, v15, s31, v16
	v_cndmask_b32_e64 v15, v15, v16, s[6:7]
	v_perm_b32 v16, v29, v15, s36
	ds_bpermute_b32 v5, v9, v5
	v_lshlrev_b32_e32 v16, 16, v16
	v_and_or_b32 v16, v15, s31, v16
	v_cndmask_b32_e64 v15, v15, v16, s[4:5]
	v_perm_b32 v16, v15, v24, s38
	v_lshlrev_b32_e32 v16, 16, v16
	s_waitcnt lgkmcnt(0)
	v_cndmask_b32_e64 v5, v5, 0, s[24:25]
	v_and_or_b32 v16, v15, s31, v16
	v_add_u32_e32 v1, v5, v1
	v_cndmask_b32_e32 v15, v15, v16, vcc
	v_add_u32_e32 v2, v1, v2
	v_perm_b32 v16, v15, v21, s38
	v_add_u32_e32 v4, v2, v4
	v_lshlrev_b32_e32 v16, 16, v16
	; wave barrier
	ds_write2_b32 v6, v5, v1 offset0:1 offset1:2
	ds_write2_b32 v6, v2, v4 offset0:3 offset1:4
	s_waitcnt lgkmcnt(0)
	; wave barrier
	ds_read_b32 v1, v18 offset:4
	ds_read_b32 v2, v26 offset:4
	;; [unrolled: 1-line block ×4, first 2 shown]
	v_and_or_b32 v16, v15, s31, v16
	v_cndmask_b32_e64 v15, v15, v16, s[8:9]
	v_perm_b32 v16, v15, v22, s38
	v_lshlrev_b32_e32 v16, 16, v16
	v_and_or_b32 v16, v15, s31, v16
	s_waitcnt lgkmcnt(3)
	v_add_u32_e32 v1, v1, v19
	s_waitcnt lgkmcnt(2)
	v_add3_u32 v2, v36, v25, v2
	s_waitcnt lgkmcnt(1)
	v_add3_u32 v4, v40, v38, v4
	;; [unrolled: 2-line block ×3, first 2 shown]
	v_cndmask_b32_e64 v15, v15, v16, s[6:7]
	; wave barrier
	ds_write_b8 v1, v14
	ds_write_b8 v2, v20
	ds_write_b8 v4, v37
	ds_write_b8 v5, v41
	s_waitcnt lgkmcnt(0)
	; wave barrier
	ds_read_b32 v14, v7
	v_perm_b32 v16, v15, v23, s38
	v_lshlrev_b32_e32 v16, 16, v16
	v_and_or_b32 v16, v15, s31, v16
	v_cndmask_b32_e64 v15, v15, v16, s[4:5]
	v_lshrrev_b32_e32 v16, 8, v15
	v_lshrrev_b32_e32 v17, 24, v15
	s_waitcnt lgkmcnt(0)
	; wave barrier
	ds_write_b8 v1, v15
	ds_write_b8 v2, v16
	ds_write_b8_d16_hi v4, v15
	ds_write_b8 v5, v17
	v_and_b32_e32 v2, 0xffffff00, v14
	v_xor_b32_e32 v4, 0x80, v14
	v_or_b32_sdwa v2, v4, v2 dst_sel:DWORD dst_unused:UNUSED_PAD src0_sel:BYTE_0 src1_sel:DWORD
	v_add_u16_e32 v5, 0x8000, v2
	v_and_b32_sdwa v2, v14, s39 dst_sel:DWORD dst_unused:UNUSED_PAD src0_sel:WORD_1 src1_sel:DWORD
	v_xor_b32_sdwa v4, v14, s30 dst_sel:DWORD dst_unused:UNUSED_PAD src0_sel:WORD_1 src1_sel:DWORD
	s_waitcnt lgkmcnt(0)
	; wave barrier
	ds_read_b32 v1, v7
	v_or_b32_sdwa v2, v4, v2 dst_sel:DWORD dst_unused:UNUSED_PAD src0_sel:BYTE_0 src1_sel:DWORD
	v_add_u16_e32 v4, 0x8000, v2
	v_lshlrev_b32_e32 v2, 16, v4
	v_or_b32_e32 v14, v5, v2
	s_add_i32 s33, s33, -1
	v_lshrrev_b32_e32 v14, 8, v14
	s_cmp_eq_u32 s33, 0
	v_lshrrev_b32_e32 v15, 24, v2
	s_cbranch_scc1 .LBB53_12
.LBB53_2:                               ; =>This Inner Loop Header: Depth=1
	v_xor_b32_e32 v2, 0x80, v5
	v_xor_b32_e32 v5, 0x80, v14
	v_and_b32_e32 v2, 0xff, v2
	ds_bpermute_b32 v14, v8, v2
	v_xor_b32_e32 v4, 0x80, v4
	v_and_b32_e32 v5, 0xff, v5
	ds_bpermute_b32 v16, v8, v5
	v_and_b32_e32 v4, 0xff, v4
	ds_bpermute_b32 v17, v8, v4
	v_xor_b32_e32 v15, 0x80, v15
	v_and_b32_e32 v15, 0xff, v15
	s_waitcnt lgkmcnt(2)
	v_and_b32_e32 v14, 0xff, v14
	ds_bpermute_b32 v18, v8, v15
	v_cndmask_b32_e32 v14, 0, v14, vcc
	s_waitcnt lgkmcnt(2)
	v_and_b32_e32 v16, 0xff, v16
	v_cndmask_b32_e64 v14, v14, v16, s[8:9]
	s_waitcnt lgkmcnt(1)
	v_and_b32_e32 v16, 0xff, v17
	ds_bpermute_b32 v17, v10, v2
	v_cndmask_b32_e64 v14, v14, v16, s[6:7]
	s_waitcnt lgkmcnt(1)
	v_perm_b32 v16, v18, v14, s34
	v_cndmask_b32_e64 v14, v14, v16, s[4:5]
	ds_bpermute_b32 v16, v10, v5
	s_waitcnt lgkmcnt(1)
	v_lshlrev_b16_e32 v17, 8, v17
	v_or_b32_sdwa v17, v14, v17 dst_sel:DWORD dst_unused:UNUSED_PAD src0_sel:BYTE_0 src1_sel:DWORD
	v_and_b32_e32 v17, 0xffff, v17
	v_cndmask_b32_e32 v14, v14, v17, vcc
	ds_bpermute_b32 v17, v10, v4
	s_waitcnt lgkmcnt(1)
	v_lshlrev_b16_e32 v16, 8, v16
	v_or_b32_sdwa v16, v14, v16 dst_sel:DWORD dst_unused:UNUSED_PAD src0_sel:BYTE_0 src1_sel:DWORD
	v_and_b32_e32 v16, 0xffff, v16
	v_and_or_b32 v16, v14, s35, v16
	v_cndmask_b32_e64 v14, v14, v16, s[8:9]
	s_waitcnt lgkmcnt(0)
	v_lshlrev_b16_e32 v16, 8, v17
	ds_bpermute_b32 v17, v10, v15
	v_or_b32_sdwa v16, v14, v16 dst_sel:DWORD dst_unused:UNUSED_PAD src0_sel:BYTE_0 src1_sel:DWORD
	v_and_b32_e32 v16, 0xffff, v16
	v_and_or_b32 v16, v14, s35, v16
	v_cndmask_b32_e64 v14, v14, v16, s[6:7]
	s_waitcnt lgkmcnt(0)
	v_lshlrev_b16_e32 v16, 8, v17
	ds_bpermute_b32 v17, v11, v2
	v_or_b32_sdwa v16, v14, v16 dst_sel:DWORD dst_unused:UNUSED_PAD src0_sel:BYTE_0 src1_sel:DWORD
	v_and_b32_e32 v16, 0xffff, v16
	v_and_or_b32 v16, v14, s35, v16
	v_cndmask_b32_e64 v14, v14, v16, s[4:5]
	ds_bpermute_b32 v16, v11, v5
	s_waitcnt lgkmcnt(1)
	v_perm_b32 v17, v17, v14, s36
	v_lshlrev_b32_e32 v17, 16, v17
	v_and_or_b32 v17, v14, s31, v17
	v_cndmask_b32_e32 v14, v14, v17, vcc
	ds_bpermute_b32 v17, v11, v4
	s_waitcnt lgkmcnt(1)
	v_perm_b32 v16, v16, v14, s36
	v_lshlrev_b32_e32 v16, 16, v16
	v_and_or_b32 v16, v14, s31, v16
	v_cndmask_b32_e64 v14, v14, v16, s[8:9]
	ds_bpermute_b32 v16, v11, v15
	s_waitcnt lgkmcnt(1)
	v_perm_b32 v17, v17, v14, s36
	v_lshlrev_b32_e32 v17, 16, v17
	v_and_or_b32 v17, v14, s31, v17
	v_cndmask_b32_e64 v14, v14, v17, s[6:7]
	;; [unrolled: 6-line block ×3, first 2 shown]
	ds_bpermute_b32 v5, v12, v5
	v_and_b32_sdwa v16, v14, s29 dst_sel:DWORD dst_unused:UNUSED_PAD src0_sel:WORD_1 src1_sel:DWORD
	s_waitcnt lgkmcnt(1)
	v_lshlrev_b16_e32 v2, 8, v2
	v_or_b32_sdwa v2, v16, v2 dst_sel:WORD_1 dst_unused:UNUSED_PAD src0_sel:DWORD src1_sel:DWORD
	v_and_or_b32 v2, v14, s31, v2
	v_cndmask_b32_e32 v2, v14, v2, vcc
	ds_bpermute_b32 v4, v12, v4
	v_and_b32_sdwa v14, v2, s29 dst_sel:DWORD dst_unused:UNUSED_PAD src0_sel:WORD_1 src1_sel:DWORD
	s_waitcnt lgkmcnt(1)
	v_lshlrev_b16_e32 v5, 8, v5
	v_or_b32_sdwa v5, v14, v5 dst_sel:WORD_1 dst_unused:UNUSED_PAD src0_sel:DWORD src1_sel:DWORD
	v_and_or_b32 v5, v2, s31, v5
	v_cndmask_b32_e64 v2, v2, v5, s[8:9]
	ds_bpermute_b32 v14, v12, v15
	v_and_b32_sdwa v5, v2, s29 dst_sel:DWORD dst_unused:UNUSED_PAD src0_sel:WORD_1 src1_sel:DWORD
	s_waitcnt lgkmcnt(1)
	v_lshlrev_b16_e32 v4, 8, v4
	v_or_b32_sdwa v4, v5, v4 dst_sel:WORD_1 dst_unused:UNUSED_PAD src0_sel:DWORD src1_sel:DWORD
	v_and_or_b32 v4, v2, s31, v4
	v_cndmask_b32_e64 v2, v2, v4, s[6:7]
	v_and_b32_sdwa v4, v2, s29 dst_sel:DWORD dst_unused:UNUSED_PAD src0_sel:WORD_1 src1_sel:DWORD
	s_waitcnt lgkmcnt(0)
	v_lshlrev_b16_e32 v5, 8, v14
	v_or_b32_sdwa v4, v4, v5 dst_sel:WORD_1 dst_unused:UNUSED_PAD src0_sel:DWORD src1_sel:DWORD
	v_and_or_b32 v4, v2, s31, v4
	v_cndmask_b32_e64 v14, v2, v4, s[4:5]
	v_and_b32_e32 v5, 0xff, v1
	v_bfe_u32 v18, v1, 8, 8
	v_bfe_u32 v19, v1, 16, 8
	v_lshrrev_b32_e32 v20, 24, v1
	v_and_b32_e32 v1, 1, v14
	v_add_co_u32_e64 v2, s[20:21], -1, v1
	v_addc_co_u32_e64 v4, s[20:21], 0, -1, s[20:21]
	v_cmp_ne_u32_e64 s[20:21], 0, v1
	v_xor_b32_e32 v1, s21, v4
	v_lshlrev_b32_e32 v4, 30, v14
	v_xor_b32_e32 v2, s20, v2
	v_cmp_gt_i64_e64 s[20:21], 0, v[3:4]
	v_not_b32_e32 v4, v4
	v_ashrrev_i32_e32 v4, 31, v4
	v_and_b32_e32 v2, exec_lo, v2
	v_xor_b32_e32 v21, s21, v4
	v_xor_b32_e32 v4, s20, v4
	v_and_b32_e32 v2, v2, v4
	v_lshlrev_b32_e32 v4, 29, v14
	v_cmp_gt_i64_e64 s[20:21], 0, v[3:4]
	v_not_b32_e32 v4, v4
	v_and_b32_e32 v1, exec_hi, v1
	v_ashrrev_i32_e32 v4, 31, v4
	v_and_b32_e32 v1, v1, v21
	v_xor_b32_e32 v21, s21, v4
	v_xor_b32_e32 v4, s20, v4
	v_and_b32_e32 v2, v2, v4
	v_lshlrev_b32_e32 v4, 28, v14
	v_cmp_gt_i64_e64 s[20:21], 0, v[3:4]
	v_not_b32_e32 v4, v4
	v_ashrrev_i32_e32 v4, 31, v4
	v_and_b32_e32 v1, v1, v21
	v_xor_b32_e32 v21, s21, v4
	v_xor_b32_e32 v4, s20, v4
	v_and_b32_e32 v2, v2, v4
	v_lshlrev_b32_e32 v4, 27, v14
	v_cmp_gt_i64_e64 s[20:21], 0, v[3:4]
	v_not_b32_e32 v4, v4
	;; [unrolled: 8-line block ×4, first 2 shown]
	v_ashrrev_i32_e32 v4, 31, v4
	v_and_b32_e32 v1, v1, v21
	v_xor_b32_e32 v21, s21, v4
	v_xor_b32_e32 v4, s20, v4
	v_and_b32_e32 v1, v1, v21
	v_and_b32_e32 v21, v2, v4
	v_lshlrev_b32_e32 v4, 24, v14
	v_cmp_gt_i64_e64 s[20:21], 0, v[3:4]
	v_not_b32_e32 v2, v4
	v_ashrrev_i32_e32 v2, 31, v2
	v_xor_b32_e32 v4, s21, v2
	v_xor_b32_e32 v22, s20, v2
	ds_bpermute_b32 v15, v8, v5
	ds_bpermute_b32 v17, v8, v18
	;; [unrolled: 1-line block ×3, first 2 shown]
	v_and_b32_e32 v2, v1, v4
	v_and_b32_e32 v1, v21, v22
	ds_bpermute_b32 v31, v10, v18
	ds_bpermute_b32 v30, v11, v5
	ds_bpermute_b32 v24, v12, v5
	ds_bpermute_b32 v27, v11, v18
	ds_bpermute_b32 v21, v12, v18
	ds_bpermute_b32 v34, v8, v19
	ds_bpermute_b32 v32, v10, v19
	ds_bpermute_b32 v28, v11, v19
	ds_bpermute_b32 v22, v12, v19
	ds_bpermute_b32 v35, v8, v20
	ds_bpermute_b32 v33, v10, v20
	ds_bpermute_b32 v29, v11, v20
	ds_bpermute_b32 v23, v12, v20
	v_and_b32_e32 v4, 0xff, v14
	v_lshl_add_u32 v18, v4, 2, v13
	v_mbcnt_lo_u32_b32 v4, v1, 0
	v_mbcnt_hi_u32_b32 v19, v2, v4
	v_cmp_ne_u64_e64 s[20:21], 0, v[1:2]
	v_cmp_eq_u32_e64 s[22:23], 0, v19
	s_and_b64 s[22:23], s[20:21], s[22:23]
	s_waitcnt lgkmcnt(0)
	; wave barrier
	ds_write2_b32 v6, v3, v3 offset0:1 offset1:2
	ds_write2_b32 v6, v3, v3 offset0:3 offset1:4
	s_waitcnt lgkmcnt(0)
	; wave barrier
	; wave barrier
	s_and_saveexec_b64 s[20:21], s[22:23]
; %bb.3:                                ;   in Loop: Header=BB53_2 Depth=1
	v_bcnt_u32_b32 v1, v1, 0
	v_bcnt_u32_b32 v1, v2, v1
	ds_write_b32 v18, v1 offset:4
; %bb.4:                                ;   in Loop: Header=BB53_2 Depth=1
	s_or_b64 exec, exec, s[20:21]
	v_bfe_u32 v1, v14, 8, 8
	v_lshl_add_u32 v26, v1, 2, v13
	v_bfe_u32 v1, v14, 8, 1
	v_add_co_u32_e64 v2, s[20:21], -1, v1
	v_addc_co_u32_e64 v4, s[20:21], 0, -1, s[20:21]
	v_lshrrev_b32_e32 v20, 8, v14
	v_cmp_ne_u32_e64 s[20:21], 0, v1
	v_xor_b32_e32 v1, s21, v4
	v_lshlrev_b32_e32 v4, 30, v20
	v_xor_b32_e32 v2, s20, v2
	v_cmp_gt_i64_e64 s[20:21], 0, v[3:4]
	v_not_b32_e32 v4, v4
	v_ashrrev_i32_e32 v4, 31, v4
	v_and_b32_e32 v2, exec_lo, v2
	v_xor_b32_e32 v5, s21, v4
	v_xor_b32_e32 v4, s20, v4
	v_and_b32_e32 v2, v2, v4
	v_lshlrev_b32_e32 v4, 29, v20
	v_cmp_gt_i64_e64 s[20:21], 0, v[3:4]
	v_not_b32_e32 v4, v4
	v_and_b32_e32 v1, exec_hi, v1
	v_ashrrev_i32_e32 v4, 31, v4
	v_and_b32_e32 v1, v1, v5
	v_xor_b32_e32 v5, s21, v4
	v_xor_b32_e32 v4, s20, v4
	v_and_b32_e32 v2, v2, v4
	v_lshlrev_b32_e32 v4, 28, v20
	v_cmp_gt_i64_e64 s[20:21], 0, v[3:4]
	v_not_b32_e32 v4, v4
	v_ashrrev_i32_e32 v4, 31, v4
	v_and_b32_e32 v1, v1, v5
	v_xor_b32_e32 v5, s21, v4
	v_xor_b32_e32 v4, s20, v4
	v_and_b32_e32 v2, v2, v4
	v_lshlrev_b32_e32 v4, 27, v20
	v_cmp_gt_i64_e64 s[20:21], 0, v[3:4]
	v_not_b32_e32 v4, v4
	;; [unrolled: 8-line block ×4, first 2 shown]
	v_ashrrev_i32_e32 v4, 31, v4
	v_and_b32_e32 v1, v1, v5
	v_xor_b32_e32 v5, s21, v4
	v_xor_b32_e32 v4, s20, v4
	v_and_b32_e32 v1, v1, v5
	v_and_b32_e32 v5, v2, v4
	v_lshlrev_b32_e32 v4, 24, v20
	v_cmp_gt_i64_e64 s[20:21], 0, v[3:4]
	v_not_b32_e32 v2, v4
	v_ashrrev_i32_e32 v2, 31, v2
	v_xor_b32_e32 v4, s21, v2
	v_xor_b32_e32 v36, s20, v2
	; wave barrier
	ds_read_b32 v25, v26 offset:4
	v_and_b32_e32 v2, v1, v4
	v_and_b32_e32 v1, v5, v36
	v_mbcnt_lo_u32_b32 v4, v1, 0
	v_mbcnt_hi_u32_b32 v36, v2, v4
	v_cmp_ne_u64_e64 s[20:21], 0, v[1:2]
	v_cmp_eq_u32_e64 s[22:23], 0, v36
	s_and_b64 s[22:23], s[20:21], s[22:23]
	; wave barrier
	s_and_saveexec_b64 s[20:21], s[22:23]
	s_cbranch_execz .LBB53_6
; %bb.5:                                ;   in Loop: Header=BB53_2 Depth=1
	v_bcnt_u32_b32 v1, v1, 0
	v_bcnt_u32_b32 v1, v2, v1
	s_waitcnt lgkmcnt(0)
	v_add_u32_e32 v1, v25, v1
	ds_write_b32 v26, v1 offset:4
.LBB53_6:                               ;   in Loop: Header=BB53_2 Depth=1
	s_or_b64 exec, exec, s[20:21]
	v_bfe_u32 v1, v14, 16, 8
	v_lshl_add_u32 v39, v1, 2, v13
	v_bfe_u32 v1, v14, 16, 1
	v_add_co_u32_e64 v2, s[20:21], -1, v1
	v_addc_co_u32_e64 v4, s[20:21], 0, -1, s[20:21]
	v_lshrrev_b32_e32 v37, 16, v14
	v_cmp_ne_u32_e64 s[20:21], 0, v1
	v_xor_b32_e32 v1, s21, v4
	v_lshlrev_b32_e32 v4, 30, v37
	v_xor_b32_e32 v2, s20, v2
	v_cmp_gt_i64_e64 s[20:21], 0, v[3:4]
	v_not_b32_e32 v4, v4
	v_ashrrev_i32_e32 v4, 31, v4
	v_and_b32_e32 v2, exec_lo, v2
	v_xor_b32_e32 v5, s21, v4
	v_xor_b32_e32 v4, s20, v4
	v_and_b32_e32 v2, v2, v4
	v_lshlrev_b32_e32 v4, 29, v37
	v_cmp_gt_i64_e64 s[20:21], 0, v[3:4]
	v_not_b32_e32 v4, v4
	v_and_b32_e32 v1, exec_hi, v1
	v_ashrrev_i32_e32 v4, 31, v4
	v_and_b32_e32 v1, v1, v5
	v_xor_b32_e32 v5, s21, v4
	v_xor_b32_e32 v4, s20, v4
	v_and_b32_e32 v2, v2, v4
	v_lshlrev_b32_e32 v4, 28, v37
	v_cmp_gt_i64_e64 s[20:21], 0, v[3:4]
	v_not_b32_e32 v4, v4
	v_ashrrev_i32_e32 v4, 31, v4
	v_and_b32_e32 v1, v1, v5
	v_xor_b32_e32 v5, s21, v4
	v_xor_b32_e32 v4, s20, v4
	v_and_b32_e32 v2, v2, v4
	v_lshlrev_b32_e32 v4, 27, v37
	v_cmp_gt_i64_e64 s[20:21], 0, v[3:4]
	v_not_b32_e32 v4, v4
	;; [unrolled: 8-line block ×4, first 2 shown]
	v_ashrrev_i32_e32 v4, 31, v4
	v_and_b32_e32 v1, v1, v5
	v_xor_b32_e32 v5, s21, v4
	v_xor_b32_e32 v4, s20, v4
	v_and_b32_e32 v1, v1, v5
	v_and_b32_e32 v5, v2, v4
	v_lshlrev_b32_e32 v4, 24, v37
	v_cmp_gt_i64_e64 s[20:21], 0, v[3:4]
	v_not_b32_e32 v2, v4
	v_ashrrev_i32_e32 v2, 31, v2
	v_xor_b32_e32 v4, s21, v2
	v_xor_b32_e32 v40, s20, v2
	; wave barrier
	ds_read_b32 v38, v39 offset:4
	v_and_b32_e32 v2, v1, v4
	v_and_b32_e32 v1, v5, v40
	v_mbcnt_lo_u32_b32 v4, v1, 0
	v_mbcnt_hi_u32_b32 v40, v2, v4
	v_cmp_ne_u64_e64 s[20:21], 0, v[1:2]
	v_cmp_eq_u32_e64 s[22:23], 0, v40
	s_and_b64 s[22:23], s[20:21], s[22:23]
	; wave barrier
	s_and_saveexec_b64 s[20:21], s[22:23]
	s_cbranch_execz .LBB53_8
; %bb.7:                                ;   in Loop: Header=BB53_2 Depth=1
	v_bcnt_u32_b32 v1, v1, 0
	v_bcnt_u32_b32 v1, v2, v1
	s_waitcnt lgkmcnt(0)
	v_add_u32_e32 v1, v38, v1
	ds_write_b32 v39, v1 offset:4
.LBB53_8:                               ;   in Loop: Header=BB53_2 Depth=1
	s_or_b64 exec, exec, s[20:21]
	v_bfe_u32 v1, v14, 24, 1
	v_add_co_u32_e64 v2, s[20:21], -1, v1
	v_addc_co_u32_e64 v4, s[20:21], 0, -1, s[20:21]
	v_lshrrev_b32_e32 v41, 24, v14
	v_cmp_ne_u32_e64 s[20:21], 0, v1
	v_xor_b32_e32 v1, s21, v4
	v_lshlrev_b32_e32 v4, 30, v41
	v_xor_b32_e32 v2, s20, v2
	v_cmp_gt_i64_e64 s[20:21], 0, v[3:4]
	v_not_b32_e32 v4, v4
	v_ashrrev_i32_e32 v4, 31, v4
	v_and_b32_e32 v2, exec_lo, v2
	v_xor_b32_e32 v5, s21, v4
	v_xor_b32_e32 v4, s20, v4
	v_and_b32_e32 v2, v2, v4
	v_lshlrev_b32_e32 v4, 29, v41
	v_cmp_gt_i64_e64 s[20:21], 0, v[3:4]
	v_not_b32_e32 v4, v4
	v_and_b32_e32 v1, exec_hi, v1
	v_ashrrev_i32_e32 v4, 31, v4
	v_and_b32_e32 v1, v1, v5
	v_xor_b32_e32 v5, s21, v4
	v_xor_b32_e32 v4, s20, v4
	v_and_b32_e32 v2, v2, v4
	v_lshlrev_b32_e32 v4, 28, v41
	v_cmp_gt_i64_e64 s[20:21], 0, v[3:4]
	v_not_b32_e32 v4, v4
	v_ashrrev_i32_e32 v4, 31, v4
	v_and_b32_e32 v1, v1, v5
	v_xor_b32_e32 v5, s21, v4
	v_xor_b32_e32 v4, s20, v4
	v_and_b32_e32 v2, v2, v4
	v_lshlrev_b32_e32 v4, 27, v41
	v_cmp_gt_i64_e64 s[20:21], 0, v[3:4]
	v_not_b32_e32 v4, v4
	;; [unrolled: 8-line block ×4, first 2 shown]
	v_ashrrev_i32_e32 v4, 31, v4
	v_and_b32_e32 v1, v1, v5
	v_xor_b32_e32 v5, s21, v4
	v_xor_b32_e32 v4, s20, v4
	v_and_b32_e32 v1, v1, v5
	v_and_b32_e32 v5, v2, v4
	;; [unrolled: 1-line block ×3, first 2 shown]
	v_cmp_gt_i64_e64 s[20:21], 0, v[3:4]
	v_not_b32_e32 v2, v4
	v_ashrrev_i32_e32 v2, 31, v2
	v_lshl_add_u32 v43, v41, 2, v13
	v_xor_b32_e32 v4, s21, v2
	v_xor_b32_e32 v44, s20, v2
	; wave barrier
	ds_read_b32 v42, v43 offset:4
	v_and_b32_e32 v2, v1, v4
	v_and_b32_e32 v1, v5, v44
	v_mbcnt_lo_u32_b32 v4, v1, 0
	v_mbcnt_hi_u32_b32 v44, v2, v4
	v_cmp_ne_u64_e64 s[20:21], 0, v[1:2]
	v_cmp_eq_u32_e64 s[22:23], 0, v44
	s_and_b64 s[22:23], s[20:21], s[22:23]
	; wave barrier
	s_and_saveexec_b64 s[20:21], s[22:23]
	s_cbranch_execz .LBB53_10
; %bb.9:                                ;   in Loop: Header=BB53_2 Depth=1
	v_bcnt_u32_b32 v1, v1, 0
	v_bcnt_u32_b32 v1, v2, v1
	s_waitcnt lgkmcnt(0)
	v_add_u32_e32 v1, v42, v1
	ds_write_b32 v43, v1 offset:4
.LBB53_10:                              ;   in Loop: Header=BB53_2 Depth=1
	s_or_b64 exec, exec, s[20:21]
	; wave barrier
	s_waitcnt lgkmcnt(0)
	; wave barrier
	ds_read2_b32 v[1:2], v6 offset0:1 offset1:2
	ds_read2_b32 v[4:5], v6 offset0:3 offset1:4
	s_waitcnt lgkmcnt(1)
	v_add_u32_e32 v45, v2, v1
	s_waitcnt lgkmcnt(0)
	v_add3_u32 v5, v45, v4, v5
	s_nop 1
	v_mov_b32_dpp v45, v5 row_shr:1 row_mask:0xf bank_mask:0xf
	v_cndmask_b32_e64 v45, v45, 0, s[10:11]
	v_add_u32_e32 v5, v45, v5
	s_nop 1
	v_mov_b32_dpp v45, v5 row_shr:2 row_mask:0xf bank_mask:0xf
	v_cndmask_b32_e64 v45, 0, v45, s[12:13]
	v_add_u32_e32 v5, v5, v45
	s_nop 1
	v_mov_b32_dpp v45, v5 row_shr:4 row_mask:0xf bank_mask:0xf
	v_cndmask_b32_e64 v45, 0, v45, s[14:15]
	v_add_u32_e32 v5, v5, v45
	s_nop 1
	v_mov_b32_dpp v45, v5 row_shr:8 row_mask:0xf bank_mask:0xf
	v_cndmask_b32_e64 v45, 0, v45, s[16:17]
	v_add_u32_e32 v5, v5, v45
	s_nop 1
	v_mov_b32_dpp v45, v5 row_bcast:15 row_mask:0xf bank_mask:0xf
	v_cndmask_b32_e64 v45, v45, 0, s[18:19]
	v_add_u32_e32 v5, v5, v45
	s_nop 1
	v_mov_b32_dpp v45, v5 row_bcast:31 row_mask:0xf bank_mask:0xf
	v_cndmask_b32_e64 v45, 0, v45, s[2:3]
	v_add_u32_e32 v5, v5, v45
	s_and_saveexec_b64 s[20:21], s[0:1]
	s_cbranch_execz .LBB53_1
; %bb.11:                               ;   in Loop: Header=BB53_2 Depth=1
	ds_write_b32 v3, v5
	s_branch .LBB53_1
.LBB53_12:
	s_add_u32 s0, s26, s28
	s_addc_u32 s1, s27, 0
	s_waitcnt lgkmcnt(0)
	v_add_u16_e32 v2, v5, v1
	v_lshrrev_b32_e32 v3, 8, v1
	v_add_u16_sdwa v4, v4, v1 dst_sel:DWORD dst_unused:UNUSED_PAD src0_sel:DWORD src1_sel:WORD_1
	v_add_u16_sdwa v5, v15, v1 dst_sel:DWORD dst_unused:UNUSED_PAD src0_sel:DWORD src1_sel:BYTE_3
	v_mov_b32_e32 v1, s1
	v_add_co_u32_e32 v0, vcc, s0, v0
	v_addc_co_u32_e32 v1, vcc, 0, v1, vcc
	v_add_u16_e32 v3, v14, v3
	global_store_byte v[0:1], v2, off
	global_store_byte v[0:1], v3, off offset:64
	global_store_byte v[0:1], v4, off offset:128
	;; [unrolled: 1-line block ×3, first 2 shown]
	s_endpgm
	.section	.rodata,"a",@progbits
	.p2align	6, 0x0
	.amdhsa_kernel _Z17sort_pairs_kernelI22helper_blocked_blockedaLj64ELj4ELj10EEvPKT0_PS1_
		.amdhsa_group_segment_fixed_size 1040
		.amdhsa_private_segment_fixed_size 0
		.amdhsa_kernarg_size 272
		.amdhsa_user_sgpr_count 6
		.amdhsa_user_sgpr_private_segment_buffer 1
		.amdhsa_user_sgpr_dispatch_ptr 0
		.amdhsa_user_sgpr_queue_ptr 0
		.amdhsa_user_sgpr_kernarg_segment_ptr 1
		.amdhsa_user_sgpr_dispatch_id 0
		.amdhsa_user_sgpr_flat_scratch_init 0
		.amdhsa_user_sgpr_private_segment_size 0
		.amdhsa_uses_dynamic_stack 0
		.amdhsa_system_sgpr_private_segment_wavefront_offset 0
		.amdhsa_system_sgpr_workgroup_id_x 1
		.amdhsa_system_sgpr_workgroup_id_y 0
		.amdhsa_system_sgpr_workgroup_id_z 0
		.amdhsa_system_sgpr_workgroup_info 0
		.amdhsa_system_vgpr_workitem_id 2
		.amdhsa_next_free_vgpr 46
		.amdhsa_next_free_sgpr 42
		.amdhsa_reserve_vcc 1
		.amdhsa_reserve_flat_scratch 0
		.amdhsa_float_round_mode_32 0
		.amdhsa_float_round_mode_16_64 0
		.amdhsa_float_denorm_mode_32 3
		.amdhsa_float_denorm_mode_16_64 3
		.amdhsa_dx10_clamp 1
		.amdhsa_ieee_mode 1
		.amdhsa_fp16_overflow 0
		.amdhsa_exception_fp_ieee_invalid_op 0
		.amdhsa_exception_fp_denorm_src 0
		.amdhsa_exception_fp_ieee_div_zero 0
		.amdhsa_exception_fp_ieee_overflow 0
		.amdhsa_exception_fp_ieee_underflow 0
		.amdhsa_exception_fp_ieee_inexact 0
		.amdhsa_exception_int_div_zero 0
	.end_amdhsa_kernel
	.section	.text._Z17sort_pairs_kernelI22helper_blocked_blockedaLj64ELj4ELj10EEvPKT0_PS1_,"axG",@progbits,_Z17sort_pairs_kernelI22helper_blocked_blockedaLj64ELj4ELj10EEvPKT0_PS1_,comdat
.Lfunc_end53:
	.size	_Z17sort_pairs_kernelI22helper_blocked_blockedaLj64ELj4ELj10EEvPKT0_PS1_, .Lfunc_end53-_Z17sort_pairs_kernelI22helper_blocked_blockedaLj64ELj4ELj10EEvPKT0_PS1_
                                        ; -- End function
	.set _Z17sort_pairs_kernelI22helper_blocked_blockedaLj64ELj4ELj10EEvPKT0_PS1_.num_vgpr, 46
	.set _Z17sort_pairs_kernelI22helper_blocked_blockedaLj64ELj4ELj10EEvPKT0_PS1_.num_agpr, 0
	.set _Z17sort_pairs_kernelI22helper_blocked_blockedaLj64ELj4ELj10EEvPKT0_PS1_.numbered_sgpr, 42
	.set _Z17sort_pairs_kernelI22helper_blocked_blockedaLj64ELj4ELj10EEvPKT0_PS1_.num_named_barrier, 0
	.set _Z17sort_pairs_kernelI22helper_blocked_blockedaLj64ELj4ELj10EEvPKT0_PS1_.private_seg_size, 0
	.set _Z17sort_pairs_kernelI22helper_blocked_blockedaLj64ELj4ELj10EEvPKT0_PS1_.uses_vcc, 1
	.set _Z17sort_pairs_kernelI22helper_blocked_blockedaLj64ELj4ELj10EEvPKT0_PS1_.uses_flat_scratch, 0
	.set _Z17sort_pairs_kernelI22helper_blocked_blockedaLj64ELj4ELj10EEvPKT0_PS1_.has_dyn_sized_stack, 0
	.set _Z17sort_pairs_kernelI22helper_blocked_blockedaLj64ELj4ELj10EEvPKT0_PS1_.has_recursion, 0
	.set _Z17sort_pairs_kernelI22helper_blocked_blockedaLj64ELj4ELj10EEvPKT0_PS1_.has_indirect_call, 0
	.section	.AMDGPU.csdata,"",@progbits
; Kernel info:
; codeLenInByte = 3880
; TotalNumSgprs: 46
; NumVgprs: 46
; ScratchSize: 0
; MemoryBound: 0
; FloatMode: 240
; IeeeMode: 1
; LDSByteSize: 1040 bytes/workgroup (compile time only)
; SGPRBlocks: 5
; VGPRBlocks: 11
; NumSGPRsForWavesPerEU: 46
; NumVGPRsForWavesPerEU: 46
; Occupancy: 5
; WaveLimiterHint : 0
; COMPUTE_PGM_RSRC2:SCRATCH_EN: 0
; COMPUTE_PGM_RSRC2:USER_SGPR: 6
; COMPUTE_PGM_RSRC2:TRAP_HANDLER: 0
; COMPUTE_PGM_RSRC2:TGID_X_EN: 1
; COMPUTE_PGM_RSRC2:TGID_Y_EN: 0
; COMPUTE_PGM_RSRC2:TGID_Z_EN: 0
; COMPUTE_PGM_RSRC2:TIDIG_COMP_CNT: 2
	.section	.text._Z16sort_keys_kernelI22helper_blocked_blockedaLj64ELj8ELj10EEvPKT0_PS1_,"axG",@progbits,_Z16sort_keys_kernelI22helper_blocked_blockedaLj64ELj8ELj10EEvPKT0_PS1_,comdat
	.protected	_Z16sort_keys_kernelI22helper_blocked_blockedaLj64ELj8ELj10EEvPKT0_PS1_ ; -- Begin function _Z16sort_keys_kernelI22helper_blocked_blockedaLj64ELj8ELj10EEvPKT0_PS1_
	.globl	_Z16sort_keys_kernelI22helper_blocked_blockedaLj64ELj8ELj10EEvPKT0_PS1_
	.p2align	8
	.type	_Z16sort_keys_kernelI22helper_blocked_blockedaLj64ELj8ELj10EEvPKT0_PS1_,@function
_Z16sort_keys_kernelI22helper_blocked_blockedaLj64ELj8ELj10EEvPKT0_PS1_: ; @_Z16sort_keys_kernelI22helper_blocked_blockedaLj64ELj8ELj10EEvPKT0_PS1_
; %bb.0:
	s_load_dwordx4 s[16:19], s[4:5], 0x0
	s_load_dword s25, s[4:5], 0x1c
	s_lshl_b32 s20, s6, 9
	v_mbcnt_lo_u32_b32 v6, -1, 0
	v_mbcnt_hi_u32_b32 v6, -1, v6
	s_waitcnt lgkmcnt(0)
	s_add_u32 s0, s16, s20
	s_addc_u32 s1, s17, 0
	global_load_ubyte v4, v0, s[0:1] offset:64
	global_load_ubyte v5, v0, s[0:1] offset:128
	;; [unrolled: 1-line block ×5, first 2 shown]
	global_load_ubyte v14, v0, s[0:1]
	global_load_ubyte v15, v0, s[0:1] offset:256
	global_load_ubyte v16, v0, s[0:1] offset:384
	s_lshr_b32 s27, s25, 16
	s_and_b32 s25, s25, 0xffff
	v_mad_u32_u24 v1, v2, s27, v1
	v_subrev_co_u32_e64 v18, s[14:15], 1, v6
	v_and_b32_e32 v19, 64, v6
	v_mad_u32_u24 v1, v1, s25, v0
	s_mov_b32 s26, 0xc0c0004
	v_lshlrev_b32_e32 v9, 3, v0
	v_and_b32_e32 v10, 15, v6
	v_cmp_lt_i32_e64 s[16:17], v18, v19
	v_lshrrev_b32_e32 v1, 4, v1
	v_lshlrev_b32_e32 v7, 4, v0
	v_cmp_eq_u32_e64 s[12:13], 0, v0
	v_and_b32_e32 v17, 16, v6
	v_sub_u32_e32 v20, 0, v9
	v_cmp_eq_u32_e64 s[2:3], 0, v10
	v_cmp_lt_u32_e64 s[4:5], 1, v10
	v_cmp_lt_u32_e64 s[6:7], 3, v10
	;; [unrolled: 1-line block ×3, first 2 shown]
	v_cndmask_b32_e64 v9, v18, v6, s[16:17]
	v_and_b32_e32 v10, 0xffffffc, v1
	v_mov_b32_e32 v3, 0
	s_mov_b32 s21, 10
	s_movk_i32 s22, 0xff00
	s_movk_i32 s23, 0x80
	;; [unrolled: 1-line block ×3, first 2 shown]
	v_cmp_eq_u32_e32 vcc, 63, v0
	v_lshlrev_b32_e32 v8, 3, v6
	v_cmp_lt_u32_e64 s[0:1], 31, v6
	v_cmp_eq_u32_e64 s[10:11], 0, v17
	v_lshlrev_b32_e32 v9, 2, v9
	s_or_b64 s[16:17], s[12:13], s[14:15]
	s_waitcnt vmcnt(3)
	v_perm_b32 v2, v5, v13, s26
	s_waitcnt vmcnt(2)
	v_perm_b32 v1, v14, v4, s26
	;; [unrolled: 2-line block ×4, first 2 shown]
	v_lshl_or_b32 v2, v2, 16, v1
	v_lshl_or_b32 v1, v5, 16, v4
	v_add_u32_e32 v11, v7, v20
	s_branch .LBB54_2
.LBB54_1:                               ;   in Loop: Header=BB54_2 Depth=1
	s_or_b64 exec, exec, s[12:13]
	ds_bpermute_b32 v2, v9, v2
	s_waitcnt lgkmcnt(0)
	; wave barrier
	s_add_i32 s21, s21, -1
	s_cmp_eq_u32 s21, 0
	v_cndmask_b32_e64 v2, v2, 0, s[16:17]
	v_add_u32_e32 v4, v2, v4
	v_add_u32_e32 v5, v4, v5
	;; [unrolled: 1-line block ×3, first 2 shown]
	ds_write2_b32 v7, v2, v4 offset0:1 offset1:2
	ds_write2_b32 v7, v5, v1 offset0:3 offset1:4
	s_waitcnt lgkmcnt(0)
	; wave barrier
	ds_read_b32 v1, v20 offset:4
	ds_read_b32 v2, v23 offset:4
	;; [unrolled: 1-line block ×8, first 2 shown]
	s_waitcnt lgkmcnt(7)
	v_add_u32_e32 v1, v1, v21
	s_waitcnt lgkmcnt(0)
	; wave barrier
	ds_write_b8 v1, v19
	v_add3_u32 v1, v24, v22, v2
	ds_write_b8 v1, v18
	v_add3_u32 v1, v27, v25, v4
	;; [unrolled: 2-line block ×7, first 2 shown]
	ds_write_b8 v1, v12
	s_waitcnt lgkmcnt(0)
	; wave barrier
	ds_read_b64 v[4:5], v11
	s_waitcnt lgkmcnt(0)
	v_and_b32_e32 v1, 0xffffff00, v4
	v_xor_b32_e32 v2, 0x80, v4
	v_or_b32_sdwa v1, v2, v1 dst_sel:DWORD dst_unused:UNUSED_PAD src0_sel:BYTE_0 src1_sel:DWORD
	v_and_b32_sdwa v2, v4, s22 dst_sel:DWORD dst_unused:UNUSED_PAD src0_sel:WORD_1 src1_sel:DWORD
	v_xor_b32_sdwa v4, v4, s23 dst_sel:DWORD dst_unused:UNUSED_PAD src0_sel:WORD_1 src1_sel:DWORD
	v_or_b32_sdwa v2, v4, v2 dst_sel:DWORD dst_unused:UNUSED_PAD src0_sel:BYTE_0 src1_sel:DWORD
	v_add_u16_e32 v1, 0x8000, v1
	v_add_u16_sdwa v2, v2, s24 dst_sel:WORD_1 dst_unused:UNUSED_PAD src0_sel:DWORD src1_sel:DWORD
	v_or_b32_e32 v2, v1, v2
	v_and_b32_e32 v1, 0xffffff00, v5
	v_xor_b32_e32 v4, 0x80, v5
	v_or_b32_sdwa v1, v4, v1 dst_sel:DWORD dst_unused:UNUSED_PAD src0_sel:BYTE_0 src1_sel:DWORD
	v_and_b32_sdwa v4, v5, s22 dst_sel:DWORD dst_unused:UNUSED_PAD src0_sel:WORD_1 src1_sel:DWORD
	v_xor_b32_sdwa v5, v5, s23 dst_sel:DWORD dst_unused:UNUSED_PAD src0_sel:WORD_1 src1_sel:DWORD
	v_or_b32_sdwa v4, v5, v4 dst_sel:DWORD dst_unused:UNUSED_PAD src0_sel:BYTE_0 src1_sel:DWORD
	v_add_u16_e32 v1, 0x8000, v1
	v_add_u16_sdwa v4, v4, s24 dst_sel:WORD_1 dst_unused:UNUSED_PAD src0_sel:DWORD src1_sel:DWORD
	v_or_b32_e32 v1, v1, v4
	s_cbranch_scc1 .LBB54_20
.LBB54_2:                               ; =>This Inner Loop Header: Depth=1
	v_and_b32_e32 v4, 0xffffff00, v2
	v_xor_b32_e32 v5, 0x80, v2
	v_or_b32_sdwa v4, v5, v4 dst_sel:DWORD dst_unused:UNUSED_PAD src0_sel:BYTE_0 src1_sel:DWORD
	v_and_b32_sdwa v5, v2, s22 dst_sel:DWORD dst_unused:UNUSED_PAD src0_sel:WORD_1 src1_sel:DWORD
	v_xor_b32_sdwa v2, v2, s23 dst_sel:DWORD dst_unused:UNUSED_PAD src0_sel:WORD_1 src1_sel:DWORD
	v_or_b32_sdwa v2, v2, v5 dst_sel:DWORD dst_unused:UNUSED_PAD src0_sel:BYTE_0 src1_sel:DWORD
	v_add_u16_e32 v4, 0x8000, v4
	v_add_u16_sdwa v2, v2, s24 dst_sel:WORD_1 dst_unused:UNUSED_PAD src0_sel:DWORD src1_sel:DWORD
	v_or_b32_e32 v4, v4, v2
	v_and_b32_e32 v2, 0xffffff00, v1
	v_xor_b32_e32 v5, 0x80, v1
	v_or_b32_sdwa v2, v5, v2 dst_sel:DWORD dst_unused:UNUSED_PAD src0_sel:BYTE_0 src1_sel:DWORD
	v_and_b32_sdwa v5, v1, s22 dst_sel:DWORD dst_unused:UNUSED_PAD src0_sel:WORD_1 src1_sel:DWORD
	v_xor_b32_sdwa v1, v1, s23 dst_sel:DWORD dst_unused:UNUSED_PAD src0_sel:WORD_1 src1_sel:DWORD
	v_or_b32_sdwa v1, v1, v5 dst_sel:DWORD dst_unused:UNUSED_PAD src0_sel:BYTE_0 src1_sel:DWORD
	v_add_u16_e32 v2, 0x8000, v2
	v_add_u16_sdwa v1, v1, s24 dst_sel:WORD_1 dst_unused:UNUSED_PAD src0_sel:DWORD src1_sel:DWORD
	v_or_b32_e32 v5, v2, v1
	ds_write_b64 v8, v[4:5]
	; wave barrier
	ds_read_u8 v19, v6
	ds_read_u8 v18, v6 offset:64
	ds_read_u8 v17, v6 offset:128
	;; [unrolled: 1-line block ×7, first 2 shown]
	s_waitcnt lgkmcnt(7)
	v_and_b32_e32 v1, 0xff, v19
	v_lshl_add_u32 v20, v1, 2, v10
	v_and_b32_e32 v1, 1, v19
	v_add_co_u32_e64 v2, s[12:13], -1, v1
	v_addc_co_u32_e64 v4, s[12:13], 0, -1, s[12:13]
	v_cmp_ne_u32_e64 s[12:13], 0, v1
	v_xor_b32_e32 v1, s13, v4
	v_lshlrev_b32_e32 v4, 30, v19
	v_xor_b32_e32 v2, s12, v2
	v_cmp_gt_i64_e64 s[12:13], 0, v[3:4]
	v_not_b32_e32 v4, v4
	v_ashrrev_i32_e32 v4, 31, v4
	v_and_b32_e32 v2, exec_lo, v2
	v_xor_b32_e32 v5, s13, v4
	v_xor_b32_e32 v4, s12, v4
	v_and_b32_e32 v2, v2, v4
	v_lshlrev_b32_e32 v4, 29, v19
	v_cmp_gt_i64_e64 s[12:13], 0, v[3:4]
	v_not_b32_e32 v4, v4
	v_and_b32_e32 v1, exec_hi, v1
	v_ashrrev_i32_e32 v4, 31, v4
	v_and_b32_e32 v1, v1, v5
	v_xor_b32_e32 v5, s13, v4
	v_xor_b32_e32 v4, s12, v4
	v_and_b32_e32 v2, v2, v4
	v_lshlrev_b32_e32 v4, 28, v19
	v_cmp_gt_i64_e64 s[12:13], 0, v[3:4]
	v_not_b32_e32 v4, v4
	v_ashrrev_i32_e32 v4, 31, v4
	v_and_b32_e32 v1, v1, v5
	v_xor_b32_e32 v5, s13, v4
	v_xor_b32_e32 v4, s12, v4
	v_and_b32_e32 v2, v2, v4
	v_lshlrev_b32_e32 v4, 27, v19
	v_cmp_gt_i64_e64 s[12:13], 0, v[3:4]
	v_not_b32_e32 v4, v4
	;; [unrolled: 8-line block ×4, first 2 shown]
	v_ashrrev_i32_e32 v4, 31, v4
	v_and_b32_e32 v1, v1, v5
	v_xor_b32_e32 v5, s13, v4
	v_xor_b32_e32 v4, s12, v4
	v_and_b32_e32 v1, v1, v5
	v_and_b32_e32 v5, v2, v4
	v_lshlrev_b32_e32 v4, 24, v19
	v_cmp_gt_i64_e64 s[12:13], 0, v[3:4]
	v_not_b32_e32 v2, v4
	v_ashrrev_i32_e32 v2, 31, v2
	v_xor_b32_e32 v4, s13, v2
	v_xor_b32_e32 v21, s12, v2
	v_and_b32_e32 v2, v1, v4
	v_and_b32_e32 v1, v5, v21
	v_mbcnt_lo_u32_b32 v4, v1, 0
	v_mbcnt_hi_u32_b32 v21, v2, v4
	v_cmp_ne_u64_e64 s[12:13], 0, v[1:2]
	v_cmp_eq_u32_e64 s[14:15], 0, v21
	s_and_b64 s[14:15], s[12:13], s[14:15]
	; wave barrier
	; wave barrier
	s_waitcnt lgkmcnt(0)
	; wave barrier
	ds_write2_b32 v7, v3, v3 offset0:1 offset1:2
	ds_write2_b32 v7, v3, v3 offset0:3 offset1:4
	s_waitcnt lgkmcnt(0)
	; wave barrier
	; wave barrier
	s_and_saveexec_b64 s[12:13], s[14:15]
; %bb.3:                                ;   in Loop: Header=BB54_2 Depth=1
	v_bcnt_u32_b32 v1, v1, 0
	v_bcnt_u32_b32 v1, v2, v1
	ds_write_b32 v20, v1 offset:4
; %bb.4:                                ;   in Loop: Header=BB54_2 Depth=1
	s_or_b64 exec, exec, s[12:13]
	v_and_b32_e32 v1, 0xff, v18
	v_lshl_add_u32 v23, v1, 2, v10
	v_and_b32_e32 v1, 1, v18
	v_add_co_u32_e64 v2, s[12:13], -1, v1
	v_addc_co_u32_e64 v4, s[12:13], 0, -1, s[12:13]
	v_cmp_ne_u32_e64 s[12:13], 0, v1
	v_xor_b32_e32 v1, s13, v4
	v_lshlrev_b32_e32 v4, 30, v18
	v_xor_b32_e32 v2, s12, v2
	v_cmp_gt_i64_e64 s[12:13], 0, v[3:4]
	v_not_b32_e32 v4, v4
	v_ashrrev_i32_e32 v4, 31, v4
	v_and_b32_e32 v2, exec_lo, v2
	v_xor_b32_e32 v5, s13, v4
	v_xor_b32_e32 v4, s12, v4
	v_and_b32_e32 v2, v2, v4
	v_lshlrev_b32_e32 v4, 29, v18
	v_cmp_gt_i64_e64 s[12:13], 0, v[3:4]
	v_not_b32_e32 v4, v4
	v_and_b32_e32 v1, exec_hi, v1
	v_ashrrev_i32_e32 v4, 31, v4
	v_and_b32_e32 v1, v1, v5
	v_xor_b32_e32 v5, s13, v4
	v_xor_b32_e32 v4, s12, v4
	v_and_b32_e32 v2, v2, v4
	v_lshlrev_b32_e32 v4, 28, v18
	v_cmp_gt_i64_e64 s[12:13], 0, v[3:4]
	v_not_b32_e32 v4, v4
	v_ashrrev_i32_e32 v4, 31, v4
	v_and_b32_e32 v1, v1, v5
	v_xor_b32_e32 v5, s13, v4
	v_xor_b32_e32 v4, s12, v4
	v_and_b32_e32 v2, v2, v4
	v_lshlrev_b32_e32 v4, 27, v18
	v_cmp_gt_i64_e64 s[12:13], 0, v[3:4]
	v_not_b32_e32 v4, v4
	;; [unrolled: 8-line block ×4, first 2 shown]
	v_ashrrev_i32_e32 v4, 31, v4
	v_and_b32_e32 v1, v1, v5
	v_xor_b32_e32 v5, s13, v4
	v_xor_b32_e32 v4, s12, v4
	v_and_b32_e32 v1, v1, v5
	v_and_b32_e32 v5, v2, v4
	v_lshlrev_b32_e32 v4, 24, v18
	v_cmp_gt_i64_e64 s[12:13], 0, v[3:4]
	v_not_b32_e32 v2, v4
	v_ashrrev_i32_e32 v2, 31, v2
	v_xor_b32_e32 v4, s13, v2
	v_xor_b32_e32 v24, s12, v2
	; wave barrier
	ds_read_b32 v22, v23 offset:4
	v_and_b32_e32 v2, v1, v4
	v_and_b32_e32 v1, v5, v24
	v_mbcnt_lo_u32_b32 v4, v1, 0
	v_mbcnt_hi_u32_b32 v24, v2, v4
	v_cmp_ne_u64_e64 s[12:13], 0, v[1:2]
	v_cmp_eq_u32_e64 s[14:15], 0, v24
	s_and_b64 s[14:15], s[12:13], s[14:15]
	; wave barrier
	s_and_saveexec_b64 s[12:13], s[14:15]
	s_cbranch_execz .LBB54_6
; %bb.5:                                ;   in Loop: Header=BB54_2 Depth=1
	v_bcnt_u32_b32 v1, v1, 0
	v_bcnt_u32_b32 v1, v2, v1
	s_waitcnt lgkmcnt(0)
	v_add_u32_e32 v1, v22, v1
	ds_write_b32 v23, v1 offset:4
.LBB54_6:                               ;   in Loop: Header=BB54_2 Depth=1
	s_or_b64 exec, exec, s[12:13]
	v_and_b32_e32 v1, 0xff, v17
	v_lshl_add_u32 v26, v1, 2, v10
	v_and_b32_e32 v1, 1, v17
	v_add_co_u32_e64 v2, s[12:13], -1, v1
	v_addc_co_u32_e64 v4, s[12:13], 0, -1, s[12:13]
	v_cmp_ne_u32_e64 s[12:13], 0, v1
	v_xor_b32_e32 v1, s13, v4
	v_lshlrev_b32_e32 v4, 30, v17
	v_xor_b32_e32 v2, s12, v2
	v_cmp_gt_i64_e64 s[12:13], 0, v[3:4]
	v_not_b32_e32 v4, v4
	v_ashrrev_i32_e32 v4, 31, v4
	v_and_b32_e32 v2, exec_lo, v2
	v_xor_b32_e32 v5, s13, v4
	v_xor_b32_e32 v4, s12, v4
	v_and_b32_e32 v2, v2, v4
	v_lshlrev_b32_e32 v4, 29, v17
	v_cmp_gt_i64_e64 s[12:13], 0, v[3:4]
	v_not_b32_e32 v4, v4
	v_and_b32_e32 v1, exec_hi, v1
	v_ashrrev_i32_e32 v4, 31, v4
	v_and_b32_e32 v1, v1, v5
	v_xor_b32_e32 v5, s13, v4
	v_xor_b32_e32 v4, s12, v4
	v_and_b32_e32 v2, v2, v4
	v_lshlrev_b32_e32 v4, 28, v17
	v_cmp_gt_i64_e64 s[12:13], 0, v[3:4]
	v_not_b32_e32 v4, v4
	v_ashrrev_i32_e32 v4, 31, v4
	v_and_b32_e32 v1, v1, v5
	v_xor_b32_e32 v5, s13, v4
	v_xor_b32_e32 v4, s12, v4
	v_and_b32_e32 v2, v2, v4
	v_lshlrev_b32_e32 v4, 27, v17
	v_cmp_gt_i64_e64 s[12:13], 0, v[3:4]
	v_not_b32_e32 v4, v4
	;; [unrolled: 8-line block ×4, first 2 shown]
	v_ashrrev_i32_e32 v4, 31, v4
	v_and_b32_e32 v1, v1, v5
	v_xor_b32_e32 v5, s13, v4
	v_xor_b32_e32 v4, s12, v4
	v_and_b32_e32 v1, v1, v5
	v_and_b32_e32 v5, v2, v4
	v_lshlrev_b32_e32 v4, 24, v17
	v_cmp_gt_i64_e64 s[12:13], 0, v[3:4]
	v_not_b32_e32 v2, v4
	v_ashrrev_i32_e32 v2, 31, v2
	v_xor_b32_e32 v4, s13, v2
	v_xor_b32_e32 v27, s12, v2
	; wave barrier
	ds_read_b32 v25, v26 offset:4
	v_and_b32_e32 v2, v1, v4
	v_and_b32_e32 v1, v5, v27
	v_mbcnt_lo_u32_b32 v4, v1, 0
	v_mbcnt_hi_u32_b32 v27, v2, v4
	v_cmp_ne_u64_e64 s[12:13], 0, v[1:2]
	v_cmp_eq_u32_e64 s[14:15], 0, v27
	s_and_b64 s[14:15], s[12:13], s[14:15]
	; wave barrier
	s_and_saveexec_b64 s[12:13], s[14:15]
	s_cbranch_execz .LBB54_8
; %bb.7:                                ;   in Loop: Header=BB54_2 Depth=1
	v_bcnt_u32_b32 v1, v1, 0
	v_bcnt_u32_b32 v1, v2, v1
	s_waitcnt lgkmcnt(0)
	v_add_u32_e32 v1, v25, v1
	ds_write_b32 v26, v1 offset:4
.LBB54_8:                               ;   in Loop: Header=BB54_2 Depth=1
	s_or_b64 exec, exec, s[12:13]
	v_and_b32_e32 v1, 0xff, v16
	v_lshl_add_u32 v29, v1, 2, v10
	v_and_b32_e32 v1, 1, v16
	v_add_co_u32_e64 v2, s[12:13], -1, v1
	v_addc_co_u32_e64 v4, s[12:13], 0, -1, s[12:13]
	v_cmp_ne_u32_e64 s[12:13], 0, v1
	v_xor_b32_e32 v1, s13, v4
	v_lshlrev_b32_e32 v4, 30, v16
	v_xor_b32_e32 v2, s12, v2
	v_cmp_gt_i64_e64 s[12:13], 0, v[3:4]
	v_not_b32_e32 v4, v4
	v_ashrrev_i32_e32 v4, 31, v4
	v_and_b32_e32 v2, exec_lo, v2
	v_xor_b32_e32 v5, s13, v4
	v_xor_b32_e32 v4, s12, v4
	v_and_b32_e32 v2, v2, v4
	v_lshlrev_b32_e32 v4, 29, v16
	v_cmp_gt_i64_e64 s[12:13], 0, v[3:4]
	v_not_b32_e32 v4, v4
	v_and_b32_e32 v1, exec_hi, v1
	v_ashrrev_i32_e32 v4, 31, v4
	v_and_b32_e32 v1, v1, v5
	v_xor_b32_e32 v5, s13, v4
	v_xor_b32_e32 v4, s12, v4
	v_and_b32_e32 v2, v2, v4
	v_lshlrev_b32_e32 v4, 28, v16
	v_cmp_gt_i64_e64 s[12:13], 0, v[3:4]
	v_not_b32_e32 v4, v4
	v_ashrrev_i32_e32 v4, 31, v4
	v_and_b32_e32 v1, v1, v5
	v_xor_b32_e32 v5, s13, v4
	v_xor_b32_e32 v4, s12, v4
	v_and_b32_e32 v2, v2, v4
	v_lshlrev_b32_e32 v4, 27, v16
	v_cmp_gt_i64_e64 s[12:13], 0, v[3:4]
	v_not_b32_e32 v4, v4
	;; [unrolled: 8-line block ×4, first 2 shown]
	v_ashrrev_i32_e32 v4, 31, v4
	v_and_b32_e32 v1, v1, v5
	v_xor_b32_e32 v5, s13, v4
	v_xor_b32_e32 v4, s12, v4
	v_and_b32_e32 v1, v1, v5
	v_and_b32_e32 v5, v2, v4
	v_lshlrev_b32_e32 v4, 24, v16
	v_cmp_gt_i64_e64 s[12:13], 0, v[3:4]
	v_not_b32_e32 v2, v4
	v_ashrrev_i32_e32 v2, 31, v2
	v_xor_b32_e32 v4, s13, v2
	v_xor_b32_e32 v30, s12, v2
	; wave barrier
	ds_read_b32 v28, v29 offset:4
	v_and_b32_e32 v2, v1, v4
	v_and_b32_e32 v1, v5, v30
	v_mbcnt_lo_u32_b32 v4, v1, 0
	v_mbcnt_hi_u32_b32 v30, v2, v4
	v_cmp_ne_u64_e64 s[12:13], 0, v[1:2]
	v_cmp_eq_u32_e64 s[14:15], 0, v30
	s_and_b64 s[14:15], s[12:13], s[14:15]
	; wave barrier
	s_and_saveexec_b64 s[12:13], s[14:15]
	s_cbranch_execz .LBB54_10
; %bb.9:                                ;   in Loop: Header=BB54_2 Depth=1
	v_bcnt_u32_b32 v1, v1, 0
	v_bcnt_u32_b32 v1, v2, v1
	s_waitcnt lgkmcnt(0)
	v_add_u32_e32 v1, v28, v1
	ds_write_b32 v29, v1 offset:4
.LBB54_10:                              ;   in Loop: Header=BB54_2 Depth=1
	s_or_b64 exec, exec, s[12:13]
	v_and_b32_e32 v1, 0xff, v15
	v_lshl_add_u32 v32, v1, 2, v10
	v_and_b32_e32 v1, 1, v15
	v_add_co_u32_e64 v2, s[12:13], -1, v1
	v_addc_co_u32_e64 v4, s[12:13], 0, -1, s[12:13]
	v_cmp_ne_u32_e64 s[12:13], 0, v1
	v_xor_b32_e32 v1, s13, v4
	v_lshlrev_b32_e32 v4, 30, v15
	v_xor_b32_e32 v2, s12, v2
	v_cmp_gt_i64_e64 s[12:13], 0, v[3:4]
	v_not_b32_e32 v4, v4
	v_ashrrev_i32_e32 v4, 31, v4
	v_and_b32_e32 v2, exec_lo, v2
	v_xor_b32_e32 v5, s13, v4
	v_xor_b32_e32 v4, s12, v4
	v_and_b32_e32 v2, v2, v4
	v_lshlrev_b32_e32 v4, 29, v15
	v_cmp_gt_i64_e64 s[12:13], 0, v[3:4]
	v_not_b32_e32 v4, v4
	v_and_b32_e32 v1, exec_hi, v1
	v_ashrrev_i32_e32 v4, 31, v4
	v_and_b32_e32 v1, v1, v5
	v_xor_b32_e32 v5, s13, v4
	v_xor_b32_e32 v4, s12, v4
	v_and_b32_e32 v2, v2, v4
	v_lshlrev_b32_e32 v4, 28, v15
	v_cmp_gt_i64_e64 s[12:13], 0, v[3:4]
	v_not_b32_e32 v4, v4
	v_ashrrev_i32_e32 v4, 31, v4
	v_and_b32_e32 v1, v1, v5
	v_xor_b32_e32 v5, s13, v4
	v_xor_b32_e32 v4, s12, v4
	v_and_b32_e32 v2, v2, v4
	v_lshlrev_b32_e32 v4, 27, v15
	v_cmp_gt_i64_e64 s[12:13], 0, v[3:4]
	v_not_b32_e32 v4, v4
	;; [unrolled: 8-line block ×4, first 2 shown]
	v_ashrrev_i32_e32 v4, 31, v4
	v_and_b32_e32 v1, v1, v5
	v_xor_b32_e32 v5, s13, v4
	v_xor_b32_e32 v4, s12, v4
	v_and_b32_e32 v1, v1, v5
	v_and_b32_e32 v5, v2, v4
	v_lshlrev_b32_e32 v4, 24, v15
	v_cmp_gt_i64_e64 s[12:13], 0, v[3:4]
	v_not_b32_e32 v2, v4
	v_ashrrev_i32_e32 v2, 31, v2
	v_xor_b32_e32 v4, s13, v2
	v_xor_b32_e32 v33, s12, v2
	; wave barrier
	ds_read_b32 v31, v32 offset:4
	v_and_b32_e32 v2, v1, v4
	v_and_b32_e32 v1, v5, v33
	v_mbcnt_lo_u32_b32 v4, v1, 0
	v_mbcnt_hi_u32_b32 v33, v2, v4
	v_cmp_ne_u64_e64 s[12:13], 0, v[1:2]
	v_cmp_eq_u32_e64 s[14:15], 0, v33
	s_and_b64 s[14:15], s[12:13], s[14:15]
	; wave barrier
	s_and_saveexec_b64 s[12:13], s[14:15]
	s_cbranch_execz .LBB54_12
; %bb.11:                               ;   in Loop: Header=BB54_2 Depth=1
	v_bcnt_u32_b32 v1, v1, 0
	v_bcnt_u32_b32 v1, v2, v1
	s_waitcnt lgkmcnt(0)
	v_add_u32_e32 v1, v31, v1
	ds_write_b32 v32, v1 offset:4
.LBB54_12:                              ;   in Loop: Header=BB54_2 Depth=1
	s_or_b64 exec, exec, s[12:13]
	v_and_b32_e32 v1, 0xff, v14
	v_lshl_add_u32 v35, v1, 2, v10
	v_and_b32_e32 v1, 1, v14
	v_add_co_u32_e64 v2, s[12:13], -1, v1
	v_addc_co_u32_e64 v4, s[12:13], 0, -1, s[12:13]
	v_cmp_ne_u32_e64 s[12:13], 0, v1
	v_xor_b32_e32 v1, s13, v4
	v_lshlrev_b32_e32 v4, 30, v14
	v_xor_b32_e32 v2, s12, v2
	v_cmp_gt_i64_e64 s[12:13], 0, v[3:4]
	v_not_b32_e32 v4, v4
	v_ashrrev_i32_e32 v4, 31, v4
	v_and_b32_e32 v2, exec_lo, v2
	v_xor_b32_e32 v5, s13, v4
	v_xor_b32_e32 v4, s12, v4
	v_and_b32_e32 v2, v2, v4
	v_lshlrev_b32_e32 v4, 29, v14
	v_cmp_gt_i64_e64 s[12:13], 0, v[3:4]
	v_not_b32_e32 v4, v4
	v_and_b32_e32 v1, exec_hi, v1
	v_ashrrev_i32_e32 v4, 31, v4
	v_and_b32_e32 v1, v1, v5
	v_xor_b32_e32 v5, s13, v4
	v_xor_b32_e32 v4, s12, v4
	v_and_b32_e32 v2, v2, v4
	v_lshlrev_b32_e32 v4, 28, v14
	v_cmp_gt_i64_e64 s[12:13], 0, v[3:4]
	v_not_b32_e32 v4, v4
	v_ashrrev_i32_e32 v4, 31, v4
	v_and_b32_e32 v1, v1, v5
	v_xor_b32_e32 v5, s13, v4
	v_xor_b32_e32 v4, s12, v4
	v_and_b32_e32 v2, v2, v4
	v_lshlrev_b32_e32 v4, 27, v14
	v_cmp_gt_i64_e64 s[12:13], 0, v[3:4]
	v_not_b32_e32 v4, v4
	;; [unrolled: 8-line block ×4, first 2 shown]
	v_ashrrev_i32_e32 v4, 31, v4
	v_and_b32_e32 v1, v1, v5
	v_xor_b32_e32 v5, s13, v4
	v_xor_b32_e32 v4, s12, v4
	v_and_b32_e32 v1, v1, v5
	v_and_b32_e32 v5, v2, v4
	v_lshlrev_b32_e32 v4, 24, v14
	v_cmp_gt_i64_e64 s[12:13], 0, v[3:4]
	v_not_b32_e32 v2, v4
	v_ashrrev_i32_e32 v2, 31, v2
	v_xor_b32_e32 v4, s13, v2
	v_xor_b32_e32 v36, s12, v2
	; wave barrier
	ds_read_b32 v34, v35 offset:4
	v_and_b32_e32 v2, v1, v4
	v_and_b32_e32 v1, v5, v36
	v_mbcnt_lo_u32_b32 v4, v1, 0
	v_mbcnt_hi_u32_b32 v36, v2, v4
	v_cmp_ne_u64_e64 s[12:13], 0, v[1:2]
	v_cmp_eq_u32_e64 s[14:15], 0, v36
	s_and_b64 s[14:15], s[12:13], s[14:15]
	; wave barrier
	s_and_saveexec_b64 s[12:13], s[14:15]
	s_cbranch_execz .LBB54_14
; %bb.13:                               ;   in Loop: Header=BB54_2 Depth=1
	v_bcnt_u32_b32 v1, v1, 0
	v_bcnt_u32_b32 v1, v2, v1
	s_waitcnt lgkmcnt(0)
	v_add_u32_e32 v1, v34, v1
	ds_write_b32 v35, v1 offset:4
.LBB54_14:                              ;   in Loop: Header=BB54_2 Depth=1
	s_or_b64 exec, exec, s[12:13]
	v_and_b32_e32 v1, 0xff, v13
	v_lshl_add_u32 v38, v1, 2, v10
	v_and_b32_e32 v1, 1, v13
	v_add_co_u32_e64 v2, s[12:13], -1, v1
	v_addc_co_u32_e64 v4, s[12:13], 0, -1, s[12:13]
	v_cmp_ne_u32_e64 s[12:13], 0, v1
	v_xor_b32_e32 v1, s13, v4
	v_lshlrev_b32_e32 v4, 30, v13
	v_xor_b32_e32 v2, s12, v2
	v_cmp_gt_i64_e64 s[12:13], 0, v[3:4]
	v_not_b32_e32 v4, v4
	v_ashrrev_i32_e32 v4, 31, v4
	v_and_b32_e32 v2, exec_lo, v2
	v_xor_b32_e32 v5, s13, v4
	v_xor_b32_e32 v4, s12, v4
	v_and_b32_e32 v2, v2, v4
	v_lshlrev_b32_e32 v4, 29, v13
	v_cmp_gt_i64_e64 s[12:13], 0, v[3:4]
	v_not_b32_e32 v4, v4
	v_and_b32_e32 v1, exec_hi, v1
	v_ashrrev_i32_e32 v4, 31, v4
	v_and_b32_e32 v1, v1, v5
	v_xor_b32_e32 v5, s13, v4
	v_xor_b32_e32 v4, s12, v4
	v_and_b32_e32 v2, v2, v4
	v_lshlrev_b32_e32 v4, 28, v13
	v_cmp_gt_i64_e64 s[12:13], 0, v[3:4]
	v_not_b32_e32 v4, v4
	v_ashrrev_i32_e32 v4, 31, v4
	v_and_b32_e32 v1, v1, v5
	v_xor_b32_e32 v5, s13, v4
	v_xor_b32_e32 v4, s12, v4
	v_and_b32_e32 v2, v2, v4
	v_lshlrev_b32_e32 v4, 27, v13
	v_cmp_gt_i64_e64 s[12:13], 0, v[3:4]
	v_not_b32_e32 v4, v4
	v_ashrrev_i32_e32 v4, 31, v4
	v_and_b32_e32 v1, v1, v5
	v_xor_b32_e32 v5, s13, v4
	v_xor_b32_e32 v4, s12, v4
	v_and_b32_e32 v2, v2, v4
	v_lshlrev_b32_e32 v4, 26, v13
	v_cmp_gt_i64_e64 s[12:13], 0, v[3:4]
	v_not_b32_e32 v4, v4
	v_ashrrev_i32_e32 v4, 31, v4
	v_and_b32_e32 v1, v1, v5
	v_xor_b32_e32 v5, s13, v4
	v_xor_b32_e32 v4, s12, v4
	v_and_b32_e32 v2, v2, v4
	v_lshlrev_b32_e32 v4, 25, v13
	v_cmp_gt_i64_e64 s[12:13], 0, v[3:4]
	v_not_b32_e32 v4, v4
	v_ashrrev_i32_e32 v4, 31, v4
	v_and_b32_e32 v1, v1, v5
	v_xor_b32_e32 v5, s13, v4
	v_xor_b32_e32 v4, s12, v4
	v_and_b32_e32 v1, v1, v5
	v_and_b32_e32 v5, v2, v4
	v_lshlrev_b32_e32 v4, 24, v13
	v_cmp_gt_i64_e64 s[12:13], 0, v[3:4]
	v_not_b32_e32 v2, v4
	v_ashrrev_i32_e32 v2, 31, v2
	v_xor_b32_e32 v4, s13, v2
	v_xor_b32_e32 v39, s12, v2
	; wave barrier
	ds_read_b32 v37, v38 offset:4
	v_and_b32_e32 v2, v1, v4
	v_and_b32_e32 v1, v5, v39
	v_mbcnt_lo_u32_b32 v4, v1, 0
	v_mbcnt_hi_u32_b32 v39, v2, v4
	v_cmp_ne_u64_e64 s[12:13], 0, v[1:2]
	v_cmp_eq_u32_e64 s[14:15], 0, v39
	s_and_b64 s[14:15], s[12:13], s[14:15]
	; wave barrier
	s_and_saveexec_b64 s[12:13], s[14:15]
	s_cbranch_execz .LBB54_16
; %bb.15:                               ;   in Loop: Header=BB54_2 Depth=1
	v_bcnt_u32_b32 v1, v1, 0
	v_bcnt_u32_b32 v1, v2, v1
	s_waitcnt lgkmcnt(0)
	v_add_u32_e32 v1, v37, v1
	ds_write_b32 v38, v1 offset:4
.LBB54_16:                              ;   in Loop: Header=BB54_2 Depth=1
	s_or_b64 exec, exec, s[12:13]
	v_and_b32_e32 v1, 0xff, v12
	v_lshl_add_u32 v41, v1, 2, v10
	v_and_b32_e32 v1, 1, v12
	v_add_co_u32_e64 v2, s[12:13], -1, v1
	v_addc_co_u32_e64 v4, s[12:13], 0, -1, s[12:13]
	v_cmp_ne_u32_e64 s[12:13], 0, v1
	v_xor_b32_e32 v1, s13, v4
	v_lshlrev_b32_e32 v4, 30, v12
	v_xor_b32_e32 v2, s12, v2
	v_cmp_gt_i64_e64 s[12:13], 0, v[3:4]
	v_not_b32_e32 v4, v4
	v_ashrrev_i32_e32 v4, 31, v4
	v_and_b32_e32 v2, exec_lo, v2
	v_xor_b32_e32 v5, s13, v4
	v_xor_b32_e32 v4, s12, v4
	v_and_b32_e32 v2, v2, v4
	v_lshlrev_b32_e32 v4, 29, v12
	v_cmp_gt_i64_e64 s[12:13], 0, v[3:4]
	v_not_b32_e32 v4, v4
	v_and_b32_e32 v1, exec_hi, v1
	v_ashrrev_i32_e32 v4, 31, v4
	v_and_b32_e32 v1, v1, v5
	v_xor_b32_e32 v5, s13, v4
	v_xor_b32_e32 v4, s12, v4
	v_and_b32_e32 v2, v2, v4
	v_lshlrev_b32_e32 v4, 28, v12
	v_cmp_gt_i64_e64 s[12:13], 0, v[3:4]
	v_not_b32_e32 v4, v4
	v_ashrrev_i32_e32 v4, 31, v4
	v_and_b32_e32 v1, v1, v5
	v_xor_b32_e32 v5, s13, v4
	v_xor_b32_e32 v4, s12, v4
	v_and_b32_e32 v2, v2, v4
	v_lshlrev_b32_e32 v4, 27, v12
	v_cmp_gt_i64_e64 s[12:13], 0, v[3:4]
	v_not_b32_e32 v4, v4
	;; [unrolled: 8-line block ×4, first 2 shown]
	v_ashrrev_i32_e32 v4, 31, v4
	v_and_b32_e32 v1, v1, v5
	v_xor_b32_e32 v5, s13, v4
	v_xor_b32_e32 v4, s12, v4
	v_and_b32_e32 v1, v1, v5
	v_and_b32_e32 v5, v2, v4
	v_lshlrev_b32_e32 v4, 24, v12
	v_cmp_gt_i64_e64 s[12:13], 0, v[3:4]
	v_not_b32_e32 v2, v4
	v_ashrrev_i32_e32 v2, 31, v2
	v_xor_b32_e32 v4, s13, v2
	v_xor_b32_e32 v42, s12, v2
	; wave barrier
	ds_read_b32 v40, v41 offset:4
	v_and_b32_e32 v2, v1, v4
	v_and_b32_e32 v1, v5, v42
	v_mbcnt_lo_u32_b32 v4, v1, 0
	v_mbcnt_hi_u32_b32 v42, v2, v4
	v_cmp_ne_u64_e64 s[12:13], 0, v[1:2]
	v_cmp_eq_u32_e64 s[14:15], 0, v42
	s_and_b64 s[14:15], s[12:13], s[14:15]
	; wave barrier
	s_and_saveexec_b64 s[12:13], s[14:15]
	s_cbranch_execz .LBB54_18
; %bb.17:                               ;   in Loop: Header=BB54_2 Depth=1
	v_bcnt_u32_b32 v1, v1, 0
	v_bcnt_u32_b32 v1, v2, v1
	s_waitcnt lgkmcnt(0)
	v_add_u32_e32 v1, v40, v1
	ds_write_b32 v41, v1 offset:4
.LBB54_18:                              ;   in Loop: Header=BB54_2 Depth=1
	s_or_b64 exec, exec, s[12:13]
	; wave barrier
	s_waitcnt lgkmcnt(0)
	; wave barrier
	ds_read2_b32 v[4:5], v7 offset0:1 offset1:2
	ds_read2_b32 v[1:2], v7 offset0:3 offset1:4
	s_waitcnt lgkmcnt(1)
	v_add_u32_e32 v43, v5, v4
	s_waitcnt lgkmcnt(0)
	v_add3_u32 v2, v43, v1, v2
	s_nop 1
	v_mov_b32_dpp v43, v2 row_shr:1 row_mask:0xf bank_mask:0xf
	v_cndmask_b32_e64 v43, v43, 0, s[2:3]
	v_add_u32_e32 v2, v43, v2
	s_nop 1
	v_mov_b32_dpp v43, v2 row_shr:2 row_mask:0xf bank_mask:0xf
	v_cndmask_b32_e64 v43, 0, v43, s[4:5]
	v_add_u32_e32 v2, v2, v43
	;; [unrolled: 4-line block ×4, first 2 shown]
	s_nop 1
	v_mov_b32_dpp v43, v2 row_bcast:15 row_mask:0xf bank_mask:0xf
	v_cndmask_b32_e64 v43, v43, 0, s[10:11]
	v_add_u32_e32 v2, v2, v43
	s_nop 1
	v_mov_b32_dpp v43, v2 row_bcast:31 row_mask:0xf bank_mask:0xf
	v_cndmask_b32_e64 v43, 0, v43, s[0:1]
	v_add_u32_e32 v2, v2, v43
	s_and_saveexec_b64 s[12:13], vcc
	s_cbranch_execz .LBB54_1
; %bb.19:                               ;   in Loop: Header=BB54_2 Depth=1
	ds_write_b32 v3, v2
	s_branch .LBB54_1
.LBB54_20:
	s_add_u32 s0, s18, s20
	s_addc_u32 s1, s19, 0
	v_mov_b32_e32 v4, s1
	v_add_co_u32_e32 v3, vcc, s0, v0
	v_addc_co_u32_e32 v4, vcc, 0, v4, vcc
	v_lshrrev_b32_e32 v0, 8, v2
	global_store_byte v[3:4], v2, off
	global_store_byte v[3:4], v0, off offset:64
	global_store_byte_d16_hi v[3:4], v2, off offset:128
	v_lshrrev_b32_e32 v0, 24, v2
	global_store_byte v[3:4], v0, off offset:192
	global_store_byte v[3:4], v1, off offset:256
	v_lshrrev_b32_e32 v0, 8, v1
	global_store_byte v[3:4], v0, off offset:320
	global_store_byte_d16_hi v[3:4], v1, off offset:384
	v_lshrrev_b32_e32 v0, 24, v1
	global_store_byte v[3:4], v0, off offset:448
	s_endpgm
	.section	.rodata,"a",@progbits
	.p2align	6, 0x0
	.amdhsa_kernel _Z16sort_keys_kernelI22helper_blocked_blockedaLj64ELj8ELj10EEvPKT0_PS1_
		.amdhsa_group_segment_fixed_size 1040
		.amdhsa_private_segment_fixed_size 0
		.amdhsa_kernarg_size 272
		.amdhsa_user_sgpr_count 6
		.amdhsa_user_sgpr_private_segment_buffer 1
		.amdhsa_user_sgpr_dispatch_ptr 0
		.amdhsa_user_sgpr_queue_ptr 0
		.amdhsa_user_sgpr_kernarg_segment_ptr 1
		.amdhsa_user_sgpr_dispatch_id 0
		.amdhsa_user_sgpr_flat_scratch_init 0
		.amdhsa_user_sgpr_private_segment_size 0
		.amdhsa_uses_dynamic_stack 0
		.amdhsa_system_sgpr_private_segment_wavefront_offset 0
		.amdhsa_system_sgpr_workgroup_id_x 1
		.amdhsa_system_sgpr_workgroup_id_y 0
		.amdhsa_system_sgpr_workgroup_id_z 0
		.amdhsa_system_sgpr_workgroup_info 0
		.amdhsa_system_vgpr_workitem_id 2
		.amdhsa_next_free_vgpr 44
		.amdhsa_next_free_sgpr 28
		.amdhsa_reserve_vcc 1
		.amdhsa_reserve_flat_scratch 0
		.amdhsa_float_round_mode_32 0
		.amdhsa_float_round_mode_16_64 0
		.amdhsa_float_denorm_mode_32 3
		.amdhsa_float_denorm_mode_16_64 3
		.amdhsa_dx10_clamp 1
		.amdhsa_ieee_mode 1
		.amdhsa_fp16_overflow 0
		.amdhsa_exception_fp_ieee_invalid_op 0
		.amdhsa_exception_fp_denorm_src 0
		.amdhsa_exception_fp_ieee_div_zero 0
		.amdhsa_exception_fp_ieee_overflow 0
		.amdhsa_exception_fp_ieee_underflow 0
		.amdhsa_exception_fp_ieee_inexact 0
		.amdhsa_exception_int_div_zero 0
	.end_amdhsa_kernel
	.section	.text._Z16sort_keys_kernelI22helper_blocked_blockedaLj64ELj8ELj10EEvPKT0_PS1_,"axG",@progbits,_Z16sort_keys_kernelI22helper_blocked_blockedaLj64ELj8ELj10EEvPKT0_PS1_,comdat
.Lfunc_end54:
	.size	_Z16sort_keys_kernelI22helper_blocked_blockedaLj64ELj8ELj10EEvPKT0_PS1_, .Lfunc_end54-_Z16sort_keys_kernelI22helper_blocked_blockedaLj64ELj8ELj10EEvPKT0_PS1_
                                        ; -- End function
	.set _Z16sort_keys_kernelI22helper_blocked_blockedaLj64ELj8ELj10EEvPKT0_PS1_.num_vgpr, 44
	.set _Z16sort_keys_kernelI22helper_blocked_blockedaLj64ELj8ELj10EEvPKT0_PS1_.num_agpr, 0
	.set _Z16sort_keys_kernelI22helper_blocked_blockedaLj64ELj8ELj10EEvPKT0_PS1_.numbered_sgpr, 28
	.set _Z16sort_keys_kernelI22helper_blocked_blockedaLj64ELj8ELj10EEvPKT0_PS1_.num_named_barrier, 0
	.set _Z16sort_keys_kernelI22helper_blocked_blockedaLj64ELj8ELj10EEvPKT0_PS1_.private_seg_size, 0
	.set _Z16sort_keys_kernelI22helper_blocked_blockedaLj64ELj8ELj10EEvPKT0_PS1_.uses_vcc, 1
	.set _Z16sort_keys_kernelI22helper_blocked_blockedaLj64ELj8ELj10EEvPKT0_PS1_.uses_flat_scratch, 0
	.set _Z16sort_keys_kernelI22helper_blocked_blockedaLj64ELj8ELj10EEvPKT0_PS1_.has_dyn_sized_stack, 0
	.set _Z16sort_keys_kernelI22helper_blocked_blockedaLj64ELj8ELj10EEvPKT0_PS1_.has_recursion, 0
	.set _Z16sort_keys_kernelI22helper_blocked_blockedaLj64ELj8ELj10EEvPKT0_PS1_.has_indirect_call, 0
	.section	.AMDGPU.csdata,"",@progbits
; Kernel info:
; codeLenInByte = 4512
; TotalNumSgprs: 32
; NumVgprs: 44
; ScratchSize: 0
; MemoryBound: 0
; FloatMode: 240
; IeeeMode: 1
; LDSByteSize: 1040 bytes/workgroup (compile time only)
; SGPRBlocks: 3
; VGPRBlocks: 10
; NumSGPRsForWavesPerEU: 32
; NumVGPRsForWavesPerEU: 44
; Occupancy: 5
; WaveLimiterHint : 0
; COMPUTE_PGM_RSRC2:SCRATCH_EN: 0
; COMPUTE_PGM_RSRC2:USER_SGPR: 6
; COMPUTE_PGM_RSRC2:TRAP_HANDLER: 0
; COMPUTE_PGM_RSRC2:TGID_X_EN: 1
; COMPUTE_PGM_RSRC2:TGID_Y_EN: 0
; COMPUTE_PGM_RSRC2:TGID_Z_EN: 0
; COMPUTE_PGM_RSRC2:TIDIG_COMP_CNT: 2
	.section	.text._Z17sort_pairs_kernelI22helper_blocked_blockedaLj64ELj8ELj10EEvPKT0_PS1_,"axG",@progbits,_Z17sort_pairs_kernelI22helper_blocked_blockedaLj64ELj8ELj10EEvPKT0_PS1_,comdat
	.protected	_Z17sort_pairs_kernelI22helper_blocked_blockedaLj64ELj8ELj10EEvPKT0_PS1_ ; -- Begin function _Z17sort_pairs_kernelI22helper_blocked_blockedaLj64ELj8ELj10EEvPKT0_PS1_
	.globl	_Z17sort_pairs_kernelI22helper_blocked_blockedaLj64ELj8ELj10EEvPKT0_PS1_
	.p2align	8
	.type	_Z17sort_pairs_kernelI22helper_blocked_blockedaLj64ELj8ELj10EEvPKT0_PS1_,@function
_Z17sort_pairs_kernelI22helper_blocked_blockedaLj64ELj8ELj10EEvPKT0_PS1_: ; @_Z17sort_pairs_kernelI22helper_blocked_blockedaLj64ELj8ELj10EEvPKT0_PS1_
; %bb.0:
	s_load_dwordx4 s[16:19], s[4:5], 0x0
	s_load_dword s25, s[4:5], 0x1c
	s_lshl_b32 s20, s6, 9
	v_mbcnt_lo_u32_b32 v6, -1, 0
	v_mbcnt_hi_u32_b32 v6, -1, v6
	s_waitcnt lgkmcnt(0)
	s_add_u32 s0, s16, s20
	s_addc_u32 s1, s17, 0
	global_load_ubyte v4, v0, s[0:1]
	global_load_ubyte v5, v0, s[0:1] offset:128
	global_load_ubyte v11, v0, s[0:1] offset:256
	;; [unrolled: 1-line block ×7, first 2 shown]
	s_lshr_b32 s28, s25, 16
	s_and_b32 s25, s25, 0xffff
	v_mad_u32_u24 v1, v2, s28, v1
	v_subrev_co_u32_e64 v18, s[14:15], 1, v6
	v_and_b32_e32 v19, 64, v6
	v_mad_u32_u24 v1, v1, s25, v0
	s_mov_b32 s26, 0xc0c0004
	v_lshlrev_b32_e32 v9, 3, v0
	v_and_b32_e32 v10, 15, v6
	v_and_b32_e32 v17, 16, v6
	v_cmp_lt_i32_e64 s[16:17], v18, v19
	v_lshrrev_b32_e32 v1, 4, v1
	v_sub_u32_e32 v20, 0, v9
	v_cmp_eq_u32_e64 s[2:3], 0, v10
	v_cmp_lt_u32_e64 s[4:5], 1, v10
	v_cmp_lt_u32_e64 s[6:7], 3, v10
	;; [unrolled: 1-line block ×3, first 2 shown]
	v_cmp_eq_u32_e64 s[10:11], 0, v17
	v_cndmask_b32_e64 v9, v18, v6, s[16:17]
	v_and_b32_e32 v10, 0xffffffc, v1
	s_movk_i32 s27, 0x100
	v_lshlrev_b32_e32 v7, 4, v0
	v_cmp_eq_u32_e64 s[12:13], 0, v0
	v_mov_b32_e32 v3, 0
	s_mov_b32 s21, 10
	s_movk_i32 s22, 0xff00
	s_movk_i32 s23, 0x80
	;; [unrolled: 1-line block ×3, first 2 shown]
	v_cmp_eq_u32_e32 vcc, 63, v0
	v_lshlrev_b32_e32 v8, 3, v6
	v_cmp_lt_u32_e64 s[0:1], 31, v6
	v_lshlrev_b32_e32 v9, 2, v9
	s_or_b64 s[16:17], s[12:13], s[14:15]
	s_waitcnt vmcnt(7)
	v_add_u16_e32 v1, 1, v4
	s_waitcnt vmcnt(6)
	v_add_u16_e32 v2, 1, v5
	;; [unrolled: 2-line block ×3, first 2 shown]
	s_waitcnt vmcnt(3)
	v_perm_b32 v11, v11, v13, s26
	s_waitcnt vmcnt(2)
	v_perm_b32 v5, v5, v14, s26
	;; [unrolled: 2-line block ×3, first 2 shown]
	s_waitcnt vmcnt(0)
	v_add_u16_e32 v18, 1, v16
	v_lshlrev_b16_e32 v14, 8, v14
	v_lshlrev_b16_e32 v15, 8, v15
	v_perm_b32 v16, v16, v12, s26
	v_lshlrev_b16_e32 v12, 8, v12
	v_lshlrev_b16_e32 v13, 8, v13
	v_lshl_or_b32 v4, v5, 16, v4
	v_lshl_or_b32 v5, v16, 16, v11
	v_or_b32_sdwa v1, v15, v1 dst_sel:DWORD dst_unused:UNUSED_PAD src0_sel:DWORD src1_sel:BYTE_0
	v_or_b32_sdwa v2, v14, v2 dst_sel:DWORD dst_unused:UNUSED_PAD src0_sel:DWORD src1_sel:BYTE_0
	;; [unrolled: 1-line block ×4, first 2 shown]
	v_add_u16_e32 v1, 0x100, v1
	v_add_u16_sdwa v2, v2, s27 dst_sel:WORD_1 dst_unused:UNUSED_PAD src0_sel:DWORD src1_sel:DWORD
	v_add_u16_e32 v11, 0x100, v11
	v_add_u16_sdwa v12, v12, s27 dst_sel:WORD_1 dst_unused:UNUSED_PAD src0_sel:DWORD src1_sel:DWORD
	v_or_b32_e32 v1, v1, v2
	v_or_b32_e32 v2, v11, v12
	v_add_u32_e32 v11, v7, v20
	s_branch .LBB55_2
.LBB55_1:                               ;   in Loop: Header=BB55_2 Depth=1
	s_or_b64 exec, exec, s[12:13]
	ds_bpermute_b32 v2, v9, v2
	s_waitcnt lgkmcnt(0)
	; wave barrier
	s_add_i32 s21, s21, -1
	s_cmp_eq_u32 s21, 0
	v_cndmask_b32_e64 v2, v2, 0, s[16:17]
	v_add_u32_e32 v4, v2, v4
	v_add_u32_e32 v5, v4, v5
	v_add_u32_e32 v1, v5, v1
	ds_write2_b32 v7, v2, v4 offset0:1 offset1:2
	ds_write2_b32 v7, v5, v1 offset0:3 offset1:4
	s_waitcnt lgkmcnt(0)
	; wave barrier
	ds_read_b32 v1, v29 offset:4
	ds_read_b32 v2, v31 offset:4
	;; [unrolled: 1-line block ×8, first 2 shown]
	s_waitcnt lgkmcnt(7)
	v_add_u32_e32 v1, v1, v28
	s_waitcnt lgkmcnt(6)
	v_add3_u32 v2, v32, v30, v2
	s_waitcnt lgkmcnt(0)
	; wave barrier
	ds_write_b8 v1, v19
	ds_write_b8 v2, v18
	v_add3_u32 v18, v35, v33, v4
	ds_write_b8 v18, v17
	v_add3_u32 v17, v38, v36, v5
	ds_write_b8 v17, v16
	v_add3_u32 v16, v41, v39, v29
	ds_write_b8 v16, v15
	v_add3_u32 v15, v44, v42, v31
	ds_write_b8 v15, v14
	v_add3_u32 v14, v47, v45, v34
	ds_write_b8 v14, v13
	v_add3_u32 v13, v50, v48, v37
	ds_write_b8 v13, v12
	s_waitcnt lgkmcnt(0)
	; wave barrier
	ds_read_b64 v[4:5], v11
	s_waitcnt lgkmcnt(0)
	; wave barrier
	ds_write_b8 v1, v20
	ds_write_b8 v2, v21
	;; [unrolled: 1-line block ×8, first 2 shown]
	s_waitcnt lgkmcnt(0)
	v_and_b32_e32 v12, 0xffffff00, v4
	v_xor_b32_e32 v19, 0x80, v4
	v_or_b32_sdwa v12, v19, v12 dst_sel:DWORD dst_unused:UNUSED_PAD src0_sel:BYTE_0 src1_sel:DWORD
	v_and_b32_sdwa v19, v4, s22 dst_sel:DWORD dst_unused:UNUSED_PAD src0_sel:WORD_1 src1_sel:DWORD
	v_xor_b32_sdwa v4, v4, s23 dst_sel:DWORD dst_unused:UNUSED_PAD src0_sel:WORD_1 src1_sel:DWORD
	v_or_b32_sdwa v4, v4, v19 dst_sel:DWORD dst_unused:UNUSED_PAD src0_sel:BYTE_0 src1_sel:DWORD
	v_add_u16_e32 v12, 0x8000, v12
	v_add_u16_sdwa v4, v4, s24 dst_sel:WORD_1 dst_unused:UNUSED_PAD src0_sel:DWORD src1_sel:DWORD
	v_or_b32_e32 v4, v12, v4
	; wave barrier
	ds_read_b64 v[1:2], v11
	v_and_b32_e32 v12, 0xffffff00, v5
	v_xor_b32_e32 v13, 0x80, v5
	v_or_b32_sdwa v12, v13, v12 dst_sel:DWORD dst_unused:UNUSED_PAD src0_sel:BYTE_0 src1_sel:DWORD
	v_and_b32_sdwa v13, v5, s22 dst_sel:DWORD dst_unused:UNUSED_PAD src0_sel:WORD_1 src1_sel:DWORD
	v_xor_b32_sdwa v5, v5, s23 dst_sel:DWORD dst_unused:UNUSED_PAD src0_sel:WORD_1 src1_sel:DWORD
	v_or_b32_sdwa v5, v5, v13 dst_sel:DWORD dst_unused:UNUSED_PAD src0_sel:BYTE_0 src1_sel:DWORD
	v_add_u16_e32 v12, 0x8000, v12
	v_add_u16_sdwa v5, v5, s24 dst_sel:WORD_1 dst_unused:UNUSED_PAD src0_sel:DWORD src1_sel:DWORD
	v_or_b32_e32 v5, v12, v5
	s_cbranch_scc1 .LBB55_20
.LBB55_2:                               ; =>This Inner Loop Header: Depth=1
	v_and_b32_e32 v12, 0xffffff00, v4
	v_xor_b32_e32 v13, 0x80, v4
	v_or_b32_sdwa v12, v13, v12 dst_sel:DWORD dst_unused:UNUSED_PAD src0_sel:BYTE_0 src1_sel:DWORD
	v_and_b32_sdwa v13, v4, s22 dst_sel:DWORD dst_unused:UNUSED_PAD src0_sel:WORD_1 src1_sel:DWORD
	v_xor_b32_sdwa v4, v4, s23 dst_sel:DWORD dst_unused:UNUSED_PAD src0_sel:WORD_1 src1_sel:DWORD
	v_or_b32_sdwa v4, v4, v13 dst_sel:DWORD dst_unused:UNUSED_PAD src0_sel:BYTE_0 src1_sel:DWORD
	v_add_u16_e32 v12, 0x8000, v12
	v_add_u16_sdwa v4, v4, s24 dst_sel:WORD_1 dst_unused:UNUSED_PAD src0_sel:DWORD src1_sel:DWORD
	v_or_b32_e32 v4, v12, v4
	v_and_b32_e32 v12, 0xffffff00, v5
	v_xor_b32_e32 v13, 0x80, v5
	v_or_b32_sdwa v12, v13, v12 dst_sel:DWORD dst_unused:UNUSED_PAD src0_sel:BYTE_0 src1_sel:DWORD
	v_and_b32_sdwa v13, v5, s22 dst_sel:DWORD dst_unused:UNUSED_PAD src0_sel:WORD_1 src1_sel:DWORD
	v_xor_b32_sdwa v5, v5, s23 dst_sel:DWORD dst_unused:UNUSED_PAD src0_sel:WORD_1 src1_sel:DWORD
	v_or_b32_sdwa v5, v5, v13 dst_sel:DWORD dst_unused:UNUSED_PAD src0_sel:BYTE_0 src1_sel:DWORD
	v_add_u16_e32 v12, 0x8000, v12
	v_add_u16_sdwa v5, v5, s24 dst_sel:WORD_1 dst_unused:UNUSED_PAD src0_sel:DWORD src1_sel:DWORD
	v_or_b32_e32 v5, v12, v5
	ds_write_b64 v8, v[4:5]
	; wave barrier
	ds_read_u8 v19, v6
	ds_read_u8 v18, v6 offset:64
	ds_read_u8 v17, v6 offset:128
	;; [unrolled: 1-line block ×7, first 2 shown]
	; wave barrier
	s_waitcnt lgkmcnt(9)
	ds_write_b64 v8, v[1:2]
	s_waitcnt lgkmcnt(8)
	v_and_b32_e32 v1, 1, v19
	v_add_co_u32_e64 v2, s[12:13], -1, v1
	v_addc_co_u32_e64 v4, s[12:13], 0, -1, s[12:13]
	v_cmp_ne_u32_e64 s[12:13], 0, v1
	v_xor_b32_e32 v1, s13, v4
	v_lshlrev_b32_e32 v4, 30, v19
	v_xor_b32_e32 v2, s12, v2
	v_cmp_gt_i64_e64 s[12:13], 0, v[3:4]
	v_not_b32_e32 v4, v4
	v_ashrrev_i32_e32 v4, 31, v4
	v_and_b32_e32 v2, exec_lo, v2
	v_xor_b32_e32 v5, s13, v4
	v_xor_b32_e32 v4, s12, v4
	v_and_b32_e32 v2, v2, v4
	v_lshlrev_b32_e32 v4, 29, v19
	v_cmp_gt_i64_e64 s[12:13], 0, v[3:4]
	v_not_b32_e32 v4, v4
	v_and_b32_e32 v1, exec_hi, v1
	v_ashrrev_i32_e32 v4, 31, v4
	v_and_b32_e32 v1, v1, v5
	v_xor_b32_e32 v5, s13, v4
	v_xor_b32_e32 v4, s12, v4
	v_and_b32_e32 v2, v2, v4
	v_lshlrev_b32_e32 v4, 28, v19
	v_cmp_gt_i64_e64 s[12:13], 0, v[3:4]
	v_not_b32_e32 v4, v4
	v_ashrrev_i32_e32 v4, 31, v4
	v_and_b32_e32 v1, v1, v5
	v_xor_b32_e32 v5, s13, v4
	v_xor_b32_e32 v4, s12, v4
	v_and_b32_e32 v2, v2, v4
	v_lshlrev_b32_e32 v4, 27, v19
	v_cmp_gt_i64_e64 s[12:13], 0, v[3:4]
	v_not_b32_e32 v4, v4
	;; [unrolled: 8-line block ×4, first 2 shown]
	v_ashrrev_i32_e32 v4, 31, v4
	v_and_b32_e32 v1, v1, v5
	v_xor_b32_e32 v5, s13, v4
	v_xor_b32_e32 v4, s12, v4
	v_and_b32_e32 v1, v1, v5
	v_and_b32_e32 v5, v2, v4
	v_lshlrev_b32_e32 v4, 24, v19
	v_cmp_gt_i64_e64 s[12:13], 0, v[3:4]
	v_not_b32_e32 v2, v4
	v_ashrrev_i32_e32 v2, 31, v2
	v_xor_b32_e32 v4, s13, v2
	v_xor_b32_e32 v20, s12, v2
	; wave barrier
	v_and_b32_e32 v2, v1, v4
	v_and_b32_e32 v1, v5, v20
	ds_read_u8 v20, v6
	ds_read_u8 v21, v6 offset:64
	ds_read_u8 v22, v6 offset:128
	;; [unrolled: 1-line block ×7, first 2 shown]
	v_and_b32_e32 v4, 0xff, v19
	v_lshl_add_u32 v29, v4, 2, v10
	v_mbcnt_lo_u32_b32 v4, v1, 0
	v_mbcnt_hi_u32_b32 v28, v2, v4
	v_cmp_ne_u64_e64 s[12:13], 0, v[1:2]
	v_cmp_eq_u32_e64 s[14:15], 0, v28
	s_and_b64 s[14:15], s[12:13], s[14:15]
	s_waitcnt lgkmcnt(0)
	; wave barrier
	ds_write2_b32 v7, v3, v3 offset0:1 offset1:2
	ds_write2_b32 v7, v3, v3 offset0:3 offset1:4
	s_waitcnt lgkmcnt(0)
	; wave barrier
	; wave barrier
	s_and_saveexec_b64 s[12:13], s[14:15]
; %bb.3:                                ;   in Loop: Header=BB55_2 Depth=1
	v_bcnt_u32_b32 v1, v1, 0
	v_bcnt_u32_b32 v1, v2, v1
	ds_write_b32 v29, v1 offset:4
; %bb.4:                                ;   in Loop: Header=BB55_2 Depth=1
	s_or_b64 exec, exec, s[12:13]
	v_and_b32_e32 v1, 0xff, v18
	v_lshl_add_u32 v31, v1, 2, v10
	v_and_b32_e32 v1, 1, v18
	v_add_co_u32_e64 v2, s[12:13], -1, v1
	v_addc_co_u32_e64 v4, s[12:13], 0, -1, s[12:13]
	v_cmp_ne_u32_e64 s[12:13], 0, v1
	v_xor_b32_e32 v1, s13, v4
	v_lshlrev_b32_e32 v4, 30, v18
	v_xor_b32_e32 v2, s12, v2
	v_cmp_gt_i64_e64 s[12:13], 0, v[3:4]
	v_not_b32_e32 v4, v4
	v_ashrrev_i32_e32 v4, 31, v4
	v_and_b32_e32 v2, exec_lo, v2
	v_xor_b32_e32 v5, s13, v4
	v_xor_b32_e32 v4, s12, v4
	v_and_b32_e32 v2, v2, v4
	v_lshlrev_b32_e32 v4, 29, v18
	v_cmp_gt_i64_e64 s[12:13], 0, v[3:4]
	v_not_b32_e32 v4, v4
	v_and_b32_e32 v1, exec_hi, v1
	v_ashrrev_i32_e32 v4, 31, v4
	v_and_b32_e32 v1, v1, v5
	v_xor_b32_e32 v5, s13, v4
	v_xor_b32_e32 v4, s12, v4
	v_and_b32_e32 v2, v2, v4
	v_lshlrev_b32_e32 v4, 28, v18
	v_cmp_gt_i64_e64 s[12:13], 0, v[3:4]
	v_not_b32_e32 v4, v4
	v_ashrrev_i32_e32 v4, 31, v4
	v_and_b32_e32 v1, v1, v5
	v_xor_b32_e32 v5, s13, v4
	v_xor_b32_e32 v4, s12, v4
	v_and_b32_e32 v2, v2, v4
	v_lshlrev_b32_e32 v4, 27, v18
	v_cmp_gt_i64_e64 s[12:13], 0, v[3:4]
	v_not_b32_e32 v4, v4
	;; [unrolled: 8-line block ×4, first 2 shown]
	v_ashrrev_i32_e32 v4, 31, v4
	v_and_b32_e32 v1, v1, v5
	v_xor_b32_e32 v5, s13, v4
	v_xor_b32_e32 v4, s12, v4
	v_and_b32_e32 v1, v1, v5
	v_and_b32_e32 v5, v2, v4
	v_lshlrev_b32_e32 v4, 24, v18
	v_cmp_gt_i64_e64 s[12:13], 0, v[3:4]
	v_not_b32_e32 v2, v4
	v_ashrrev_i32_e32 v2, 31, v2
	v_xor_b32_e32 v4, s13, v2
	v_xor_b32_e32 v32, s12, v2
	; wave barrier
	ds_read_b32 v30, v31 offset:4
	v_and_b32_e32 v2, v1, v4
	v_and_b32_e32 v1, v5, v32
	v_mbcnt_lo_u32_b32 v4, v1, 0
	v_mbcnt_hi_u32_b32 v32, v2, v4
	v_cmp_ne_u64_e64 s[12:13], 0, v[1:2]
	v_cmp_eq_u32_e64 s[14:15], 0, v32
	s_and_b64 s[14:15], s[12:13], s[14:15]
	; wave barrier
	s_and_saveexec_b64 s[12:13], s[14:15]
	s_cbranch_execz .LBB55_6
; %bb.5:                                ;   in Loop: Header=BB55_2 Depth=1
	v_bcnt_u32_b32 v1, v1, 0
	v_bcnt_u32_b32 v1, v2, v1
	s_waitcnt lgkmcnt(0)
	v_add_u32_e32 v1, v30, v1
	ds_write_b32 v31, v1 offset:4
.LBB55_6:                               ;   in Loop: Header=BB55_2 Depth=1
	s_or_b64 exec, exec, s[12:13]
	v_and_b32_e32 v1, 0xff, v17
	v_lshl_add_u32 v34, v1, 2, v10
	v_and_b32_e32 v1, 1, v17
	v_add_co_u32_e64 v2, s[12:13], -1, v1
	v_addc_co_u32_e64 v4, s[12:13], 0, -1, s[12:13]
	v_cmp_ne_u32_e64 s[12:13], 0, v1
	v_xor_b32_e32 v1, s13, v4
	v_lshlrev_b32_e32 v4, 30, v17
	v_xor_b32_e32 v2, s12, v2
	v_cmp_gt_i64_e64 s[12:13], 0, v[3:4]
	v_not_b32_e32 v4, v4
	v_ashrrev_i32_e32 v4, 31, v4
	v_and_b32_e32 v2, exec_lo, v2
	v_xor_b32_e32 v5, s13, v4
	v_xor_b32_e32 v4, s12, v4
	v_and_b32_e32 v2, v2, v4
	v_lshlrev_b32_e32 v4, 29, v17
	v_cmp_gt_i64_e64 s[12:13], 0, v[3:4]
	v_not_b32_e32 v4, v4
	v_and_b32_e32 v1, exec_hi, v1
	v_ashrrev_i32_e32 v4, 31, v4
	v_and_b32_e32 v1, v1, v5
	v_xor_b32_e32 v5, s13, v4
	v_xor_b32_e32 v4, s12, v4
	v_and_b32_e32 v2, v2, v4
	v_lshlrev_b32_e32 v4, 28, v17
	v_cmp_gt_i64_e64 s[12:13], 0, v[3:4]
	v_not_b32_e32 v4, v4
	v_ashrrev_i32_e32 v4, 31, v4
	v_and_b32_e32 v1, v1, v5
	v_xor_b32_e32 v5, s13, v4
	v_xor_b32_e32 v4, s12, v4
	v_and_b32_e32 v2, v2, v4
	v_lshlrev_b32_e32 v4, 27, v17
	v_cmp_gt_i64_e64 s[12:13], 0, v[3:4]
	v_not_b32_e32 v4, v4
	;; [unrolled: 8-line block ×4, first 2 shown]
	v_ashrrev_i32_e32 v4, 31, v4
	v_and_b32_e32 v1, v1, v5
	v_xor_b32_e32 v5, s13, v4
	v_xor_b32_e32 v4, s12, v4
	v_and_b32_e32 v1, v1, v5
	v_and_b32_e32 v5, v2, v4
	v_lshlrev_b32_e32 v4, 24, v17
	v_cmp_gt_i64_e64 s[12:13], 0, v[3:4]
	v_not_b32_e32 v2, v4
	v_ashrrev_i32_e32 v2, 31, v2
	v_xor_b32_e32 v4, s13, v2
	v_xor_b32_e32 v35, s12, v2
	; wave barrier
	ds_read_b32 v33, v34 offset:4
	v_and_b32_e32 v2, v1, v4
	v_and_b32_e32 v1, v5, v35
	v_mbcnt_lo_u32_b32 v4, v1, 0
	v_mbcnt_hi_u32_b32 v35, v2, v4
	v_cmp_ne_u64_e64 s[12:13], 0, v[1:2]
	v_cmp_eq_u32_e64 s[14:15], 0, v35
	s_and_b64 s[14:15], s[12:13], s[14:15]
	; wave barrier
	s_and_saveexec_b64 s[12:13], s[14:15]
	s_cbranch_execz .LBB55_8
; %bb.7:                                ;   in Loop: Header=BB55_2 Depth=1
	v_bcnt_u32_b32 v1, v1, 0
	v_bcnt_u32_b32 v1, v2, v1
	s_waitcnt lgkmcnt(0)
	v_add_u32_e32 v1, v33, v1
	ds_write_b32 v34, v1 offset:4
.LBB55_8:                               ;   in Loop: Header=BB55_2 Depth=1
	s_or_b64 exec, exec, s[12:13]
	v_and_b32_e32 v1, 0xff, v16
	v_lshl_add_u32 v37, v1, 2, v10
	v_and_b32_e32 v1, 1, v16
	v_add_co_u32_e64 v2, s[12:13], -1, v1
	v_addc_co_u32_e64 v4, s[12:13], 0, -1, s[12:13]
	v_cmp_ne_u32_e64 s[12:13], 0, v1
	v_xor_b32_e32 v1, s13, v4
	v_lshlrev_b32_e32 v4, 30, v16
	v_xor_b32_e32 v2, s12, v2
	v_cmp_gt_i64_e64 s[12:13], 0, v[3:4]
	v_not_b32_e32 v4, v4
	v_ashrrev_i32_e32 v4, 31, v4
	v_and_b32_e32 v2, exec_lo, v2
	v_xor_b32_e32 v5, s13, v4
	v_xor_b32_e32 v4, s12, v4
	v_and_b32_e32 v2, v2, v4
	v_lshlrev_b32_e32 v4, 29, v16
	v_cmp_gt_i64_e64 s[12:13], 0, v[3:4]
	v_not_b32_e32 v4, v4
	v_and_b32_e32 v1, exec_hi, v1
	v_ashrrev_i32_e32 v4, 31, v4
	v_and_b32_e32 v1, v1, v5
	v_xor_b32_e32 v5, s13, v4
	v_xor_b32_e32 v4, s12, v4
	v_and_b32_e32 v2, v2, v4
	v_lshlrev_b32_e32 v4, 28, v16
	v_cmp_gt_i64_e64 s[12:13], 0, v[3:4]
	v_not_b32_e32 v4, v4
	v_ashrrev_i32_e32 v4, 31, v4
	v_and_b32_e32 v1, v1, v5
	v_xor_b32_e32 v5, s13, v4
	v_xor_b32_e32 v4, s12, v4
	v_and_b32_e32 v2, v2, v4
	v_lshlrev_b32_e32 v4, 27, v16
	v_cmp_gt_i64_e64 s[12:13], 0, v[3:4]
	v_not_b32_e32 v4, v4
	v_ashrrev_i32_e32 v4, 31, v4
	v_and_b32_e32 v1, v1, v5
	v_xor_b32_e32 v5, s13, v4
	v_xor_b32_e32 v4, s12, v4
	v_and_b32_e32 v2, v2, v4
	v_lshlrev_b32_e32 v4, 26, v16
	v_cmp_gt_i64_e64 s[12:13], 0, v[3:4]
	v_not_b32_e32 v4, v4
	v_ashrrev_i32_e32 v4, 31, v4
	v_and_b32_e32 v1, v1, v5
	v_xor_b32_e32 v5, s13, v4
	v_xor_b32_e32 v4, s12, v4
	v_and_b32_e32 v2, v2, v4
	v_lshlrev_b32_e32 v4, 25, v16
	v_cmp_gt_i64_e64 s[12:13], 0, v[3:4]
	v_not_b32_e32 v4, v4
	v_ashrrev_i32_e32 v4, 31, v4
	v_and_b32_e32 v1, v1, v5
	v_xor_b32_e32 v5, s13, v4
	v_xor_b32_e32 v4, s12, v4
	v_and_b32_e32 v1, v1, v5
	v_and_b32_e32 v5, v2, v4
	v_lshlrev_b32_e32 v4, 24, v16
	v_cmp_gt_i64_e64 s[12:13], 0, v[3:4]
	v_not_b32_e32 v2, v4
	v_ashrrev_i32_e32 v2, 31, v2
	v_xor_b32_e32 v4, s13, v2
	v_xor_b32_e32 v38, s12, v2
	; wave barrier
	ds_read_b32 v36, v37 offset:4
	v_and_b32_e32 v2, v1, v4
	v_and_b32_e32 v1, v5, v38
	v_mbcnt_lo_u32_b32 v4, v1, 0
	v_mbcnt_hi_u32_b32 v38, v2, v4
	v_cmp_ne_u64_e64 s[12:13], 0, v[1:2]
	v_cmp_eq_u32_e64 s[14:15], 0, v38
	s_and_b64 s[14:15], s[12:13], s[14:15]
	; wave barrier
	s_and_saveexec_b64 s[12:13], s[14:15]
	s_cbranch_execz .LBB55_10
; %bb.9:                                ;   in Loop: Header=BB55_2 Depth=1
	v_bcnt_u32_b32 v1, v1, 0
	v_bcnt_u32_b32 v1, v2, v1
	s_waitcnt lgkmcnt(0)
	v_add_u32_e32 v1, v36, v1
	ds_write_b32 v37, v1 offset:4
.LBB55_10:                              ;   in Loop: Header=BB55_2 Depth=1
	s_or_b64 exec, exec, s[12:13]
	v_and_b32_e32 v1, 0xff, v15
	v_lshl_add_u32 v40, v1, 2, v10
	v_and_b32_e32 v1, 1, v15
	v_add_co_u32_e64 v2, s[12:13], -1, v1
	v_addc_co_u32_e64 v4, s[12:13], 0, -1, s[12:13]
	v_cmp_ne_u32_e64 s[12:13], 0, v1
	v_xor_b32_e32 v1, s13, v4
	v_lshlrev_b32_e32 v4, 30, v15
	v_xor_b32_e32 v2, s12, v2
	v_cmp_gt_i64_e64 s[12:13], 0, v[3:4]
	v_not_b32_e32 v4, v4
	v_ashrrev_i32_e32 v4, 31, v4
	v_and_b32_e32 v2, exec_lo, v2
	v_xor_b32_e32 v5, s13, v4
	v_xor_b32_e32 v4, s12, v4
	v_and_b32_e32 v2, v2, v4
	v_lshlrev_b32_e32 v4, 29, v15
	v_cmp_gt_i64_e64 s[12:13], 0, v[3:4]
	v_not_b32_e32 v4, v4
	v_and_b32_e32 v1, exec_hi, v1
	v_ashrrev_i32_e32 v4, 31, v4
	v_and_b32_e32 v1, v1, v5
	v_xor_b32_e32 v5, s13, v4
	v_xor_b32_e32 v4, s12, v4
	v_and_b32_e32 v2, v2, v4
	v_lshlrev_b32_e32 v4, 28, v15
	v_cmp_gt_i64_e64 s[12:13], 0, v[3:4]
	v_not_b32_e32 v4, v4
	v_ashrrev_i32_e32 v4, 31, v4
	v_and_b32_e32 v1, v1, v5
	v_xor_b32_e32 v5, s13, v4
	v_xor_b32_e32 v4, s12, v4
	v_and_b32_e32 v2, v2, v4
	v_lshlrev_b32_e32 v4, 27, v15
	v_cmp_gt_i64_e64 s[12:13], 0, v[3:4]
	v_not_b32_e32 v4, v4
	;; [unrolled: 8-line block ×4, first 2 shown]
	v_ashrrev_i32_e32 v4, 31, v4
	v_and_b32_e32 v1, v1, v5
	v_xor_b32_e32 v5, s13, v4
	v_xor_b32_e32 v4, s12, v4
	v_and_b32_e32 v1, v1, v5
	v_and_b32_e32 v5, v2, v4
	v_lshlrev_b32_e32 v4, 24, v15
	v_cmp_gt_i64_e64 s[12:13], 0, v[3:4]
	v_not_b32_e32 v2, v4
	v_ashrrev_i32_e32 v2, 31, v2
	v_xor_b32_e32 v4, s13, v2
	v_xor_b32_e32 v41, s12, v2
	; wave barrier
	ds_read_b32 v39, v40 offset:4
	v_and_b32_e32 v2, v1, v4
	v_and_b32_e32 v1, v5, v41
	v_mbcnt_lo_u32_b32 v4, v1, 0
	v_mbcnt_hi_u32_b32 v41, v2, v4
	v_cmp_ne_u64_e64 s[12:13], 0, v[1:2]
	v_cmp_eq_u32_e64 s[14:15], 0, v41
	s_and_b64 s[14:15], s[12:13], s[14:15]
	; wave barrier
	s_and_saveexec_b64 s[12:13], s[14:15]
	s_cbranch_execz .LBB55_12
; %bb.11:                               ;   in Loop: Header=BB55_2 Depth=1
	v_bcnt_u32_b32 v1, v1, 0
	v_bcnt_u32_b32 v1, v2, v1
	s_waitcnt lgkmcnt(0)
	v_add_u32_e32 v1, v39, v1
	ds_write_b32 v40, v1 offset:4
.LBB55_12:                              ;   in Loop: Header=BB55_2 Depth=1
	s_or_b64 exec, exec, s[12:13]
	v_and_b32_e32 v1, 0xff, v14
	v_lshl_add_u32 v43, v1, 2, v10
	v_and_b32_e32 v1, 1, v14
	v_add_co_u32_e64 v2, s[12:13], -1, v1
	v_addc_co_u32_e64 v4, s[12:13], 0, -1, s[12:13]
	v_cmp_ne_u32_e64 s[12:13], 0, v1
	v_xor_b32_e32 v1, s13, v4
	v_lshlrev_b32_e32 v4, 30, v14
	v_xor_b32_e32 v2, s12, v2
	v_cmp_gt_i64_e64 s[12:13], 0, v[3:4]
	v_not_b32_e32 v4, v4
	v_ashrrev_i32_e32 v4, 31, v4
	v_and_b32_e32 v2, exec_lo, v2
	v_xor_b32_e32 v5, s13, v4
	v_xor_b32_e32 v4, s12, v4
	v_and_b32_e32 v2, v2, v4
	v_lshlrev_b32_e32 v4, 29, v14
	v_cmp_gt_i64_e64 s[12:13], 0, v[3:4]
	v_not_b32_e32 v4, v4
	v_and_b32_e32 v1, exec_hi, v1
	v_ashrrev_i32_e32 v4, 31, v4
	v_and_b32_e32 v1, v1, v5
	v_xor_b32_e32 v5, s13, v4
	v_xor_b32_e32 v4, s12, v4
	v_and_b32_e32 v2, v2, v4
	v_lshlrev_b32_e32 v4, 28, v14
	v_cmp_gt_i64_e64 s[12:13], 0, v[3:4]
	v_not_b32_e32 v4, v4
	v_ashrrev_i32_e32 v4, 31, v4
	v_and_b32_e32 v1, v1, v5
	v_xor_b32_e32 v5, s13, v4
	v_xor_b32_e32 v4, s12, v4
	v_and_b32_e32 v2, v2, v4
	v_lshlrev_b32_e32 v4, 27, v14
	v_cmp_gt_i64_e64 s[12:13], 0, v[3:4]
	v_not_b32_e32 v4, v4
	;; [unrolled: 8-line block ×4, first 2 shown]
	v_ashrrev_i32_e32 v4, 31, v4
	v_and_b32_e32 v1, v1, v5
	v_xor_b32_e32 v5, s13, v4
	v_xor_b32_e32 v4, s12, v4
	v_and_b32_e32 v1, v1, v5
	v_and_b32_e32 v5, v2, v4
	v_lshlrev_b32_e32 v4, 24, v14
	v_cmp_gt_i64_e64 s[12:13], 0, v[3:4]
	v_not_b32_e32 v2, v4
	v_ashrrev_i32_e32 v2, 31, v2
	v_xor_b32_e32 v4, s13, v2
	v_xor_b32_e32 v44, s12, v2
	; wave barrier
	ds_read_b32 v42, v43 offset:4
	v_and_b32_e32 v2, v1, v4
	v_and_b32_e32 v1, v5, v44
	v_mbcnt_lo_u32_b32 v4, v1, 0
	v_mbcnt_hi_u32_b32 v44, v2, v4
	v_cmp_ne_u64_e64 s[12:13], 0, v[1:2]
	v_cmp_eq_u32_e64 s[14:15], 0, v44
	s_and_b64 s[14:15], s[12:13], s[14:15]
	; wave barrier
	s_and_saveexec_b64 s[12:13], s[14:15]
	s_cbranch_execz .LBB55_14
; %bb.13:                               ;   in Loop: Header=BB55_2 Depth=1
	v_bcnt_u32_b32 v1, v1, 0
	v_bcnt_u32_b32 v1, v2, v1
	s_waitcnt lgkmcnt(0)
	v_add_u32_e32 v1, v42, v1
	ds_write_b32 v43, v1 offset:4
.LBB55_14:                              ;   in Loop: Header=BB55_2 Depth=1
	s_or_b64 exec, exec, s[12:13]
	v_and_b32_e32 v1, 0xff, v13
	v_lshl_add_u32 v46, v1, 2, v10
	v_and_b32_e32 v1, 1, v13
	v_add_co_u32_e64 v2, s[12:13], -1, v1
	v_addc_co_u32_e64 v4, s[12:13], 0, -1, s[12:13]
	v_cmp_ne_u32_e64 s[12:13], 0, v1
	v_xor_b32_e32 v1, s13, v4
	v_lshlrev_b32_e32 v4, 30, v13
	v_xor_b32_e32 v2, s12, v2
	v_cmp_gt_i64_e64 s[12:13], 0, v[3:4]
	v_not_b32_e32 v4, v4
	v_ashrrev_i32_e32 v4, 31, v4
	v_and_b32_e32 v2, exec_lo, v2
	v_xor_b32_e32 v5, s13, v4
	v_xor_b32_e32 v4, s12, v4
	v_and_b32_e32 v2, v2, v4
	v_lshlrev_b32_e32 v4, 29, v13
	v_cmp_gt_i64_e64 s[12:13], 0, v[3:4]
	v_not_b32_e32 v4, v4
	v_and_b32_e32 v1, exec_hi, v1
	v_ashrrev_i32_e32 v4, 31, v4
	v_and_b32_e32 v1, v1, v5
	v_xor_b32_e32 v5, s13, v4
	v_xor_b32_e32 v4, s12, v4
	v_and_b32_e32 v2, v2, v4
	v_lshlrev_b32_e32 v4, 28, v13
	v_cmp_gt_i64_e64 s[12:13], 0, v[3:4]
	v_not_b32_e32 v4, v4
	v_ashrrev_i32_e32 v4, 31, v4
	v_and_b32_e32 v1, v1, v5
	v_xor_b32_e32 v5, s13, v4
	v_xor_b32_e32 v4, s12, v4
	v_and_b32_e32 v2, v2, v4
	v_lshlrev_b32_e32 v4, 27, v13
	v_cmp_gt_i64_e64 s[12:13], 0, v[3:4]
	v_not_b32_e32 v4, v4
	;; [unrolled: 8-line block ×4, first 2 shown]
	v_ashrrev_i32_e32 v4, 31, v4
	v_and_b32_e32 v1, v1, v5
	v_xor_b32_e32 v5, s13, v4
	v_xor_b32_e32 v4, s12, v4
	v_and_b32_e32 v1, v1, v5
	v_and_b32_e32 v5, v2, v4
	v_lshlrev_b32_e32 v4, 24, v13
	v_cmp_gt_i64_e64 s[12:13], 0, v[3:4]
	v_not_b32_e32 v2, v4
	v_ashrrev_i32_e32 v2, 31, v2
	v_xor_b32_e32 v4, s13, v2
	v_xor_b32_e32 v47, s12, v2
	; wave barrier
	ds_read_b32 v45, v46 offset:4
	v_and_b32_e32 v2, v1, v4
	v_and_b32_e32 v1, v5, v47
	v_mbcnt_lo_u32_b32 v4, v1, 0
	v_mbcnt_hi_u32_b32 v47, v2, v4
	v_cmp_ne_u64_e64 s[12:13], 0, v[1:2]
	v_cmp_eq_u32_e64 s[14:15], 0, v47
	s_and_b64 s[14:15], s[12:13], s[14:15]
	; wave barrier
	s_and_saveexec_b64 s[12:13], s[14:15]
	s_cbranch_execz .LBB55_16
; %bb.15:                               ;   in Loop: Header=BB55_2 Depth=1
	v_bcnt_u32_b32 v1, v1, 0
	v_bcnt_u32_b32 v1, v2, v1
	s_waitcnt lgkmcnt(0)
	v_add_u32_e32 v1, v45, v1
	ds_write_b32 v46, v1 offset:4
.LBB55_16:                              ;   in Loop: Header=BB55_2 Depth=1
	s_or_b64 exec, exec, s[12:13]
	v_and_b32_e32 v1, 0xff, v12
	v_lshl_add_u32 v49, v1, 2, v10
	v_and_b32_e32 v1, 1, v12
	v_add_co_u32_e64 v2, s[12:13], -1, v1
	v_addc_co_u32_e64 v4, s[12:13], 0, -1, s[12:13]
	v_cmp_ne_u32_e64 s[12:13], 0, v1
	v_xor_b32_e32 v1, s13, v4
	v_lshlrev_b32_e32 v4, 30, v12
	v_xor_b32_e32 v2, s12, v2
	v_cmp_gt_i64_e64 s[12:13], 0, v[3:4]
	v_not_b32_e32 v4, v4
	v_ashrrev_i32_e32 v4, 31, v4
	v_and_b32_e32 v2, exec_lo, v2
	v_xor_b32_e32 v5, s13, v4
	v_xor_b32_e32 v4, s12, v4
	v_and_b32_e32 v2, v2, v4
	v_lshlrev_b32_e32 v4, 29, v12
	v_cmp_gt_i64_e64 s[12:13], 0, v[3:4]
	v_not_b32_e32 v4, v4
	v_and_b32_e32 v1, exec_hi, v1
	v_ashrrev_i32_e32 v4, 31, v4
	v_and_b32_e32 v1, v1, v5
	v_xor_b32_e32 v5, s13, v4
	v_xor_b32_e32 v4, s12, v4
	v_and_b32_e32 v2, v2, v4
	v_lshlrev_b32_e32 v4, 28, v12
	v_cmp_gt_i64_e64 s[12:13], 0, v[3:4]
	v_not_b32_e32 v4, v4
	v_ashrrev_i32_e32 v4, 31, v4
	v_and_b32_e32 v1, v1, v5
	v_xor_b32_e32 v5, s13, v4
	v_xor_b32_e32 v4, s12, v4
	v_and_b32_e32 v2, v2, v4
	v_lshlrev_b32_e32 v4, 27, v12
	v_cmp_gt_i64_e64 s[12:13], 0, v[3:4]
	v_not_b32_e32 v4, v4
	;; [unrolled: 8-line block ×4, first 2 shown]
	v_ashrrev_i32_e32 v4, 31, v4
	v_and_b32_e32 v1, v1, v5
	v_xor_b32_e32 v5, s13, v4
	v_xor_b32_e32 v4, s12, v4
	v_and_b32_e32 v1, v1, v5
	v_and_b32_e32 v5, v2, v4
	v_lshlrev_b32_e32 v4, 24, v12
	v_cmp_gt_i64_e64 s[12:13], 0, v[3:4]
	v_not_b32_e32 v2, v4
	v_ashrrev_i32_e32 v2, 31, v2
	v_xor_b32_e32 v4, s13, v2
	v_xor_b32_e32 v50, s12, v2
	; wave barrier
	ds_read_b32 v48, v49 offset:4
	v_and_b32_e32 v2, v1, v4
	v_and_b32_e32 v1, v5, v50
	v_mbcnt_lo_u32_b32 v4, v1, 0
	v_mbcnt_hi_u32_b32 v50, v2, v4
	v_cmp_ne_u64_e64 s[12:13], 0, v[1:2]
	v_cmp_eq_u32_e64 s[14:15], 0, v50
	s_and_b64 s[14:15], s[12:13], s[14:15]
	; wave barrier
	s_and_saveexec_b64 s[12:13], s[14:15]
	s_cbranch_execz .LBB55_18
; %bb.17:                               ;   in Loop: Header=BB55_2 Depth=1
	v_bcnt_u32_b32 v1, v1, 0
	v_bcnt_u32_b32 v1, v2, v1
	s_waitcnt lgkmcnt(0)
	v_add_u32_e32 v1, v48, v1
	ds_write_b32 v49, v1 offset:4
.LBB55_18:                              ;   in Loop: Header=BB55_2 Depth=1
	s_or_b64 exec, exec, s[12:13]
	; wave barrier
	s_waitcnt lgkmcnt(0)
	; wave barrier
	ds_read2_b32 v[4:5], v7 offset0:1 offset1:2
	ds_read2_b32 v[1:2], v7 offset0:3 offset1:4
	s_waitcnt lgkmcnt(1)
	v_add_u32_e32 v51, v5, v4
	s_waitcnt lgkmcnt(0)
	v_add3_u32 v2, v51, v1, v2
	s_nop 1
	v_mov_b32_dpp v51, v2 row_shr:1 row_mask:0xf bank_mask:0xf
	v_cndmask_b32_e64 v51, v51, 0, s[2:3]
	v_add_u32_e32 v2, v51, v2
	s_nop 1
	v_mov_b32_dpp v51, v2 row_shr:2 row_mask:0xf bank_mask:0xf
	v_cndmask_b32_e64 v51, 0, v51, s[4:5]
	v_add_u32_e32 v2, v2, v51
	;; [unrolled: 4-line block ×4, first 2 shown]
	s_nop 1
	v_mov_b32_dpp v51, v2 row_bcast:15 row_mask:0xf bank_mask:0xf
	v_cndmask_b32_e64 v51, v51, 0, s[10:11]
	v_add_u32_e32 v2, v2, v51
	s_nop 1
	v_mov_b32_dpp v51, v2 row_bcast:31 row_mask:0xf bank_mask:0xf
	v_cndmask_b32_e64 v51, 0, v51, s[0:1]
	v_add_u32_e32 v2, v2, v51
	s_and_saveexec_b64 s[12:13], vcc
	s_cbranch_execz .LBB55_1
; %bb.19:                               ;   in Loop: Header=BB55_2 Depth=1
	ds_write_b32 v3, v2
	s_branch .LBB55_1
.LBB55_20:
	v_lshrrev_b32_e32 v6, 8, v4
	s_waitcnt lgkmcnt(0)
	v_lshrrev_b32_e32 v7, 8, v1
	s_add_u32 s0, s18, s20
	v_add_u16_e32 v3, v4, v1
	v_add_u16_e32 v6, v6, v7
	v_add_u16_sdwa v7, v4, v1 dst_sel:DWORD dst_unused:UNUSED_PAD src0_sel:WORD_1 src1_sel:WORD_1
	v_add_u16_sdwa v4, v4, v1 dst_sel:DWORD dst_unused:UNUSED_PAD src0_sel:BYTE_3 src1_sel:BYTE_3
	v_lshrrev_b32_e32 v1, 8, v5
	v_lshrrev_b32_e32 v9, 8, v2
	s_addc_u32 s1, s19, 0
	v_add_u16_e32 v9, v1, v9
	v_mov_b32_e32 v1, s1
	v_add_co_u32_e32 v0, vcc, s0, v0
	v_addc_co_u32_e32 v1, vcc, 0, v1, vcc
	v_add_u16_e32 v8, v5, v2
	v_add_u16_sdwa v10, v5, v2 dst_sel:DWORD dst_unused:UNUSED_PAD src0_sel:WORD_1 src1_sel:WORD_1
	v_add_u16_sdwa v2, v5, v2 dst_sel:DWORD dst_unused:UNUSED_PAD src0_sel:BYTE_3 src1_sel:BYTE_3
	global_store_byte v[0:1], v3, off
	global_store_byte v[0:1], v6, off offset:64
	global_store_byte v[0:1], v7, off offset:128
	;; [unrolled: 1-line block ×7, first 2 shown]
	s_endpgm
	.section	.rodata,"a",@progbits
	.p2align	6, 0x0
	.amdhsa_kernel _Z17sort_pairs_kernelI22helper_blocked_blockedaLj64ELj8ELj10EEvPKT0_PS1_
		.amdhsa_group_segment_fixed_size 1040
		.amdhsa_private_segment_fixed_size 0
		.amdhsa_kernarg_size 272
		.amdhsa_user_sgpr_count 6
		.amdhsa_user_sgpr_private_segment_buffer 1
		.amdhsa_user_sgpr_dispatch_ptr 0
		.amdhsa_user_sgpr_queue_ptr 0
		.amdhsa_user_sgpr_kernarg_segment_ptr 1
		.amdhsa_user_sgpr_dispatch_id 0
		.amdhsa_user_sgpr_flat_scratch_init 0
		.amdhsa_user_sgpr_private_segment_size 0
		.amdhsa_uses_dynamic_stack 0
		.amdhsa_system_sgpr_private_segment_wavefront_offset 0
		.amdhsa_system_sgpr_workgroup_id_x 1
		.amdhsa_system_sgpr_workgroup_id_y 0
		.amdhsa_system_sgpr_workgroup_id_z 0
		.amdhsa_system_sgpr_workgroup_info 0
		.amdhsa_system_vgpr_workitem_id 2
		.amdhsa_next_free_vgpr 52
		.amdhsa_next_free_sgpr 29
		.amdhsa_reserve_vcc 1
		.amdhsa_reserve_flat_scratch 0
		.amdhsa_float_round_mode_32 0
		.amdhsa_float_round_mode_16_64 0
		.amdhsa_float_denorm_mode_32 3
		.amdhsa_float_denorm_mode_16_64 3
		.amdhsa_dx10_clamp 1
		.amdhsa_ieee_mode 1
		.amdhsa_fp16_overflow 0
		.amdhsa_exception_fp_ieee_invalid_op 0
		.amdhsa_exception_fp_denorm_src 0
		.amdhsa_exception_fp_ieee_div_zero 0
		.amdhsa_exception_fp_ieee_overflow 0
		.amdhsa_exception_fp_ieee_underflow 0
		.amdhsa_exception_fp_ieee_inexact 0
		.amdhsa_exception_int_div_zero 0
	.end_amdhsa_kernel
	.section	.text._Z17sort_pairs_kernelI22helper_blocked_blockedaLj64ELj8ELj10EEvPKT0_PS1_,"axG",@progbits,_Z17sort_pairs_kernelI22helper_blocked_blockedaLj64ELj8ELj10EEvPKT0_PS1_,comdat
.Lfunc_end55:
	.size	_Z17sort_pairs_kernelI22helper_blocked_blockedaLj64ELj8ELj10EEvPKT0_PS1_, .Lfunc_end55-_Z17sort_pairs_kernelI22helper_blocked_blockedaLj64ELj8ELj10EEvPKT0_PS1_
                                        ; -- End function
	.set _Z17sort_pairs_kernelI22helper_blocked_blockedaLj64ELj8ELj10EEvPKT0_PS1_.num_vgpr, 52
	.set _Z17sort_pairs_kernelI22helper_blocked_blockedaLj64ELj8ELj10EEvPKT0_PS1_.num_agpr, 0
	.set _Z17sort_pairs_kernelI22helper_blocked_blockedaLj64ELj8ELj10EEvPKT0_PS1_.numbered_sgpr, 29
	.set _Z17sort_pairs_kernelI22helper_blocked_blockedaLj64ELj8ELj10EEvPKT0_PS1_.num_named_barrier, 0
	.set _Z17sort_pairs_kernelI22helper_blocked_blockedaLj64ELj8ELj10EEvPKT0_PS1_.private_seg_size, 0
	.set _Z17sort_pairs_kernelI22helper_blocked_blockedaLj64ELj8ELj10EEvPKT0_PS1_.uses_vcc, 1
	.set _Z17sort_pairs_kernelI22helper_blocked_blockedaLj64ELj8ELj10EEvPKT0_PS1_.uses_flat_scratch, 0
	.set _Z17sort_pairs_kernelI22helper_blocked_blockedaLj64ELj8ELj10EEvPKT0_PS1_.has_dyn_sized_stack, 0
	.set _Z17sort_pairs_kernelI22helper_blocked_blockedaLj64ELj8ELj10EEvPKT0_PS1_.has_recursion, 0
	.set _Z17sort_pairs_kernelI22helper_blocked_blockedaLj64ELj8ELj10EEvPKT0_PS1_.has_indirect_call, 0
	.section	.AMDGPU.csdata,"",@progbits
; Kernel info:
; codeLenInByte = 4840
; TotalNumSgprs: 33
; NumVgprs: 52
; ScratchSize: 0
; MemoryBound: 0
; FloatMode: 240
; IeeeMode: 1
; LDSByteSize: 1040 bytes/workgroup (compile time only)
; SGPRBlocks: 4
; VGPRBlocks: 12
; NumSGPRsForWavesPerEU: 33
; NumVGPRsForWavesPerEU: 52
; Occupancy: 4
; WaveLimiterHint : 0
; COMPUTE_PGM_RSRC2:SCRATCH_EN: 0
; COMPUTE_PGM_RSRC2:USER_SGPR: 6
; COMPUTE_PGM_RSRC2:TRAP_HANDLER: 0
; COMPUTE_PGM_RSRC2:TGID_X_EN: 1
; COMPUTE_PGM_RSRC2:TGID_Y_EN: 0
; COMPUTE_PGM_RSRC2:TGID_Z_EN: 0
; COMPUTE_PGM_RSRC2:TIDIG_COMP_CNT: 2
	.section	.text._Z16sort_keys_kernelI22helper_blocked_blockedaLj128ELj1ELj10EEvPKT0_PS1_,"axG",@progbits,_Z16sort_keys_kernelI22helper_blocked_blockedaLj128ELj1ELj10EEvPKT0_PS1_,comdat
	.protected	_Z16sort_keys_kernelI22helper_blocked_blockedaLj128ELj1ELj10EEvPKT0_PS1_ ; -- Begin function _Z16sort_keys_kernelI22helper_blocked_blockedaLj128ELj1ELj10EEvPKT0_PS1_
	.globl	_Z16sort_keys_kernelI22helper_blocked_blockedaLj128ELj1ELj10EEvPKT0_PS1_
	.p2align	8
	.type	_Z16sort_keys_kernelI22helper_blocked_blockedaLj128ELj1ELj10EEvPKT0_PS1_,@function
_Z16sort_keys_kernelI22helper_blocked_blockedaLj128ELj1ELj10EEvPKT0_PS1_: ; @_Z16sort_keys_kernelI22helper_blocked_blockedaLj128ELj1ELj10EEvPKT0_PS1_
; %bb.0:
	s_load_dwordx4 s[24:27], s[4:5], 0x0
	s_load_dword s22, s[4:5], 0x1c
	s_lshl_b32 s28, s6, 7
	v_mbcnt_lo_u32_b32 v4, -1, 0
	v_mbcnt_hi_u32_b32 v4, -1, v4
	s_waitcnt lgkmcnt(0)
	s_add_u32 s0, s24, s28
	s_addc_u32 s1, s25, 0
	global_load_ubyte v3, v0, s[0:1]
	v_or_b32_e32 v6, 63, v0
	s_lshr_b32 s23, s22, 16
	s_mov_b32 s10, 0
	v_cmp_eq_u32_e64 s[6:7], v0, v6
	v_subrev_co_u32_e64 v6, s[8:9], 1, v4
	v_and_b32_e32 v16, 64, v4
	s_and_b32 s22, s22, 0xffff
	v_mad_u32_u24 v1, v2, s23, v1
	v_lshrrev_b32_e32 v7, 4, v0
	s_mov_b32 s12, s10
	v_cmp_lt_i32_e64 s[20:21], v6, v16
	v_mad_u32_u24 v1, v1, s22, v0
	v_mul_u32_u24_e32 v13, 3, v0
	s_mov_b32 s11, s10
	s_mov_b32 s13, s10
	v_and_b32_e32 v14, 15, v4
	v_and_b32_e32 v15, 16, v4
	v_cmp_lt_u32_e64 s[4:5], 31, v4
	v_and_b32_e32 v12, 4, v7
	v_and_b32_e32 v17, 1, v4
	v_mov_b32_e32 v7, s10
	v_mov_b32_e32 v9, s12
	v_cndmask_b32_e64 v4, v6, v4, s[20:21]
	v_lshrrev_b32_e32 v1, 4, v1
	v_mov_b32_e32 v5, 0
	s_mov_b32 s29, 10
	v_lshlrev_b32_e32 v11, 4, v0
	v_cmp_gt_u32_e32 vcc, 2, v0
	v_cmp_lt_u32_e64 s[0:1], 63, v0
	v_cmp_eq_u32_e64 s[2:3], 0, v0
	v_mov_b32_e32 v8, s11
	v_mov_b32_e32 v10, s13
	v_add_u32_e32 v13, v0, v13
	v_cmp_eq_u32_e64 s[10:11], 0, v14
	v_cmp_lt_u32_e64 s[12:13], 1, v14
	v_cmp_lt_u32_e64 s[14:15], 3, v14
	;; [unrolled: 1-line block ×3, first 2 shown]
	v_cmp_eq_u32_e64 s[18:19], 0, v15
	v_cmp_eq_u32_e64 s[20:21], 0, v17
	v_add_u32_e32 v14, -4, v12
	v_lshlrev_b32_e32 v15, 2, v4
	v_and_b32_e32 v16, 0xffffffc, v1
	v_mov_b32_e32 v17, 3
	s_waitcnt vmcnt(0)
	v_xor_b32_e32 v18, 0xffffff80, v3
	s_branch .LBB56_2
.LBB56_1:                               ;   in Loop: Header=BB56_2 Depth=1
	s_or_b64 exec, exec, s[22:23]
	s_waitcnt lgkmcnt(0)
	v_add_u32_e32 v4, v20, v4
	ds_bpermute_b32 v4, v15, v4
	s_add_i32 s29, s29, -1
	s_cmp_eq_u32 s29, 0
	s_waitcnt lgkmcnt(0)
	v_cndmask_b32_e64 v4, v4, v20, s[8:9]
	v_cndmask_b32_e64 v20, v4, 0, s[2:3]
	v_add_u32_e32 v21, v20, v1
	v_add_u32_e32 v1, v21, v2
	;; [unrolled: 1-line block ×3, first 2 shown]
	ds_write2_b64 v11, v[20:21], v[1:2] offset0:1 offset1:2
	s_waitcnt lgkmcnt(0)
	s_barrier
	ds_read_b32 v1, v19 offset:8
	s_waitcnt lgkmcnt(0)
	s_barrier
	v_add_u32_e32 v1, v1, v6
	ds_write_b8 v1, v18
	s_waitcnt lgkmcnt(0)
	s_barrier
	ds_read_u8 v18, v0
	s_cbranch_scc1 .LBB56_10
.LBB56_2:                               ; =>This Inner Loop Header: Depth=1
	s_waitcnt lgkmcnt(0)
	v_and_b32_e32 v1, 1, v18
	v_add_co_u32_e64 v2, s[22:23], -1, v1
	v_addc_co_u32_e64 v4, s[22:23], 0, -1, s[22:23]
	v_cmp_ne_u32_e64 s[22:23], 0, v1
	v_lshlrev_b32_e32 v6, 30, v18
	v_xor_b32_e32 v1, s23, v4
	v_xor_b32_e32 v2, s22, v2
	v_cmp_gt_i64_e64 s[22:23], 0, v[5:6]
	v_not_b32_e32 v4, v6
	v_ashrrev_i32_e32 v4, 31, v4
	v_and_b32_e32 v1, exec_hi, v1
	v_xor_b32_e32 v6, s23, v4
	v_and_b32_e32 v2, exec_lo, v2
	v_xor_b32_e32 v4, s22, v4
	v_and_b32_e32 v1, v1, v6
	v_lshlrev_b32_e32 v6, 29, v18
	v_and_b32_e32 v2, v2, v4
	v_cmp_gt_i64_e64 s[22:23], 0, v[5:6]
	v_not_b32_e32 v4, v6
	v_ashrrev_i32_e32 v4, 31, v4
	v_xor_b32_e32 v6, s23, v4
	v_xor_b32_e32 v4, s22, v4
	v_and_b32_e32 v1, v1, v6
	v_lshlrev_b32_e32 v6, 28, v18
	v_and_b32_e32 v2, v2, v4
	v_cmp_gt_i64_e64 s[22:23], 0, v[5:6]
	v_not_b32_e32 v4, v6
	v_ashrrev_i32_e32 v4, 31, v4
	v_xor_b32_e32 v6, s23, v4
	;; [unrolled: 8-line block ×6, first 2 shown]
	v_xor_b32_e32 v19, s22, v2
	v_and_b32_e32 v2, v1, v6
	v_and_b32_e32 v1, v4, v19
	v_mbcnt_lo_u32_b32 v4, v1, 0
	v_mbcnt_hi_u32_b32 v6, v2, v4
	v_cmp_ne_u64_e64 s[22:23], 0, v[1:2]
	v_lshlrev_b32_sdwa v3, v17, v18 dst_sel:DWORD dst_unused:UNUSED_PAD src0_sel:DWORD src1_sel:BYTE_0
	v_cmp_eq_u32_e64 s[24:25], 0, v6
	s_and_b64 s[24:25], s[22:23], s[24:25]
	v_add_u32_e32 v19, v16, v3
	ds_write2_b64 v11, v[7:8], v[9:10] offset0:1 offset1:2
	s_waitcnt lgkmcnt(0)
	s_barrier
	; wave barrier
	s_and_saveexec_b64 s[22:23], s[24:25]
; %bb.3:                                ;   in Loop: Header=BB56_2 Depth=1
	v_bcnt_u32_b32 v1, v1, 0
	v_bcnt_u32_b32 v1, v2, v1
	ds_write_b32 v19, v1 offset:8
; %bb.4:                                ;   in Loop: Header=BB56_2 Depth=1
	s_or_b64 exec, exec, s[22:23]
	; wave barrier
	s_waitcnt lgkmcnt(0)
	s_barrier
	ds_read2_b64 v[1:4], v11 offset0:1 offset1:2
	s_waitcnt lgkmcnt(0)
	v_add_u32_e32 v20, v2, v1
	v_add3_u32 v4, v20, v3, v4
	s_nop 1
	v_mov_b32_dpp v20, v4 row_shr:1 row_mask:0xf bank_mask:0xf
	v_cndmask_b32_e64 v20, v20, 0, s[10:11]
	v_add_u32_e32 v4, v20, v4
	s_nop 1
	v_mov_b32_dpp v20, v4 row_shr:2 row_mask:0xf bank_mask:0xf
	v_cndmask_b32_e64 v20, 0, v20, s[12:13]
	v_add_u32_e32 v4, v4, v20
	;; [unrolled: 4-line block ×4, first 2 shown]
	s_nop 1
	v_mov_b32_dpp v20, v4 row_bcast:15 row_mask:0xf bank_mask:0xf
	v_cndmask_b32_e64 v20, v20, 0, s[18:19]
	v_add_u32_e32 v4, v4, v20
	s_nop 1
	v_mov_b32_dpp v20, v4 row_bcast:31 row_mask:0xf bank_mask:0xf
	v_cndmask_b32_e64 v20, 0, v20, s[4:5]
	v_add_u32_e32 v4, v4, v20
	s_and_saveexec_b64 s[22:23], s[6:7]
; %bb.5:                                ;   in Loop: Header=BB56_2 Depth=1
	ds_write_b32 v12, v4
; %bb.6:                                ;   in Loop: Header=BB56_2 Depth=1
	s_or_b64 exec, exec, s[22:23]
	s_waitcnt lgkmcnt(0)
	s_barrier
	s_and_saveexec_b64 s[22:23], vcc
	s_cbranch_execz .LBB56_8
; %bb.7:                                ;   in Loop: Header=BB56_2 Depth=1
	ds_read_b32 v20, v13
	s_waitcnt lgkmcnt(0)
	s_nop 0
	v_mov_b32_dpp v21, v20 row_shr:1 row_mask:0xf bank_mask:0xf
	v_cndmask_b32_e64 v21, v21, 0, s[20:21]
	v_add_u32_e32 v20, v21, v20
	ds_write_b32 v13, v20
.LBB56_8:                               ;   in Loop: Header=BB56_2 Depth=1
	s_or_b64 exec, exec, s[22:23]
	v_mov_b32_e32 v20, 0
	s_waitcnt lgkmcnt(0)
	s_barrier
	s_and_saveexec_b64 s[22:23], s[0:1]
	s_cbranch_execz .LBB56_1
; %bb.9:                                ;   in Loop: Header=BB56_2 Depth=1
	ds_read_b32 v20, v14
	s_branch .LBB56_1
.LBB56_10:
	s_add_u32 s0, s26, s28
	s_addc_u32 s1, s27, 0
	v_mov_b32_e32 v1, s1
	v_add_co_u32_e32 v0, vcc, s0, v0
	s_waitcnt lgkmcnt(0)
	v_xor_b32_e32 v2, 0x80, v18
	v_addc_co_u32_e32 v1, vcc, 0, v1, vcc
	global_store_byte v[0:1], v2, off
	s_endpgm
	.section	.rodata,"a",@progbits
	.p2align	6, 0x0
	.amdhsa_kernel _Z16sort_keys_kernelI22helper_blocked_blockedaLj128ELj1ELj10EEvPKT0_PS1_
		.amdhsa_group_segment_fixed_size 2064
		.amdhsa_private_segment_fixed_size 0
		.amdhsa_kernarg_size 272
		.amdhsa_user_sgpr_count 6
		.amdhsa_user_sgpr_private_segment_buffer 1
		.amdhsa_user_sgpr_dispatch_ptr 0
		.amdhsa_user_sgpr_queue_ptr 0
		.amdhsa_user_sgpr_kernarg_segment_ptr 1
		.amdhsa_user_sgpr_dispatch_id 0
		.amdhsa_user_sgpr_flat_scratch_init 0
		.amdhsa_user_sgpr_private_segment_size 0
		.amdhsa_uses_dynamic_stack 0
		.amdhsa_system_sgpr_private_segment_wavefront_offset 0
		.amdhsa_system_sgpr_workgroup_id_x 1
		.amdhsa_system_sgpr_workgroup_id_y 0
		.amdhsa_system_sgpr_workgroup_id_z 0
		.amdhsa_system_sgpr_workgroup_info 0
		.amdhsa_system_vgpr_workitem_id 2
		.amdhsa_next_free_vgpr 29
		.amdhsa_next_free_sgpr 61
		.amdhsa_reserve_vcc 1
		.amdhsa_reserve_flat_scratch 0
		.amdhsa_float_round_mode_32 0
		.amdhsa_float_round_mode_16_64 0
		.amdhsa_float_denorm_mode_32 3
		.amdhsa_float_denorm_mode_16_64 3
		.amdhsa_dx10_clamp 1
		.amdhsa_ieee_mode 1
		.amdhsa_fp16_overflow 0
		.amdhsa_exception_fp_ieee_invalid_op 0
		.amdhsa_exception_fp_denorm_src 0
		.amdhsa_exception_fp_ieee_div_zero 0
		.amdhsa_exception_fp_ieee_overflow 0
		.amdhsa_exception_fp_ieee_underflow 0
		.amdhsa_exception_fp_ieee_inexact 0
		.amdhsa_exception_int_div_zero 0
	.end_amdhsa_kernel
	.section	.text._Z16sort_keys_kernelI22helper_blocked_blockedaLj128ELj1ELj10EEvPKT0_PS1_,"axG",@progbits,_Z16sort_keys_kernelI22helper_blocked_blockedaLj128ELj1ELj10EEvPKT0_PS1_,comdat
.Lfunc_end56:
	.size	_Z16sort_keys_kernelI22helper_blocked_blockedaLj128ELj1ELj10EEvPKT0_PS1_, .Lfunc_end56-_Z16sort_keys_kernelI22helper_blocked_blockedaLj128ELj1ELj10EEvPKT0_PS1_
                                        ; -- End function
	.set _Z16sort_keys_kernelI22helper_blocked_blockedaLj128ELj1ELj10EEvPKT0_PS1_.num_vgpr, 22
	.set _Z16sort_keys_kernelI22helper_blocked_blockedaLj128ELj1ELj10EEvPKT0_PS1_.num_agpr, 0
	.set _Z16sort_keys_kernelI22helper_blocked_blockedaLj128ELj1ELj10EEvPKT0_PS1_.numbered_sgpr, 30
	.set _Z16sort_keys_kernelI22helper_blocked_blockedaLj128ELj1ELj10EEvPKT0_PS1_.num_named_barrier, 0
	.set _Z16sort_keys_kernelI22helper_blocked_blockedaLj128ELj1ELj10EEvPKT0_PS1_.private_seg_size, 0
	.set _Z16sort_keys_kernelI22helper_blocked_blockedaLj128ELj1ELj10EEvPKT0_PS1_.uses_vcc, 1
	.set _Z16sort_keys_kernelI22helper_blocked_blockedaLj128ELj1ELj10EEvPKT0_PS1_.uses_flat_scratch, 0
	.set _Z16sort_keys_kernelI22helper_blocked_blockedaLj128ELj1ELj10EEvPKT0_PS1_.has_dyn_sized_stack, 0
	.set _Z16sort_keys_kernelI22helper_blocked_blockedaLj128ELj1ELj10EEvPKT0_PS1_.has_recursion, 0
	.set _Z16sort_keys_kernelI22helper_blocked_blockedaLj128ELj1ELj10EEvPKT0_PS1_.has_indirect_call, 0
	.section	.AMDGPU.csdata,"",@progbits
; Kernel info:
; codeLenInByte = 1164
; TotalNumSgprs: 34
; NumVgprs: 22
; ScratchSize: 0
; MemoryBound: 0
; FloatMode: 240
; IeeeMode: 1
; LDSByteSize: 2064 bytes/workgroup (compile time only)
; SGPRBlocks: 8
; VGPRBlocks: 7
; NumSGPRsForWavesPerEU: 65
; NumVGPRsForWavesPerEU: 29
; Occupancy: 8
; WaveLimiterHint : 0
; COMPUTE_PGM_RSRC2:SCRATCH_EN: 0
; COMPUTE_PGM_RSRC2:USER_SGPR: 6
; COMPUTE_PGM_RSRC2:TRAP_HANDLER: 0
; COMPUTE_PGM_RSRC2:TGID_X_EN: 1
; COMPUTE_PGM_RSRC2:TGID_Y_EN: 0
; COMPUTE_PGM_RSRC2:TGID_Z_EN: 0
; COMPUTE_PGM_RSRC2:TIDIG_COMP_CNT: 2
	.section	.text._Z17sort_pairs_kernelI22helper_blocked_blockedaLj128ELj1ELj10EEvPKT0_PS1_,"axG",@progbits,_Z17sort_pairs_kernelI22helper_blocked_blockedaLj128ELj1ELj10EEvPKT0_PS1_,comdat
	.protected	_Z17sort_pairs_kernelI22helper_blocked_blockedaLj128ELj1ELj10EEvPKT0_PS1_ ; -- Begin function _Z17sort_pairs_kernelI22helper_blocked_blockedaLj128ELj1ELj10EEvPKT0_PS1_
	.globl	_Z17sort_pairs_kernelI22helper_blocked_blockedaLj128ELj1ELj10EEvPKT0_PS1_
	.p2align	8
	.type	_Z17sort_pairs_kernelI22helper_blocked_blockedaLj128ELj1ELj10EEvPKT0_PS1_,@function
_Z17sort_pairs_kernelI22helper_blocked_blockedaLj128ELj1ELj10EEvPKT0_PS1_: ; @_Z17sort_pairs_kernelI22helper_blocked_blockedaLj128ELj1ELj10EEvPKT0_PS1_
; %bb.0:
	s_load_dwordx4 s[24:27], s[4:5], 0x0
	s_load_dword s22, s[4:5], 0x1c
	s_lshl_b32 s28, s6, 7
	v_mbcnt_lo_u32_b32 v4, -1, 0
	v_mbcnt_hi_u32_b32 v4, -1, v4
	s_waitcnt lgkmcnt(0)
	s_add_u32 s0, s24, s28
	s_addc_u32 s1, s25, 0
	global_load_ubyte v3, v0, s[0:1]
	v_or_b32_e32 v6, 63, v0
	s_lshr_b32 s23, s22, 16
	s_mov_b32 s10, 0
	v_cmp_eq_u32_e64 s[6:7], v0, v6
	v_subrev_co_u32_e64 v6, s[8:9], 1, v4
	v_and_b32_e32 v16, 64, v4
	s_and_b32 s22, s22, 0xffff
	v_mad_u32_u24 v1, v2, s23, v1
	v_lshrrev_b32_e32 v7, 4, v0
	s_mov_b32 s12, s10
	v_cmp_lt_i32_e64 s[20:21], v6, v16
	v_mad_u32_u24 v1, v1, s22, v0
	v_mul_u32_u24_e32 v13, 3, v0
	s_mov_b32 s11, s10
	s_mov_b32 s13, s10
	v_and_b32_e32 v14, 15, v4
	v_and_b32_e32 v15, 16, v4
	v_cmp_lt_u32_e64 s[4:5], 31, v4
	v_and_b32_e32 v12, 4, v7
	v_and_b32_e32 v17, 1, v4
	v_mov_b32_e32 v7, s10
	v_mov_b32_e32 v9, s12
	v_cndmask_b32_e64 v4, v6, v4, s[20:21]
	v_lshrrev_b32_e32 v1, 4, v1
	v_mov_b32_e32 v5, 0
	s_mov_b32 s29, 10
	v_lshlrev_b32_e32 v11, 4, v0
	v_cmp_gt_u32_e32 vcc, 2, v0
	v_cmp_lt_u32_e64 s[0:1], 63, v0
	v_cmp_eq_u32_e64 s[2:3], 0, v0
	v_mov_b32_e32 v8, s11
	v_mov_b32_e32 v10, s13
	v_add_u32_e32 v13, v0, v13
	v_cmp_eq_u32_e64 s[10:11], 0, v14
	v_cmp_lt_u32_e64 s[12:13], 1, v14
	v_cmp_lt_u32_e64 s[14:15], 3, v14
	;; [unrolled: 1-line block ×3, first 2 shown]
	v_cmp_eq_u32_e64 s[18:19], 0, v15
	v_cmp_eq_u32_e64 s[20:21], 0, v17
	v_add_u32_e32 v14, -4, v12
	v_lshlrev_b32_e32 v15, 2, v4
	v_and_b32_e32 v16, 0xffffffc, v1
	v_mov_b32_e32 v17, 3
	s_waitcnt vmcnt(0)
	v_add_u16_e32 v18, 1, v3
	v_xor_b32_e32 v19, 0xffffff80, v3
	s_branch .LBB57_2
.LBB57_1:                               ;   in Loop: Header=BB57_2 Depth=1
	s_or_b64 exec, exec, s[22:23]
	s_waitcnt lgkmcnt(0)
	v_add_u32_e32 v4, v21, v4
	ds_bpermute_b32 v4, v15, v4
	s_add_i32 s29, s29, -1
	s_cmp_eq_u32 s29, 0
	s_waitcnt lgkmcnt(0)
	v_cndmask_b32_e64 v4, v4, v21, s[8:9]
	v_cndmask_b32_e64 v21, v4, 0, s[2:3]
	v_add_u32_e32 v22, v21, v1
	v_add_u32_e32 v1, v22, v2
	;; [unrolled: 1-line block ×3, first 2 shown]
	ds_write2_b64 v11, v[21:22], v[1:2] offset0:1 offset1:2
	s_waitcnt lgkmcnt(0)
	s_barrier
	ds_read_b32 v1, v20 offset:8
	s_waitcnt lgkmcnt(0)
	s_barrier
	v_add_u32_e32 v1, v1, v6
	ds_write_b8 v1, v19
	s_waitcnt lgkmcnt(0)
	s_barrier
	ds_read_u8 v19, v0
	s_waitcnt lgkmcnt(0)
	s_barrier
	ds_write_b8 v1, v18
	s_waitcnt lgkmcnt(0)
	s_barrier
	ds_read_u8 v18, v0
	s_cbranch_scc1 .LBB57_10
.LBB57_2:                               ; =>This Inner Loop Header: Depth=1
	v_and_b32_e32 v1, 1, v19
	v_add_co_u32_e64 v2, s[22:23], -1, v1
	v_addc_co_u32_e64 v4, s[22:23], 0, -1, s[22:23]
	v_cmp_ne_u32_e64 s[22:23], 0, v1
	v_lshlrev_b32_e32 v6, 30, v19
	v_xor_b32_e32 v1, s23, v4
	v_xor_b32_e32 v2, s22, v2
	v_cmp_gt_i64_e64 s[22:23], 0, v[5:6]
	v_not_b32_e32 v4, v6
	v_ashrrev_i32_e32 v4, 31, v4
	v_and_b32_e32 v1, exec_hi, v1
	v_xor_b32_e32 v6, s23, v4
	v_and_b32_e32 v2, exec_lo, v2
	v_xor_b32_e32 v4, s22, v4
	v_and_b32_e32 v1, v1, v6
	v_lshlrev_b32_e32 v6, 29, v19
	v_and_b32_e32 v2, v2, v4
	v_cmp_gt_i64_e64 s[22:23], 0, v[5:6]
	v_not_b32_e32 v4, v6
	v_ashrrev_i32_e32 v4, 31, v4
	v_xor_b32_e32 v6, s23, v4
	v_xor_b32_e32 v4, s22, v4
	v_and_b32_e32 v1, v1, v6
	v_lshlrev_b32_e32 v6, 28, v19
	v_and_b32_e32 v2, v2, v4
	v_cmp_gt_i64_e64 s[22:23], 0, v[5:6]
	v_not_b32_e32 v4, v6
	v_ashrrev_i32_e32 v4, 31, v4
	v_xor_b32_e32 v6, s23, v4
	;; [unrolled: 8-line block ×6, first 2 shown]
	v_xor_b32_e32 v20, s22, v2
	v_and_b32_e32 v2, v1, v6
	v_and_b32_e32 v1, v4, v20
	v_mbcnt_lo_u32_b32 v4, v1, 0
	v_mbcnt_hi_u32_b32 v6, v2, v4
	v_cmp_ne_u64_e64 s[22:23], 0, v[1:2]
	v_lshlrev_b32_sdwa v3, v17, v19 dst_sel:DWORD dst_unused:UNUSED_PAD src0_sel:DWORD src1_sel:BYTE_0
	v_cmp_eq_u32_e64 s[24:25], 0, v6
	s_and_b64 s[24:25], s[22:23], s[24:25]
	v_add_u32_e32 v20, v16, v3
	ds_write2_b64 v11, v[7:8], v[9:10] offset0:1 offset1:2
	s_waitcnt lgkmcnt(0)
	s_barrier
	; wave barrier
	s_and_saveexec_b64 s[22:23], s[24:25]
; %bb.3:                                ;   in Loop: Header=BB57_2 Depth=1
	v_bcnt_u32_b32 v1, v1, 0
	v_bcnt_u32_b32 v1, v2, v1
	ds_write_b32 v20, v1 offset:8
; %bb.4:                                ;   in Loop: Header=BB57_2 Depth=1
	s_or_b64 exec, exec, s[22:23]
	; wave barrier
	s_waitcnt lgkmcnt(0)
	s_barrier
	ds_read2_b64 v[1:4], v11 offset0:1 offset1:2
	s_waitcnt lgkmcnt(0)
	v_add_u32_e32 v21, v2, v1
	v_add3_u32 v4, v21, v3, v4
	s_nop 1
	v_mov_b32_dpp v21, v4 row_shr:1 row_mask:0xf bank_mask:0xf
	v_cndmask_b32_e64 v21, v21, 0, s[10:11]
	v_add_u32_e32 v4, v21, v4
	s_nop 1
	v_mov_b32_dpp v21, v4 row_shr:2 row_mask:0xf bank_mask:0xf
	v_cndmask_b32_e64 v21, 0, v21, s[12:13]
	v_add_u32_e32 v4, v4, v21
	;; [unrolled: 4-line block ×4, first 2 shown]
	s_nop 1
	v_mov_b32_dpp v21, v4 row_bcast:15 row_mask:0xf bank_mask:0xf
	v_cndmask_b32_e64 v21, v21, 0, s[18:19]
	v_add_u32_e32 v4, v4, v21
	s_nop 1
	v_mov_b32_dpp v21, v4 row_bcast:31 row_mask:0xf bank_mask:0xf
	v_cndmask_b32_e64 v21, 0, v21, s[4:5]
	v_add_u32_e32 v4, v4, v21
	s_and_saveexec_b64 s[22:23], s[6:7]
; %bb.5:                                ;   in Loop: Header=BB57_2 Depth=1
	ds_write_b32 v12, v4
; %bb.6:                                ;   in Loop: Header=BB57_2 Depth=1
	s_or_b64 exec, exec, s[22:23]
	s_waitcnt lgkmcnt(0)
	s_barrier
	s_and_saveexec_b64 s[22:23], vcc
	s_cbranch_execz .LBB57_8
; %bb.7:                                ;   in Loop: Header=BB57_2 Depth=1
	ds_read_b32 v21, v13
	s_waitcnt lgkmcnt(0)
	s_nop 0
	v_mov_b32_dpp v22, v21 row_shr:1 row_mask:0xf bank_mask:0xf
	v_cndmask_b32_e64 v22, v22, 0, s[20:21]
	v_add_u32_e32 v21, v22, v21
	ds_write_b32 v13, v21
.LBB57_8:                               ;   in Loop: Header=BB57_2 Depth=1
	s_or_b64 exec, exec, s[22:23]
	v_mov_b32_e32 v21, 0
	s_waitcnt lgkmcnt(0)
	s_barrier
	s_and_saveexec_b64 s[22:23], s[0:1]
	s_cbranch_execz .LBB57_1
; %bb.9:                                ;   in Loop: Header=BB57_2 Depth=1
	ds_read_b32 v21, v14
	s_branch .LBB57_1
.LBB57_10:
	s_add_u32 s0, s26, s28
	s_waitcnt lgkmcnt(0)
	v_add_u16_e32 v1, v18, v19
	s_addc_u32 s1, s27, 0
	v_add_u16_e32 v2, 0xff80, v1
	v_mov_b32_e32 v1, s1
	v_add_co_u32_e32 v0, vcc, s0, v0
	v_addc_co_u32_e32 v1, vcc, 0, v1, vcc
	global_store_byte v[0:1], v2, off
	s_endpgm
	.section	.rodata,"a",@progbits
	.p2align	6, 0x0
	.amdhsa_kernel _Z17sort_pairs_kernelI22helper_blocked_blockedaLj128ELj1ELj10EEvPKT0_PS1_
		.amdhsa_group_segment_fixed_size 2064
		.amdhsa_private_segment_fixed_size 0
		.amdhsa_kernarg_size 272
		.amdhsa_user_sgpr_count 6
		.amdhsa_user_sgpr_private_segment_buffer 1
		.amdhsa_user_sgpr_dispatch_ptr 0
		.amdhsa_user_sgpr_queue_ptr 0
		.amdhsa_user_sgpr_kernarg_segment_ptr 1
		.amdhsa_user_sgpr_dispatch_id 0
		.amdhsa_user_sgpr_flat_scratch_init 0
		.amdhsa_user_sgpr_private_segment_size 0
		.amdhsa_uses_dynamic_stack 0
		.amdhsa_system_sgpr_private_segment_wavefront_offset 0
		.amdhsa_system_sgpr_workgroup_id_x 1
		.amdhsa_system_sgpr_workgroup_id_y 0
		.amdhsa_system_sgpr_workgroup_id_z 0
		.amdhsa_system_sgpr_workgroup_info 0
		.amdhsa_system_vgpr_workitem_id 2
		.amdhsa_next_free_vgpr 29
		.amdhsa_next_free_sgpr 61
		.amdhsa_reserve_vcc 1
		.amdhsa_reserve_flat_scratch 0
		.amdhsa_float_round_mode_32 0
		.amdhsa_float_round_mode_16_64 0
		.amdhsa_float_denorm_mode_32 3
		.amdhsa_float_denorm_mode_16_64 3
		.amdhsa_dx10_clamp 1
		.amdhsa_ieee_mode 1
		.amdhsa_fp16_overflow 0
		.amdhsa_exception_fp_ieee_invalid_op 0
		.amdhsa_exception_fp_denorm_src 0
		.amdhsa_exception_fp_ieee_div_zero 0
		.amdhsa_exception_fp_ieee_overflow 0
		.amdhsa_exception_fp_ieee_underflow 0
		.amdhsa_exception_fp_ieee_inexact 0
		.amdhsa_exception_int_div_zero 0
	.end_amdhsa_kernel
	.section	.text._Z17sort_pairs_kernelI22helper_blocked_blockedaLj128ELj1ELj10EEvPKT0_PS1_,"axG",@progbits,_Z17sort_pairs_kernelI22helper_blocked_blockedaLj128ELj1ELj10EEvPKT0_PS1_,comdat
.Lfunc_end57:
	.size	_Z17sort_pairs_kernelI22helper_blocked_blockedaLj128ELj1ELj10EEvPKT0_PS1_, .Lfunc_end57-_Z17sort_pairs_kernelI22helper_blocked_blockedaLj128ELj1ELj10EEvPKT0_PS1_
                                        ; -- End function
	.set _Z17sort_pairs_kernelI22helper_blocked_blockedaLj128ELj1ELj10EEvPKT0_PS1_.num_vgpr, 23
	.set _Z17sort_pairs_kernelI22helper_blocked_blockedaLj128ELj1ELj10EEvPKT0_PS1_.num_agpr, 0
	.set _Z17sort_pairs_kernelI22helper_blocked_blockedaLj128ELj1ELj10EEvPKT0_PS1_.numbered_sgpr, 30
	.set _Z17sort_pairs_kernelI22helper_blocked_blockedaLj128ELj1ELj10EEvPKT0_PS1_.num_named_barrier, 0
	.set _Z17sort_pairs_kernelI22helper_blocked_blockedaLj128ELj1ELj10EEvPKT0_PS1_.private_seg_size, 0
	.set _Z17sort_pairs_kernelI22helper_blocked_blockedaLj128ELj1ELj10EEvPKT0_PS1_.uses_vcc, 1
	.set _Z17sort_pairs_kernelI22helper_blocked_blockedaLj128ELj1ELj10EEvPKT0_PS1_.uses_flat_scratch, 0
	.set _Z17sort_pairs_kernelI22helper_blocked_blockedaLj128ELj1ELj10EEvPKT0_PS1_.has_dyn_sized_stack, 0
	.set _Z17sort_pairs_kernelI22helper_blocked_blockedaLj128ELj1ELj10EEvPKT0_PS1_.has_recursion, 0
	.set _Z17sort_pairs_kernelI22helper_blocked_blockedaLj128ELj1ELj10EEvPKT0_PS1_.has_indirect_call, 0
	.section	.AMDGPU.csdata,"",@progbits
; Kernel info:
; codeLenInByte = 1200
; TotalNumSgprs: 34
; NumVgprs: 23
; ScratchSize: 0
; MemoryBound: 0
; FloatMode: 240
; IeeeMode: 1
; LDSByteSize: 2064 bytes/workgroup (compile time only)
; SGPRBlocks: 8
; VGPRBlocks: 7
; NumSGPRsForWavesPerEU: 65
; NumVGPRsForWavesPerEU: 29
; Occupancy: 8
; WaveLimiterHint : 0
; COMPUTE_PGM_RSRC2:SCRATCH_EN: 0
; COMPUTE_PGM_RSRC2:USER_SGPR: 6
; COMPUTE_PGM_RSRC2:TRAP_HANDLER: 0
; COMPUTE_PGM_RSRC2:TGID_X_EN: 1
; COMPUTE_PGM_RSRC2:TGID_Y_EN: 0
; COMPUTE_PGM_RSRC2:TGID_Z_EN: 0
; COMPUTE_PGM_RSRC2:TIDIG_COMP_CNT: 2
	.section	.text._Z16sort_keys_kernelI22helper_blocked_blockedaLj128ELj3ELj10EEvPKT0_PS1_,"axG",@progbits,_Z16sort_keys_kernelI22helper_blocked_blockedaLj128ELj3ELj10EEvPKT0_PS1_,comdat
	.protected	_Z16sort_keys_kernelI22helper_blocked_blockedaLj128ELj3ELj10EEvPKT0_PS1_ ; -- Begin function _Z16sort_keys_kernelI22helper_blocked_blockedaLj128ELj3ELj10EEvPKT0_PS1_
	.globl	_Z16sort_keys_kernelI22helper_blocked_blockedaLj128ELj3ELj10EEvPKT0_PS1_
	.p2align	8
	.type	_Z16sort_keys_kernelI22helper_blocked_blockedaLj128ELj3ELj10EEvPKT0_PS1_,@function
_Z16sort_keys_kernelI22helper_blocked_blockedaLj128ELj3ELj10EEvPKT0_PS1_: ; @_Z16sort_keys_kernelI22helper_blocked_blockedaLj128ELj3ELj10EEvPKT0_PS1_
; %bb.0:
	s_load_dwordx4 s[24:27], s[4:5], 0x0
	s_load_dword s2, s[4:5], 0x1c
	s_mul_i32 s28, s6, 0x180
	v_mbcnt_lo_u32_b32 v7, -1, 0
	v_mbcnt_hi_u32_b32 v7, -1, v7
	s_waitcnt lgkmcnt(0)
	s_add_u32 s0, s24, s28
	s_addc_u32 s1, s25, 0
	global_load_ubyte v6, v0, s[0:1] offset:256
	global_load_ubyte v4, v0, s[0:1] offset:128
	global_load_ubyte v3, v0, s[0:1]
	s_lshr_b32 s0, s2, 16
	s_and_b32 s1, s2, 0xffff
	v_mad_u32_u24 v1, v2, s0, v1
	v_mad_u32_u24 v1, v1, s1, v0
	v_lshrrev_b32_e32 v1, 4, v1
	v_and_b32_e32 v12, 0xffffffc, v1
	v_and_b32_e32 v1, 15, v7
	v_cmp_eq_u32_e32 vcc, 0, v1
	v_cmp_lt_u32_e64 s[0:1], 1, v1
	v_cmp_lt_u32_e64 s[2:3], 3, v1
	;; [unrolled: 1-line block ×3, first 2 shown]
	v_and_b32_e32 v1, 16, v7
	v_cmp_eq_u32_e64 s[6:7], 0, v1
	v_or_b32_e32 v1, 63, v0
	v_cmp_eq_u32_e64 s[10:11], v0, v1
	v_subrev_co_u32_e64 v1, s[16:17], 1, v7
	v_and_b32_e32 v2, 64, v7
	s_mov_b32 s22, 0
	v_lshrrev_b32_e32 v8, 6, v0
	v_cmp_lt_i32_e64 s[18:19], v1, v2
	v_mul_u32_u24_e32 v9, 0xc0, v8
	v_mul_u32_u24_e32 v10, 3, v7
	v_cndmask_b32_e64 v1, v1, v7, s[18:19]
	s_mov_b32 s24, s22
	v_lshlrev_b32_e32 v11, 4, v0
	v_cmp_lt_u32_e64 s[8:9], 31, v7
	v_lshlrev_b32_e32 v13, 2, v1
	v_lshlrev_b32_e32 v15, 2, v8
	v_and_b32_e32 v1, 1, v7
	v_add_u32_e32 v17, v10, v9
	v_add_u32_e32 v18, v7, v9
	s_mov_b32 s23, s22
	s_mov_b32 s25, s22
	v_mov_b32_e32 v7, s22
	v_mov_b32_e32 v9, s24
	;; [unrolled: 1-line block ×3, first 2 shown]
	v_cmp_gt_u32_e64 s[12:13], 2, v0
	v_cmp_lt_u32_e64 s[14:15], 63, v0
	v_cmp_eq_u32_e64 s[18:19], 0, v0
	v_mad_i32_i24 v14, v0, -13, v11
	v_cmp_eq_u32_e64 s[20:21], 0, v1
	v_add_u32_e32 v16, -4, v15
	s_mov_b32 s29, 10
	v_mov_b32_e32 v8, s23
	v_mov_b32_e32 v10, s25
	;; [unrolled: 1-line block ×3, first 2 shown]
	s_branch .LBB58_2
.LBB58_1:                               ;   in Loop: Header=BB58_2 Depth=1
	s_or_b64 exec, exec, s[22:23]
	s_waitcnt lgkmcnt(0)
	v_add_u32_e32 v4, v30, v4
	ds_bpermute_b32 v4, v13, v4
	s_add_i32 s29, s29, -1
	s_cmp_eq_u32 s29, 0
	s_waitcnt lgkmcnt(0)
	v_cndmask_b32_e64 v4, v4, v30, s[16:17]
	v_cndmask_b32_e64 v30, v4, 0, s[18:19]
	v_add_u32_e32 v31, v30, v1
	v_add_u32_e32 v1, v31, v2
	;; [unrolled: 1-line block ×3, first 2 shown]
	ds_write2_b64 v11, v[30:31], v[1:2] offset0:1 offset1:2
	s_waitcnt lgkmcnt(0)
	s_barrier
	ds_read_b32 v1, v24 offset:8
	ds_read_b32 v2, v26 offset:8
	;; [unrolled: 1-line block ×3, first 2 shown]
	s_waitcnt lgkmcnt(0)
	s_barrier
	v_add_u32_e32 v1, v1, v23
	ds_write_b8 v1, v22
	v_add3_u32 v1, v27, v25, v2
	ds_write_b8 v1, v21
	v_add3_u32 v1, v6, v28, v3
	ds_write_b8 v1, v20
	s_waitcnt lgkmcnt(0)
	s_barrier
	ds_read_u8 v1, v14
	ds_read_u16 v2, v14 offset:1
	s_waitcnt lgkmcnt(1)
	v_xor_b32_e32 v3, 0xffffff80, v1
	s_waitcnt lgkmcnt(0)
	v_and_b32_e32 v1, 0xffffff00, v2
	v_xor_b32_e32 v1, 0xffff8000, v1
	v_xor_b32_e32 v2, 0x80, v2
	v_or_b32_sdwa v4, v2, v1 dst_sel:DWORD dst_unused:UNUSED_PAD src0_sel:BYTE_0 src1_sel:DWORD
	v_lshrrev_b16_e32 v6, 8, v1
	s_cbranch_scc1 .LBB58_14
.LBB58_2:                               ; =>This Inner Loop Header: Depth=1
	s_waitcnt vmcnt(0)
	v_xor_b32_e32 v1, 0x80, v3
	v_xor_b32_e32 v2, 0x80, v4
	;; [unrolled: 1-line block ×3, first 2 shown]
	ds_write_b8 v17, v1
	ds_write_b8 v17, v2 offset:1
	ds_write_b8 v17, v3 offset:2
	; wave barrier
	ds_read_u8 v22, v18
	ds_read_u8 v21, v18 offset:64
	ds_read_u8 v20, v18 offset:128
	; wave barrier
	s_waitcnt lgkmcnt(2)
	v_and_b32_e32 v1, 1, v22
	v_add_co_u32_e64 v2, s[22:23], -1, v1
	v_addc_co_u32_e64 v4, s[22:23], 0, -1, s[22:23]
	v_cmp_ne_u32_e64 s[22:23], 0, v1
	v_lshlrev_b32_e32 v6, 30, v22
	v_xor_b32_e32 v1, s23, v4
	v_xor_b32_e32 v2, s22, v2
	v_cmp_gt_i64_e64 s[22:23], 0, v[5:6]
	v_not_b32_e32 v4, v6
	v_ashrrev_i32_e32 v4, 31, v4
	v_and_b32_e32 v1, exec_hi, v1
	v_xor_b32_e32 v6, s23, v4
	v_and_b32_e32 v2, exec_lo, v2
	v_xor_b32_e32 v4, s22, v4
	v_and_b32_e32 v1, v1, v6
	v_lshlrev_b32_e32 v6, 29, v22
	v_and_b32_e32 v2, v2, v4
	v_cmp_gt_i64_e64 s[22:23], 0, v[5:6]
	v_not_b32_e32 v4, v6
	v_ashrrev_i32_e32 v4, 31, v4
	v_xor_b32_e32 v6, s23, v4
	v_xor_b32_e32 v4, s22, v4
	v_and_b32_e32 v1, v1, v6
	v_lshlrev_b32_e32 v6, 28, v22
	v_and_b32_e32 v2, v2, v4
	v_cmp_gt_i64_e64 s[22:23], 0, v[5:6]
	v_not_b32_e32 v4, v6
	v_ashrrev_i32_e32 v4, 31, v4
	v_xor_b32_e32 v6, s23, v4
	v_xor_b32_e32 v4, s22, v4
	v_and_b32_e32 v1, v1, v6
	v_lshlrev_b32_e32 v6, 27, v22
	v_and_b32_e32 v2, v2, v4
	v_cmp_gt_i64_e64 s[22:23], 0, v[5:6]
	v_not_b32_e32 v4, v6
	v_ashrrev_i32_e32 v4, 31, v4
	v_xor_b32_e32 v6, s23, v4
	v_xor_b32_e32 v4, s22, v4
	v_and_b32_e32 v1, v1, v6
	v_lshlrev_b32_e32 v6, 26, v22
	v_and_b32_e32 v2, v2, v4
	v_cmp_gt_i64_e64 s[22:23], 0, v[5:6]
	v_not_b32_e32 v4, v6
	v_ashrrev_i32_e32 v4, 31, v4
	v_xor_b32_e32 v6, s23, v4
	v_xor_b32_e32 v4, s22, v4
	v_and_b32_e32 v1, v1, v6
	v_lshlrev_b32_e32 v6, 25, v22
	v_and_b32_e32 v2, v2, v4
	v_cmp_gt_i64_e64 s[22:23], 0, v[5:6]
	v_not_b32_e32 v4, v6
	v_ashrrev_i32_e32 v4, 31, v4
	v_xor_b32_e32 v6, s23, v4
	v_xor_b32_e32 v4, s22, v4
	v_and_b32_e32 v1, v1, v6
	v_lshlrev_b32_e32 v6, 24, v22
	v_and_b32_e32 v4, v2, v4
	v_cmp_gt_i64_e64 s[22:23], 0, v[5:6]
	v_not_b32_e32 v2, v6
	v_ashrrev_i32_e32 v2, 31, v2
	v_xor_b32_e32 v6, s23, v2
	v_xor_b32_e32 v23, s22, v2
	v_and_b32_e32 v2, v1, v6
	v_and_b32_e32 v1, v4, v23
	v_mbcnt_lo_u32_b32 v4, v1, 0
	v_mbcnt_hi_u32_b32 v23, v2, v4
	v_cmp_ne_u64_e64 s[22:23], 0, v[1:2]
	v_lshlrev_b32_sdwa v3, v19, v22 dst_sel:DWORD dst_unused:UNUSED_PAD src0_sel:DWORD src1_sel:BYTE_0
	v_cmp_eq_u32_e64 s[24:25], 0, v23
	s_and_b64 s[24:25], s[22:23], s[24:25]
	v_add_u32_e32 v24, v12, v3
	; wave barrier
	s_waitcnt lgkmcnt(0)
	s_barrier
	ds_write2_b64 v11, v[7:8], v[9:10] offset0:1 offset1:2
	s_waitcnt lgkmcnt(0)
	s_barrier
	; wave barrier
	s_and_saveexec_b64 s[22:23], s[24:25]
; %bb.3:                                ;   in Loop: Header=BB58_2 Depth=1
	v_bcnt_u32_b32 v1, v1, 0
	v_bcnt_u32_b32 v1, v2, v1
	ds_write_b32 v24, v1 offset:8
; %bb.4:                                ;   in Loop: Header=BB58_2 Depth=1
	s_or_b64 exec, exec, s[22:23]
	v_lshlrev_b32_sdwa v1, v19, v21 dst_sel:DWORD dst_unused:UNUSED_PAD src0_sel:DWORD src1_sel:BYTE_0
	v_add_u32_e32 v26, v12, v1
	v_and_b32_e32 v1, 1, v21
	v_add_co_u32_e64 v2, s[22:23], -1, v1
	v_addc_co_u32_e64 v3, s[22:23], 0, -1, s[22:23]
	v_cmp_ne_u32_e64 s[22:23], 0, v1
	v_lshlrev_b32_e32 v6, 30, v21
	v_xor_b32_e32 v1, s23, v3
	v_xor_b32_e32 v2, s22, v2
	v_cmp_gt_i64_e64 s[22:23], 0, v[5:6]
	v_not_b32_e32 v3, v6
	v_ashrrev_i32_e32 v3, 31, v3
	v_and_b32_e32 v2, exec_lo, v2
	v_xor_b32_e32 v4, s23, v3
	v_xor_b32_e32 v3, s22, v3
	v_lshlrev_b32_e32 v6, 29, v21
	v_and_b32_e32 v2, v2, v3
	v_cmp_gt_i64_e64 s[22:23], 0, v[5:6]
	v_not_b32_e32 v3, v6
	v_and_b32_e32 v1, exec_hi, v1
	v_ashrrev_i32_e32 v3, 31, v3
	v_and_b32_e32 v1, v1, v4
	v_xor_b32_e32 v4, s23, v3
	v_xor_b32_e32 v3, s22, v3
	v_lshlrev_b32_e32 v6, 28, v21
	v_and_b32_e32 v2, v2, v3
	v_cmp_gt_i64_e64 s[22:23], 0, v[5:6]
	v_not_b32_e32 v3, v6
	v_ashrrev_i32_e32 v3, 31, v3
	v_and_b32_e32 v1, v1, v4
	v_xor_b32_e32 v4, s23, v3
	v_xor_b32_e32 v3, s22, v3
	v_lshlrev_b32_e32 v6, 27, v21
	v_and_b32_e32 v2, v2, v3
	v_cmp_gt_i64_e64 s[22:23], 0, v[5:6]
	v_not_b32_e32 v3, v6
	;; [unrolled: 8-line block ×5, first 2 shown]
	v_ashrrev_i32_e32 v2, 31, v2
	v_and_b32_e32 v1, v1, v4
	v_xor_b32_e32 v4, s23, v2
	v_xor_b32_e32 v6, s22, v2
	; wave barrier
	ds_read_b32 v25, v26 offset:8
	v_and_b32_e32 v2, v1, v4
	v_and_b32_e32 v1, v3, v6
	v_mbcnt_lo_u32_b32 v3, v1, 0
	v_mbcnt_hi_u32_b32 v27, v2, v3
	v_cmp_ne_u64_e64 s[22:23], 0, v[1:2]
	v_cmp_eq_u32_e64 s[24:25], 0, v27
	s_and_b64 s[24:25], s[22:23], s[24:25]
	; wave barrier
	s_and_saveexec_b64 s[22:23], s[24:25]
	s_cbranch_execz .LBB58_6
; %bb.5:                                ;   in Loop: Header=BB58_2 Depth=1
	v_bcnt_u32_b32 v1, v1, 0
	v_bcnt_u32_b32 v1, v2, v1
	s_waitcnt lgkmcnt(0)
	v_add_u32_e32 v1, v25, v1
	ds_write_b32 v26, v1 offset:8
.LBB58_6:                               ;   in Loop: Header=BB58_2 Depth=1
	s_or_b64 exec, exec, s[22:23]
	v_lshlrev_b32_sdwa v1, v19, v20 dst_sel:DWORD dst_unused:UNUSED_PAD src0_sel:DWORD src1_sel:BYTE_0
	v_add_u32_e32 v29, v12, v1
	v_and_b32_e32 v1, 1, v20
	v_add_co_u32_e64 v2, s[22:23], -1, v1
	v_addc_co_u32_e64 v3, s[22:23], 0, -1, s[22:23]
	v_cmp_ne_u32_e64 s[22:23], 0, v1
	v_lshlrev_b32_e32 v6, 30, v20
	v_xor_b32_e32 v1, s23, v3
	v_xor_b32_e32 v2, s22, v2
	v_cmp_gt_i64_e64 s[22:23], 0, v[5:6]
	v_not_b32_e32 v3, v6
	v_ashrrev_i32_e32 v3, 31, v3
	v_and_b32_e32 v2, exec_lo, v2
	v_xor_b32_e32 v4, s23, v3
	v_xor_b32_e32 v3, s22, v3
	v_lshlrev_b32_e32 v6, 29, v20
	v_and_b32_e32 v2, v2, v3
	v_cmp_gt_i64_e64 s[22:23], 0, v[5:6]
	v_not_b32_e32 v3, v6
	v_and_b32_e32 v1, exec_hi, v1
	v_ashrrev_i32_e32 v3, 31, v3
	v_and_b32_e32 v1, v1, v4
	v_xor_b32_e32 v4, s23, v3
	v_xor_b32_e32 v3, s22, v3
	v_lshlrev_b32_e32 v6, 28, v20
	v_and_b32_e32 v2, v2, v3
	v_cmp_gt_i64_e64 s[22:23], 0, v[5:6]
	v_not_b32_e32 v3, v6
	v_ashrrev_i32_e32 v3, 31, v3
	v_and_b32_e32 v1, v1, v4
	v_xor_b32_e32 v4, s23, v3
	v_xor_b32_e32 v3, s22, v3
	v_lshlrev_b32_e32 v6, 27, v20
	v_and_b32_e32 v2, v2, v3
	v_cmp_gt_i64_e64 s[22:23], 0, v[5:6]
	v_not_b32_e32 v3, v6
	;; [unrolled: 8-line block ×5, first 2 shown]
	v_ashrrev_i32_e32 v2, 31, v2
	v_and_b32_e32 v1, v1, v4
	v_xor_b32_e32 v4, s23, v2
	v_xor_b32_e32 v6, s22, v2
	; wave barrier
	ds_read_b32 v28, v29 offset:8
	v_and_b32_e32 v2, v1, v4
	v_and_b32_e32 v1, v3, v6
	v_mbcnt_lo_u32_b32 v3, v1, 0
	v_mbcnt_hi_u32_b32 v6, v2, v3
	v_cmp_ne_u64_e64 s[22:23], 0, v[1:2]
	v_cmp_eq_u32_e64 s[24:25], 0, v6
	s_and_b64 s[24:25], s[22:23], s[24:25]
	; wave barrier
	s_and_saveexec_b64 s[22:23], s[24:25]
	s_cbranch_execz .LBB58_8
; %bb.7:                                ;   in Loop: Header=BB58_2 Depth=1
	v_bcnt_u32_b32 v1, v1, 0
	v_bcnt_u32_b32 v1, v2, v1
	s_waitcnt lgkmcnt(0)
	v_add_u32_e32 v1, v28, v1
	ds_write_b32 v29, v1 offset:8
.LBB58_8:                               ;   in Loop: Header=BB58_2 Depth=1
	s_or_b64 exec, exec, s[22:23]
	; wave barrier
	s_waitcnt lgkmcnt(0)
	s_barrier
	ds_read2_b64 v[1:4], v11 offset0:1 offset1:2
	s_waitcnt lgkmcnt(0)
	v_add_u32_e32 v30, v2, v1
	v_add3_u32 v4, v30, v3, v4
	s_nop 1
	v_mov_b32_dpp v30, v4 row_shr:1 row_mask:0xf bank_mask:0xf
	v_cndmask_b32_e64 v30, v30, 0, vcc
	v_add_u32_e32 v4, v30, v4
	s_nop 1
	v_mov_b32_dpp v30, v4 row_shr:2 row_mask:0xf bank_mask:0xf
	v_cndmask_b32_e64 v30, 0, v30, s[0:1]
	v_add_u32_e32 v4, v4, v30
	s_nop 1
	v_mov_b32_dpp v30, v4 row_shr:4 row_mask:0xf bank_mask:0xf
	v_cndmask_b32_e64 v30, 0, v30, s[2:3]
	;; [unrolled: 4-line block ×3, first 2 shown]
	v_add_u32_e32 v4, v4, v30
	s_nop 1
	v_mov_b32_dpp v30, v4 row_bcast:15 row_mask:0xf bank_mask:0xf
	v_cndmask_b32_e64 v30, v30, 0, s[6:7]
	v_add_u32_e32 v4, v4, v30
	s_nop 1
	v_mov_b32_dpp v30, v4 row_bcast:31 row_mask:0xf bank_mask:0xf
	v_cndmask_b32_e64 v30, 0, v30, s[8:9]
	v_add_u32_e32 v4, v4, v30
	s_and_saveexec_b64 s[22:23], s[10:11]
; %bb.9:                                ;   in Loop: Header=BB58_2 Depth=1
	ds_write_b32 v15, v4
; %bb.10:                               ;   in Loop: Header=BB58_2 Depth=1
	s_or_b64 exec, exec, s[22:23]
	s_waitcnt lgkmcnt(0)
	s_barrier
	s_and_saveexec_b64 s[22:23], s[12:13]
	s_cbranch_execz .LBB58_12
; %bb.11:                               ;   in Loop: Header=BB58_2 Depth=1
	v_add_u32_e32 v30, v14, v0
	ds_read_b32 v31, v30
	s_waitcnt lgkmcnt(0)
	s_nop 0
	v_mov_b32_dpp v32, v31 row_shr:1 row_mask:0xf bank_mask:0xf
	v_cndmask_b32_e64 v32, v32, 0, s[20:21]
	v_add_u32_e32 v31, v32, v31
	ds_write_b32 v30, v31
.LBB58_12:                              ;   in Loop: Header=BB58_2 Depth=1
	s_or_b64 exec, exec, s[22:23]
	v_mov_b32_e32 v30, 0
	s_waitcnt lgkmcnt(0)
	s_barrier
	s_and_saveexec_b64 s[22:23], s[14:15]
	s_cbranch_execz .LBB58_1
; %bb.13:                               ;   in Loop: Header=BB58_2 Depth=1
	ds_read_b32 v30, v16
	s_branch .LBB58_1
.LBB58_14:
	s_add_u32 s0, s26, s28
	s_addc_u32 s1, s27, 0
	v_mov_b32_e32 v1, s1
	v_add_co_u32_e32 v0, vcc, s0, v0
	v_and_b32_e32 v2, 0xffff, v4
	v_addc_co_u32_e32 v1, vcc, 0, v1, vcc
	global_store_byte v[0:1], v3, off
	global_store_byte v[0:1], v2, off offset:128
	v_lshrrev_b16_e32 v2, 8, v2
	global_store_byte v[0:1], v2, off offset:256
	s_endpgm
	.section	.rodata,"a",@progbits
	.p2align	6, 0x0
	.amdhsa_kernel _Z16sort_keys_kernelI22helper_blocked_blockedaLj128ELj3ELj10EEvPKT0_PS1_
		.amdhsa_group_segment_fixed_size 2064
		.amdhsa_private_segment_fixed_size 0
		.amdhsa_kernarg_size 272
		.amdhsa_user_sgpr_count 6
		.amdhsa_user_sgpr_private_segment_buffer 1
		.amdhsa_user_sgpr_dispatch_ptr 0
		.amdhsa_user_sgpr_queue_ptr 0
		.amdhsa_user_sgpr_kernarg_segment_ptr 1
		.amdhsa_user_sgpr_dispatch_id 0
		.amdhsa_user_sgpr_flat_scratch_init 0
		.amdhsa_user_sgpr_private_segment_size 0
		.amdhsa_uses_dynamic_stack 0
		.amdhsa_system_sgpr_private_segment_wavefront_offset 0
		.amdhsa_system_sgpr_workgroup_id_x 1
		.amdhsa_system_sgpr_workgroup_id_y 0
		.amdhsa_system_sgpr_workgroup_id_z 0
		.amdhsa_system_sgpr_workgroup_info 0
		.amdhsa_system_vgpr_workitem_id 2
		.amdhsa_next_free_vgpr 33
		.amdhsa_next_free_sgpr 61
		.amdhsa_reserve_vcc 1
		.amdhsa_reserve_flat_scratch 0
		.amdhsa_float_round_mode_32 0
		.amdhsa_float_round_mode_16_64 0
		.amdhsa_float_denorm_mode_32 3
		.amdhsa_float_denorm_mode_16_64 3
		.amdhsa_dx10_clamp 1
		.amdhsa_ieee_mode 1
		.amdhsa_fp16_overflow 0
		.amdhsa_exception_fp_ieee_invalid_op 0
		.amdhsa_exception_fp_denorm_src 0
		.amdhsa_exception_fp_ieee_div_zero 0
		.amdhsa_exception_fp_ieee_overflow 0
		.amdhsa_exception_fp_ieee_underflow 0
		.amdhsa_exception_fp_ieee_inexact 0
		.amdhsa_exception_int_div_zero 0
	.end_amdhsa_kernel
	.section	.text._Z16sort_keys_kernelI22helper_blocked_blockedaLj128ELj3ELj10EEvPKT0_PS1_,"axG",@progbits,_Z16sort_keys_kernelI22helper_blocked_blockedaLj128ELj3ELj10EEvPKT0_PS1_,comdat
.Lfunc_end58:
	.size	_Z16sort_keys_kernelI22helper_blocked_blockedaLj128ELj3ELj10EEvPKT0_PS1_, .Lfunc_end58-_Z16sort_keys_kernelI22helper_blocked_blockedaLj128ELj3ELj10EEvPKT0_PS1_
                                        ; -- End function
	.set _Z16sort_keys_kernelI22helper_blocked_blockedaLj128ELj3ELj10EEvPKT0_PS1_.num_vgpr, 33
	.set _Z16sort_keys_kernelI22helper_blocked_blockedaLj128ELj3ELj10EEvPKT0_PS1_.num_agpr, 0
	.set _Z16sort_keys_kernelI22helper_blocked_blockedaLj128ELj3ELj10EEvPKT0_PS1_.numbered_sgpr, 30
	.set _Z16sort_keys_kernelI22helper_blocked_blockedaLj128ELj3ELj10EEvPKT0_PS1_.num_named_barrier, 0
	.set _Z16sort_keys_kernelI22helper_blocked_blockedaLj128ELj3ELj10EEvPKT0_PS1_.private_seg_size, 0
	.set _Z16sort_keys_kernelI22helper_blocked_blockedaLj128ELj3ELj10EEvPKT0_PS1_.uses_vcc, 1
	.set _Z16sort_keys_kernelI22helper_blocked_blockedaLj128ELj3ELj10EEvPKT0_PS1_.uses_flat_scratch, 0
	.set _Z16sort_keys_kernelI22helper_blocked_blockedaLj128ELj3ELj10EEvPKT0_PS1_.has_dyn_sized_stack, 0
	.set _Z16sort_keys_kernelI22helper_blocked_blockedaLj128ELj3ELj10EEvPKT0_PS1_.has_recursion, 0
	.set _Z16sort_keys_kernelI22helper_blocked_blockedaLj128ELj3ELj10EEvPKT0_PS1_.has_indirect_call, 0
	.section	.AMDGPU.csdata,"",@progbits
; Kernel info:
; codeLenInByte = 2196
; TotalNumSgprs: 34
; NumVgprs: 33
; ScratchSize: 0
; MemoryBound: 0
; FloatMode: 240
; IeeeMode: 1
; LDSByteSize: 2064 bytes/workgroup (compile time only)
; SGPRBlocks: 8
; VGPRBlocks: 8
; NumSGPRsForWavesPerEU: 65
; NumVGPRsForWavesPerEU: 33
; Occupancy: 7
; WaveLimiterHint : 1
; COMPUTE_PGM_RSRC2:SCRATCH_EN: 0
; COMPUTE_PGM_RSRC2:USER_SGPR: 6
; COMPUTE_PGM_RSRC2:TRAP_HANDLER: 0
; COMPUTE_PGM_RSRC2:TGID_X_EN: 1
; COMPUTE_PGM_RSRC2:TGID_Y_EN: 0
; COMPUTE_PGM_RSRC2:TGID_Z_EN: 0
; COMPUTE_PGM_RSRC2:TIDIG_COMP_CNT: 2
	.section	.text._Z17sort_pairs_kernelI22helper_blocked_blockedaLj128ELj3ELj10EEvPKT0_PS1_,"axG",@progbits,_Z17sort_pairs_kernelI22helper_blocked_blockedaLj128ELj3ELj10EEvPKT0_PS1_,comdat
	.protected	_Z17sort_pairs_kernelI22helper_blocked_blockedaLj128ELj3ELj10EEvPKT0_PS1_ ; -- Begin function _Z17sort_pairs_kernelI22helper_blocked_blockedaLj128ELj3ELj10EEvPKT0_PS1_
	.globl	_Z17sort_pairs_kernelI22helper_blocked_blockedaLj128ELj3ELj10EEvPKT0_PS1_
	.p2align	8
	.type	_Z17sort_pairs_kernelI22helper_blocked_blockedaLj128ELj3ELj10EEvPKT0_PS1_,@function
_Z17sort_pairs_kernelI22helper_blocked_blockedaLj128ELj3ELj10EEvPKT0_PS1_: ; @_Z17sort_pairs_kernelI22helper_blocked_blockedaLj128ELj3ELj10EEvPKT0_PS1_
; %bb.0:
	s_load_dwordx4 s[24:27], s[4:5], 0x0
	s_load_dword s22, s[4:5], 0x1c
	s_mul_i32 s28, s6, 0x180
	v_mbcnt_lo_u32_b32 v7, -1, 0
	s_mov_b32 s10, 0
	s_waitcnt lgkmcnt(0)
	s_add_u32 s0, s24, s28
	s_addc_u32 s1, s25, 0
	global_load_ubyte v3, v0, s[0:1]
	global_load_ubyte v4, v0, s[0:1] offset:128
	global_load_ubyte v6, v0, s[0:1] offset:256
	v_mbcnt_hi_u32_b32 v15, -1, v7
	s_lshr_b32 s23, s22, 16
	v_lshrrev_b32_e32 v7, 6, v0
	v_or_b32_e32 v8, 63, v0
	s_mov_b32 s12, s10
	v_subrev_co_u32_e64 v19, s[8:9], 1, v15
	v_and_b32_e32 v20, 64, v15
	s_and_b32 s22, s22, 0xffff
	v_mad_u32_u24 v1, v2, s23, v1
	s_mov_b32 s11, s10
	s_mov_b32 s13, s10
	v_mul_u32_u24_e32 v16, 0xc0, v7
	v_and_b32_e32 v17, 15, v15
	v_cmp_eq_u32_e64 s[6:7], v0, v8
	v_lshlrev_b32_e32 v13, 2, v7
	v_mov_b32_e32 v7, s10
	v_mov_b32_e32 v9, s12
	v_cmp_lt_i32_e64 s[20:21], v19, v20
	v_mad_u32_u24 v1, v1, s22, v0
	v_mul_u32_u24_e32 v14, 3, v15
	v_and_b32_e32 v18, 16, v15
	v_mov_b32_e32 v8, s11
	v_mov_b32_e32 v10, s13
	v_cmp_eq_u32_e64 s[10:11], 0, v17
	v_cmp_lt_u32_e64 s[12:13], 1, v17
	v_cmp_lt_u32_e64 s[14:15], 3, v17
	;; [unrolled: 1-line block ×3, first 2 shown]
	v_cndmask_b32_e64 v17, v19, v15, s[20:21]
	v_lshrrev_b32_e32 v1, 4, v1
	v_cmp_lt_u32_e64 s[4:5], 31, v15
	v_and_b32_e32 v21, 1, v15
	v_cmp_eq_u32_e64 s[18:19], 0, v18
	v_add_u32_e32 v14, v14, v16
	v_add_u32_e32 v15, v15, v16
	v_lshlrev_b32_e32 v16, 2, v17
	v_and_b32_e32 v17, 0xffffffc, v1
	v_lshlrev_b32_e32 v11, 4, v0
	v_mov_b32_e32 v5, 0
	s_mov_b32 s29, 10
	s_mov_b32 s30, 0xc0c0104
	v_cmp_gt_u32_e32 vcc, 2, v0
	v_cmp_lt_u32_e64 s[0:1], 63, v0
	v_cmp_eq_u32_e64 s[2:3], 0, v0
	v_mad_i32_i24 v12, v0, -13, v11
	v_cmp_eq_u32_e64 s[20:21], 0, v21
	s_waitcnt vmcnt(2)
	v_add_u16_e32 v1, 1, v3
	s_waitcnt vmcnt(1)
	v_lshlrev_b16_e32 v2, 8, v4
	s_waitcnt vmcnt(0)
	v_add_u16_e32 v18, 1, v6
	v_or_b32_sdwa v1, v2, v1 dst_sel:DWORD dst_unused:UNUSED_PAD src0_sel:DWORD src1_sel:BYTE_0
	v_and_b32_e32 v2, 0xff, v18
	v_add_u16_e32 v1, 0x100, v1
	v_lshlrev_b32_e32 v2, 16, v2
	v_or_b32_e32 v1, v1, v2
	v_mov_b32_e32 v18, 3
	s_branch .LBB59_2
.LBB59_1:                               ;   in Loop: Header=BB59_2 Depth=1
	s_or_b64 exec, exec, s[22:23]
	s_waitcnt lgkmcnt(0)
	v_add_u32_e32 v4, v32, v4
	ds_bpermute_b32 v4, v16, v4
	s_add_i32 s29, s29, -1
	s_cmp_eq_u32 s29, 0
	s_waitcnt lgkmcnt(0)
	v_cndmask_b32_e64 v4, v4, v32, s[8:9]
	v_cndmask_b32_e64 v32, v4, 0, s[2:3]
	v_add_u32_e32 v33, v32, v1
	v_add_u32_e32 v1, v33, v2
	;; [unrolled: 1-line block ×3, first 2 shown]
	ds_write2_b64 v11, v[32:33], v[1:2] offset0:1 offset1:2
	s_waitcnt lgkmcnt(0)
	s_barrier
	ds_read_b32 v1, v26 offset:8
	ds_read_b32 v2, v28 offset:8
	;; [unrolled: 1-line block ×3, first 2 shown]
	s_waitcnt lgkmcnt(0)
	s_barrier
	v_add_u32_e32 v1, v1, v25
	v_add3_u32 v2, v29, v27, v2
	v_add3_u32 v3, v6, v30, v3
	ds_write_b8 v1, v21
	ds_write_b8 v2, v20
	;; [unrolled: 1-line block ×3, first 2 shown]
	s_waitcnt lgkmcnt(0)
	s_barrier
	ds_read_u8 v4, v12
	ds_read_u16 v6, v12 offset:1
	s_waitcnt lgkmcnt(0)
	s_barrier
	ds_write_b8 v1, v22
	ds_write_b8 v2, v23
	;; [unrolled: 1-line block ×3, first 2 shown]
	s_waitcnt lgkmcnt(0)
	s_barrier
	ds_read_u16 v2, v12 offset:1
	ds_read_u8 v19, v12
	v_xor_b32_e32 v3, 0xffffff80, v4
	s_waitcnt lgkmcnt(1)
	v_lshlrev_b16_e32 v1, 8, v2
	v_lshrrev_b16_e32 v4, 8, v2
	v_lshlrev_b32_e32 v4, 16, v4
	s_waitcnt lgkmcnt(0)
	v_perm_b32 v1, v19, v1, s30
	v_or_b32_e32 v1, v1, v4
	v_and_b32_e32 v4, 0xffffff00, v6
	v_xor_b32_e32 v20, 0xffff8000, v4
	v_xor_b32_e32 v4, 0x80, v6
	v_or_b32_sdwa v4, v4, v20 dst_sel:DWORD dst_unused:UNUSED_PAD src0_sel:BYTE_0 src1_sel:DWORD
	v_lshrrev_b16_e32 v6, 8, v20
	s_cbranch_scc1 .LBB59_14
.LBB59_2:                               ; =>This Inner Loop Header: Depth=1
	v_xor_b32_e32 v2, 0x80, v3
	v_xor_b32_e32 v3, 0x80, v4
	;; [unrolled: 1-line block ×3, first 2 shown]
	ds_write_b8 v14, v2
	ds_write_b8 v14, v3 offset:1
	ds_write_b8 v14, v4 offset:2
	; wave barrier
	ds_read_u8 v21, v15
	ds_read_u8 v20, v15 offset:64
	ds_read_u8 v19, v15 offset:128
	v_lshrrev_b32_e32 v2, 8, v1
	; wave barrier
	ds_write_b8 v14, v1
	ds_write_b8 v14, v2 offset:1
	ds_write_b8_d16_hi v14, v1 offset:2
	s_waitcnt lgkmcnt(5)
	v_and_b32_e32 v1, 1, v21
	v_add_co_u32_e64 v2, s[22:23], -1, v1
	v_addc_co_u32_e64 v4, s[22:23], 0, -1, s[22:23]
	v_cmp_ne_u32_e64 s[22:23], 0, v1
	v_lshlrev_b32_e32 v6, 30, v21
	v_xor_b32_e32 v1, s23, v4
	v_xor_b32_e32 v2, s22, v2
	v_cmp_gt_i64_e64 s[22:23], 0, v[5:6]
	v_not_b32_e32 v4, v6
	v_ashrrev_i32_e32 v4, 31, v4
	v_and_b32_e32 v1, exec_hi, v1
	v_xor_b32_e32 v6, s23, v4
	v_and_b32_e32 v2, exec_lo, v2
	v_xor_b32_e32 v4, s22, v4
	v_and_b32_e32 v1, v1, v6
	v_lshlrev_b32_e32 v6, 29, v21
	v_and_b32_e32 v2, v2, v4
	v_cmp_gt_i64_e64 s[22:23], 0, v[5:6]
	v_not_b32_e32 v4, v6
	v_ashrrev_i32_e32 v4, 31, v4
	v_xor_b32_e32 v6, s23, v4
	v_xor_b32_e32 v4, s22, v4
	v_and_b32_e32 v1, v1, v6
	v_lshlrev_b32_e32 v6, 28, v21
	v_and_b32_e32 v2, v2, v4
	v_cmp_gt_i64_e64 s[22:23], 0, v[5:6]
	v_not_b32_e32 v4, v6
	v_ashrrev_i32_e32 v4, 31, v4
	v_xor_b32_e32 v6, s23, v4
	;; [unrolled: 8-line block ×5, first 2 shown]
	v_xor_b32_e32 v4, s22, v4
	v_and_b32_e32 v1, v1, v6
	v_lshlrev_b32_e32 v6, 24, v21
	v_and_b32_e32 v4, v2, v4
	v_cmp_gt_i64_e64 s[22:23], 0, v[5:6]
	v_not_b32_e32 v2, v6
	v_ashrrev_i32_e32 v2, 31, v2
	; wave barrier
	ds_read_u8 v22, v15
	ds_read_u8 v23, v15 offset:64
	ds_read_u8 v24, v15 offset:128
	v_xor_b32_e32 v6, s23, v2
	v_xor_b32_e32 v25, s22, v2
	v_and_b32_e32 v2, v1, v6
	v_and_b32_e32 v1, v4, v25
	v_mbcnt_lo_u32_b32 v4, v1, 0
	v_mbcnt_hi_u32_b32 v25, v2, v4
	v_cmp_ne_u64_e64 s[22:23], 0, v[1:2]
	v_lshlrev_b32_sdwa v3, v18, v21 dst_sel:DWORD dst_unused:UNUSED_PAD src0_sel:DWORD src1_sel:BYTE_0
	v_cmp_eq_u32_e64 s[24:25], 0, v25
	s_and_b64 s[24:25], s[22:23], s[24:25]
	v_add_u32_e32 v26, v17, v3
	s_waitcnt lgkmcnt(0)
	s_barrier
	ds_write2_b64 v11, v[7:8], v[9:10] offset0:1 offset1:2
	s_waitcnt lgkmcnt(0)
	s_barrier
	; wave barrier
	s_and_saveexec_b64 s[22:23], s[24:25]
; %bb.3:                                ;   in Loop: Header=BB59_2 Depth=1
	v_bcnt_u32_b32 v1, v1, 0
	v_bcnt_u32_b32 v1, v2, v1
	ds_write_b32 v26, v1 offset:8
; %bb.4:                                ;   in Loop: Header=BB59_2 Depth=1
	s_or_b64 exec, exec, s[22:23]
	v_lshlrev_b32_sdwa v1, v18, v20 dst_sel:DWORD dst_unused:UNUSED_PAD src0_sel:DWORD src1_sel:BYTE_0
	v_add_u32_e32 v28, v17, v1
	v_and_b32_e32 v1, 1, v20
	v_add_co_u32_e64 v2, s[22:23], -1, v1
	v_addc_co_u32_e64 v3, s[22:23], 0, -1, s[22:23]
	v_cmp_ne_u32_e64 s[22:23], 0, v1
	v_lshlrev_b32_e32 v6, 30, v20
	v_xor_b32_e32 v1, s23, v3
	v_xor_b32_e32 v2, s22, v2
	v_cmp_gt_i64_e64 s[22:23], 0, v[5:6]
	v_not_b32_e32 v3, v6
	v_ashrrev_i32_e32 v3, 31, v3
	v_and_b32_e32 v2, exec_lo, v2
	v_xor_b32_e32 v4, s23, v3
	v_xor_b32_e32 v3, s22, v3
	v_lshlrev_b32_e32 v6, 29, v20
	v_and_b32_e32 v2, v2, v3
	v_cmp_gt_i64_e64 s[22:23], 0, v[5:6]
	v_not_b32_e32 v3, v6
	v_and_b32_e32 v1, exec_hi, v1
	v_ashrrev_i32_e32 v3, 31, v3
	v_and_b32_e32 v1, v1, v4
	v_xor_b32_e32 v4, s23, v3
	v_xor_b32_e32 v3, s22, v3
	v_lshlrev_b32_e32 v6, 28, v20
	v_and_b32_e32 v2, v2, v3
	v_cmp_gt_i64_e64 s[22:23], 0, v[5:6]
	v_not_b32_e32 v3, v6
	v_ashrrev_i32_e32 v3, 31, v3
	v_and_b32_e32 v1, v1, v4
	v_xor_b32_e32 v4, s23, v3
	v_xor_b32_e32 v3, s22, v3
	v_lshlrev_b32_e32 v6, 27, v20
	v_and_b32_e32 v2, v2, v3
	v_cmp_gt_i64_e64 s[22:23], 0, v[5:6]
	v_not_b32_e32 v3, v6
	;; [unrolled: 8-line block ×5, first 2 shown]
	v_ashrrev_i32_e32 v2, 31, v2
	v_and_b32_e32 v1, v1, v4
	v_xor_b32_e32 v4, s23, v2
	v_xor_b32_e32 v6, s22, v2
	; wave barrier
	ds_read_b32 v27, v28 offset:8
	v_and_b32_e32 v2, v1, v4
	v_and_b32_e32 v1, v3, v6
	v_mbcnt_lo_u32_b32 v3, v1, 0
	v_mbcnt_hi_u32_b32 v29, v2, v3
	v_cmp_ne_u64_e64 s[22:23], 0, v[1:2]
	v_cmp_eq_u32_e64 s[24:25], 0, v29
	s_and_b64 s[24:25], s[22:23], s[24:25]
	; wave barrier
	s_and_saveexec_b64 s[22:23], s[24:25]
	s_cbranch_execz .LBB59_6
; %bb.5:                                ;   in Loop: Header=BB59_2 Depth=1
	v_bcnt_u32_b32 v1, v1, 0
	v_bcnt_u32_b32 v1, v2, v1
	s_waitcnt lgkmcnt(0)
	v_add_u32_e32 v1, v27, v1
	ds_write_b32 v28, v1 offset:8
.LBB59_6:                               ;   in Loop: Header=BB59_2 Depth=1
	s_or_b64 exec, exec, s[22:23]
	v_lshlrev_b32_sdwa v1, v18, v19 dst_sel:DWORD dst_unused:UNUSED_PAD src0_sel:DWORD src1_sel:BYTE_0
	v_add_u32_e32 v31, v17, v1
	v_and_b32_e32 v1, 1, v19
	v_add_co_u32_e64 v2, s[22:23], -1, v1
	v_addc_co_u32_e64 v3, s[22:23], 0, -1, s[22:23]
	v_cmp_ne_u32_e64 s[22:23], 0, v1
	v_lshlrev_b32_e32 v6, 30, v19
	v_xor_b32_e32 v1, s23, v3
	v_xor_b32_e32 v2, s22, v2
	v_cmp_gt_i64_e64 s[22:23], 0, v[5:6]
	v_not_b32_e32 v3, v6
	v_ashrrev_i32_e32 v3, 31, v3
	v_and_b32_e32 v2, exec_lo, v2
	v_xor_b32_e32 v4, s23, v3
	v_xor_b32_e32 v3, s22, v3
	v_lshlrev_b32_e32 v6, 29, v19
	v_and_b32_e32 v2, v2, v3
	v_cmp_gt_i64_e64 s[22:23], 0, v[5:6]
	v_not_b32_e32 v3, v6
	v_and_b32_e32 v1, exec_hi, v1
	v_ashrrev_i32_e32 v3, 31, v3
	v_and_b32_e32 v1, v1, v4
	v_xor_b32_e32 v4, s23, v3
	v_xor_b32_e32 v3, s22, v3
	v_lshlrev_b32_e32 v6, 28, v19
	v_and_b32_e32 v2, v2, v3
	v_cmp_gt_i64_e64 s[22:23], 0, v[5:6]
	v_not_b32_e32 v3, v6
	v_ashrrev_i32_e32 v3, 31, v3
	v_and_b32_e32 v1, v1, v4
	v_xor_b32_e32 v4, s23, v3
	v_xor_b32_e32 v3, s22, v3
	v_lshlrev_b32_e32 v6, 27, v19
	v_and_b32_e32 v2, v2, v3
	v_cmp_gt_i64_e64 s[22:23], 0, v[5:6]
	v_not_b32_e32 v3, v6
	;; [unrolled: 8-line block ×5, first 2 shown]
	v_ashrrev_i32_e32 v2, 31, v2
	v_and_b32_e32 v1, v1, v4
	v_xor_b32_e32 v4, s23, v2
	v_xor_b32_e32 v6, s22, v2
	; wave barrier
	ds_read_b32 v30, v31 offset:8
	v_and_b32_e32 v2, v1, v4
	v_and_b32_e32 v1, v3, v6
	v_mbcnt_lo_u32_b32 v3, v1, 0
	v_mbcnt_hi_u32_b32 v6, v2, v3
	v_cmp_ne_u64_e64 s[22:23], 0, v[1:2]
	v_cmp_eq_u32_e64 s[24:25], 0, v6
	s_and_b64 s[24:25], s[22:23], s[24:25]
	; wave barrier
	s_and_saveexec_b64 s[22:23], s[24:25]
	s_cbranch_execz .LBB59_8
; %bb.7:                                ;   in Loop: Header=BB59_2 Depth=1
	v_bcnt_u32_b32 v1, v1, 0
	v_bcnt_u32_b32 v1, v2, v1
	s_waitcnt lgkmcnt(0)
	v_add_u32_e32 v1, v30, v1
	ds_write_b32 v31, v1 offset:8
.LBB59_8:                               ;   in Loop: Header=BB59_2 Depth=1
	s_or_b64 exec, exec, s[22:23]
	; wave barrier
	s_waitcnt lgkmcnt(0)
	s_barrier
	ds_read2_b64 v[1:4], v11 offset0:1 offset1:2
	s_waitcnt lgkmcnt(0)
	v_add_u32_e32 v32, v2, v1
	v_add3_u32 v4, v32, v3, v4
	s_nop 1
	v_mov_b32_dpp v32, v4 row_shr:1 row_mask:0xf bank_mask:0xf
	v_cndmask_b32_e64 v32, v32, 0, s[10:11]
	v_add_u32_e32 v4, v32, v4
	s_nop 1
	v_mov_b32_dpp v32, v4 row_shr:2 row_mask:0xf bank_mask:0xf
	v_cndmask_b32_e64 v32, 0, v32, s[12:13]
	v_add_u32_e32 v4, v4, v32
	;; [unrolled: 4-line block ×4, first 2 shown]
	s_nop 1
	v_mov_b32_dpp v32, v4 row_bcast:15 row_mask:0xf bank_mask:0xf
	v_cndmask_b32_e64 v32, v32, 0, s[18:19]
	v_add_u32_e32 v4, v4, v32
	s_nop 1
	v_mov_b32_dpp v32, v4 row_bcast:31 row_mask:0xf bank_mask:0xf
	v_cndmask_b32_e64 v32, 0, v32, s[4:5]
	v_add_u32_e32 v4, v4, v32
	s_and_saveexec_b64 s[22:23], s[6:7]
; %bb.9:                                ;   in Loop: Header=BB59_2 Depth=1
	ds_write_b32 v13, v4
; %bb.10:                               ;   in Loop: Header=BB59_2 Depth=1
	s_or_b64 exec, exec, s[22:23]
	s_waitcnt lgkmcnt(0)
	s_barrier
	s_and_saveexec_b64 s[22:23], vcc
	s_cbranch_execz .LBB59_12
; %bb.11:                               ;   in Loop: Header=BB59_2 Depth=1
	v_add_u32_e32 v32, v12, v0
	ds_read_b32 v33, v32
	s_waitcnt lgkmcnt(0)
	s_nop 0
	v_mov_b32_dpp v34, v33 row_shr:1 row_mask:0xf bank_mask:0xf
	v_cndmask_b32_e64 v34, v34, 0, s[20:21]
	v_add_u32_e32 v33, v34, v33
	ds_write_b32 v32, v33
.LBB59_12:                              ;   in Loop: Header=BB59_2 Depth=1
	s_or_b64 exec, exec, s[22:23]
	v_mov_b32_e32 v32, 0
	s_waitcnt lgkmcnt(0)
	s_barrier
	s_and_saveexec_b64 s[22:23], s[0:1]
	s_cbranch_execz .LBB59_1
; %bb.13:                               ;   in Loop: Header=BB59_2 Depth=1
	v_add_u32_e32 v32, -4, v13
	ds_read_b32 v32, v32
	s_branch .LBB59_1
.LBB59_14:
	s_add_u32 s0, s26, s28
	s_addc_u32 s1, s27, 0
	v_mov_b32_e32 v1, s1
	v_add_co_u32_e32 v0, vcc, s0, v0
	v_add_u16_e32 v3, v3, v19
	v_addc_co_u32_e32 v1, vcc, 0, v1, vcc
	v_add_u16_sdwa v5, v6, v2 dst_sel:DWORD dst_unused:UNUSED_PAD src0_sel:DWORD src1_sel:BYTE_1
	v_add_u16_e32 v2, v4, v2
	global_store_byte v[0:1], v3, off
	global_store_byte v[0:1], v2, off offset:128
	global_store_byte v[0:1], v5, off offset:256
	s_endpgm
	.section	.rodata,"a",@progbits
	.p2align	6, 0x0
	.amdhsa_kernel _Z17sort_pairs_kernelI22helper_blocked_blockedaLj128ELj3ELj10EEvPKT0_PS1_
		.amdhsa_group_segment_fixed_size 2064
		.amdhsa_private_segment_fixed_size 0
		.amdhsa_kernarg_size 272
		.amdhsa_user_sgpr_count 6
		.amdhsa_user_sgpr_private_segment_buffer 1
		.amdhsa_user_sgpr_dispatch_ptr 0
		.amdhsa_user_sgpr_queue_ptr 0
		.amdhsa_user_sgpr_kernarg_segment_ptr 1
		.amdhsa_user_sgpr_dispatch_id 0
		.amdhsa_user_sgpr_flat_scratch_init 0
		.amdhsa_user_sgpr_private_segment_size 0
		.amdhsa_uses_dynamic_stack 0
		.amdhsa_system_sgpr_private_segment_wavefront_offset 0
		.amdhsa_system_sgpr_workgroup_id_x 1
		.amdhsa_system_sgpr_workgroup_id_y 0
		.amdhsa_system_sgpr_workgroup_id_z 0
		.amdhsa_system_sgpr_workgroup_info 0
		.amdhsa_system_vgpr_workitem_id 2
		.amdhsa_next_free_vgpr 35
		.amdhsa_next_free_sgpr 61
		.amdhsa_reserve_vcc 1
		.amdhsa_reserve_flat_scratch 0
		.amdhsa_float_round_mode_32 0
		.amdhsa_float_round_mode_16_64 0
		.amdhsa_float_denorm_mode_32 3
		.amdhsa_float_denorm_mode_16_64 3
		.amdhsa_dx10_clamp 1
		.amdhsa_ieee_mode 1
		.amdhsa_fp16_overflow 0
		.amdhsa_exception_fp_ieee_invalid_op 0
		.amdhsa_exception_fp_denorm_src 0
		.amdhsa_exception_fp_ieee_div_zero 0
		.amdhsa_exception_fp_ieee_overflow 0
		.amdhsa_exception_fp_ieee_underflow 0
		.amdhsa_exception_fp_ieee_inexact 0
		.amdhsa_exception_int_div_zero 0
	.end_amdhsa_kernel
	.section	.text._Z17sort_pairs_kernelI22helper_blocked_blockedaLj128ELj3ELj10EEvPKT0_PS1_,"axG",@progbits,_Z17sort_pairs_kernelI22helper_blocked_blockedaLj128ELj3ELj10EEvPKT0_PS1_,comdat
.Lfunc_end59:
	.size	_Z17sort_pairs_kernelI22helper_blocked_blockedaLj128ELj3ELj10EEvPKT0_PS1_, .Lfunc_end59-_Z17sort_pairs_kernelI22helper_blocked_blockedaLj128ELj3ELj10EEvPKT0_PS1_
                                        ; -- End function
	.set _Z17sort_pairs_kernelI22helper_blocked_blockedaLj128ELj3ELj10EEvPKT0_PS1_.num_vgpr, 35
	.set _Z17sort_pairs_kernelI22helper_blocked_blockedaLj128ELj3ELj10EEvPKT0_PS1_.num_agpr, 0
	.set _Z17sort_pairs_kernelI22helper_blocked_blockedaLj128ELj3ELj10EEvPKT0_PS1_.numbered_sgpr, 31
	.set _Z17sort_pairs_kernelI22helper_blocked_blockedaLj128ELj3ELj10EEvPKT0_PS1_.num_named_barrier, 0
	.set _Z17sort_pairs_kernelI22helper_blocked_blockedaLj128ELj3ELj10EEvPKT0_PS1_.private_seg_size, 0
	.set _Z17sort_pairs_kernelI22helper_blocked_blockedaLj128ELj3ELj10EEvPKT0_PS1_.uses_vcc, 1
	.set _Z17sort_pairs_kernelI22helper_blocked_blockedaLj128ELj3ELj10EEvPKT0_PS1_.uses_flat_scratch, 0
	.set _Z17sort_pairs_kernelI22helper_blocked_blockedaLj128ELj3ELj10EEvPKT0_PS1_.has_dyn_sized_stack, 0
	.set _Z17sort_pairs_kernelI22helper_blocked_blockedaLj128ELj3ELj10EEvPKT0_PS1_.has_recursion, 0
	.set _Z17sort_pairs_kernelI22helper_blocked_blockedaLj128ELj3ELj10EEvPKT0_PS1_.has_indirect_call, 0
	.section	.AMDGPU.csdata,"",@progbits
; Kernel info:
; codeLenInByte = 2392
; TotalNumSgprs: 35
; NumVgprs: 35
; ScratchSize: 0
; MemoryBound: 0
; FloatMode: 240
; IeeeMode: 1
; LDSByteSize: 2064 bytes/workgroup (compile time only)
; SGPRBlocks: 8
; VGPRBlocks: 8
; NumSGPRsForWavesPerEU: 65
; NumVGPRsForWavesPerEU: 35
; Occupancy: 7
; WaveLimiterHint : 1
; COMPUTE_PGM_RSRC2:SCRATCH_EN: 0
; COMPUTE_PGM_RSRC2:USER_SGPR: 6
; COMPUTE_PGM_RSRC2:TRAP_HANDLER: 0
; COMPUTE_PGM_RSRC2:TGID_X_EN: 1
; COMPUTE_PGM_RSRC2:TGID_Y_EN: 0
; COMPUTE_PGM_RSRC2:TGID_Z_EN: 0
; COMPUTE_PGM_RSRC2:TIDIG_COMP_CNT: 2
	.section	.text._Z16sort_keys_kernelI22helper_blocked_blockedaLj128ELj4ELj10EEvPKT0_PS1_,"axG",@progbits,_Z16sort_keys_kernelI22helper_blocked_blockedaLj128ELj4ELj10EEvPKT0_PS1_,comdat
	.protected	_Z16sort_keys_kernelI22helper_blocked_blockedaLj128ELj4ELj10EEvPKT0_PS1_ ; -- Begin function _Z16sort_keys_kernelI22helper_blocked_blockedaLj128ELj4ELj10EEvPKT0_PS1_
	.globl	_Z16sort_keys_kernelI22helper_blocked_blockedaLj128ELj4ELj10EEvPKT0_PS1_
	.p2align	8
	.type	_Z16sort_keys_kernelI22helper_blocked_blockedaLj128ELj4ELj10EEvPKT0_PS1_,@function
_Z16sort_keys_kernelI22helper_blocked_blockedaLj128ELj4ELj10EEvPKT0_PS1_: ; @_Z16sort_keys_kernelI22helper_blocked_blockedaLj128ELj4ELj10EEvPKT0_PS1_
; %bb.0:
	s_load_dwordx4 s[36:39], s[4:5], 0x0
	s_load_dword s7, s[4:5], 0x1c
	s_lshl_b32 s33, s6, 9
	v_mbcnt_lo_u32_b32 v7, -1, 0
	v_mbcnt_hi_u32_b32 v7, -1, v7
	s_waitcnt lgkmcnt(0)
	s_add_u32 s0, s36, s33
	s_addc_u32 s1, s37, 0
	global_load_ubyte v6, v0, s[0:1] offset:384
	global_load_ubyte v3, v0, s[0:1] offset:256
	;; [unrolled: 1-line block ×3, first 2 shown]
	global_load_ubyte v4, v0, s[0:1]
	s_lshr_b32 s6, s7, 16
	s_and_b32 s7, s7, 0xffff
	v_mad_u32_u24 v1, v2, s6, v1
	v_mad_u32_u24 v1, v1, s7, v0
	v_lshrrev_b32_e32 v1, 4, v1
	v_and_b32_e32 v16, 0xffffffc, v1
	v_and_b32_e32 v1, 15, v7
	v_cmp_eq_u32_e64 s[6:7], 0, v1
	v_cmp_lt_u32_e64 s[8:9], 1, v1
	v_cmp_lt_u32_e64 s[10:11], 3, v1
	;; [unrolled: 1-line block ×3, first 2 shown]
	v_and_b32_e32 v1, 16, v7
	v_and_b32_e32 v9, 3, v7
	v_cmp_eq_u32_e64 s[14:15], 0, v1
	v_or_b32_e32 v1, 63, v0
	v_lshrrev_b32_e32 v8, 2, v7
	v_cmp_eq_u32_e32 vcc, 3, v9
	v_cmp_eq_u32_e64 s[0:1], 2, v9
	v_cmp_eq_u32_e64 s[2:3], 1, v9
	;; [unrolled: 1-line block ×3, first 2 shown]
	v_and_b32_e32 v9, 64, v7
	v_cmp_eq_u32_e64 s[18:19], v0, v1
	v_subrev_co_u32_e64 v1, s[24:25], 1, v7
	s_mov_b32 s30, 0
	v_or_b32_e32 v10, v8, v9
	v_add_u32_e32 v8, 48, v8
	v_cmp_lt_i32_e64 s[26:27], v1, v9
	v_and_or_b32 v8, v8, 63, v9
	v_cndmask_b32_e64 v1, v1, v7, s[26:27]
	v_lshrrev_b32_e32 v2, 4, v0
	s_mov_b32 s34, s30
	v_lshlrev_b32_e32 v11, 2, v10
	v_lshlrev_b32_e32 v14, 2, v8
	;; [unrolled: 1-line block ×3, first 2 shown]
	v_cmp_lt_u32_e64 s[16:17], 31, v7
	v_lshlrev_b32_e32 v17, 2, v1
	v_mul_i32_i24_e32 v1, -12, v0
	v_and_b32_e32 v18, 4, v2
	v_and_b32_e32 v2, 1, v7
	s_mov_b32 s31, s30
	s_mov_b32 s35, s30
	v_mov_b32_e32 v7, s30
	v_mov_b32_e32 v9, s34
	;; [unrolled: 1-line block ×3, first 2 shown]
	v_add_u32_e32 v12, 64, v11
	s_movk_i32 s36, 0x80
	v_or_b32_e32 v13, 0x80, v11
	s_mov_b32 s37, 0xffff
	v_cmp_gt_u32_e64 s[20:21], 2, v0
	v_cmp_lt_u32_e64 s[22:23], 63, v0
	v_cmp_eq_u32_e64 s[26:27], 0, v0
	v_cmp_eq_u32_e64 s[28:29], 0, v2
	v_add_u32_e32 v19, -4, v18
	s_mov_b32 s40, 10
	s_movk_i32 s41, 0xff
	s_mov_b32 s42, 0x3020104
	s_mov_b32 s43, 0xffff0000
	;; [unrolled: 1-line block ×3, first 2 shown]
	v_mov_b32_e32 v8, s31
	v_mov_b32_e32 v10, s35
	s_movk_i32 s45, 0xff00
	v_mov_b32_e32 v20, 3
	v_add_u32_e32 v21, v15, v1
	s_branch .LBB60_2
.LBB60_1:                               ;   in Loop: Header=BB60_2 Depth=1
	s_or_b64 exec, exec, s[30:31]
	s_waitcnt lgkmcnt(0)
	v_add_u32_e32 v4, v36, v4
	ds_bpermute_b32 v4, v17, v4
	s_add_i32 s40, s40, -1
	s_cmp_eq_u32 s40, 0
	s_waitcnt lgkmcnt(0)
	v_cndmask_b32_e64 v4, v4, v36, s[24:25]
	v_cndmask_b32_e64 v36, v4, 0, s[26:27]
	v_add_u32_e32 v37, v36, v1
	v_add_u32_e32 v1, v37, v2
	;; [unrolled: 1-line block ×3, first 2 shown]
	ds_write2_b64 v15, v[36:37], v[1:2] offset0:1 offset1:2
	s_waitcnt lgkmcnt(0)
	s_barrier
	ds_read_b32 v1, v24 offset:8
	ds_read_b32 v2, v27 offset:8
	;; [unrolled: 1-line block ×4, first 2 shown]
	s_waitcnt lgkmcnt(0)
	v_add_u32_e32 v1, v1, v23
	s_barrier
	ds_write_b8 v1, v22
	v_add3_u32 v1, v28, v26, v2
	ds_write_b8 v1, v25
	v_add3_u32 v1, v32, v30, v3
	;; [unrolled: 2-line block ×3, first 2 shown]
	ds_write_b8 v1, v33
	s_waitcnt lgkmcnt(0)
	s_barrier
	ds_read_b32 v1, v21
	s_waitcnt lgkmcnt(0)
	v_and_b32_e32 v2, 0xffffff00, v1
	v_xor_b32_e32 v3, 0x80, v1
	v_or_b32_sdwa v2, v3, v2 dst_sel:DWORD dst_unused:UNUSED_PAD src0_sel:BYTE_0 src1_sel:DWORD
	v_add_u16_e32 v4, 0x8000, v2
	v_and_b32_sdwa v2, v1, s45 dst_sel:DWORD dst_unused:UNUSED_PAD src0_sel:WORD_1 src1_sel:DWORD
	v_xor_b32_sdwa v1, v1, s36 dst_sel:DWORD dst_unused:UNUSED_PAD src0_sel:WORD_1 src1_sel:DWORD
	v_or_b32_sdwa v1, v1, v2 dst_sel:DWORD dst_unused:UNUSED_PAD src0_sel:BYTE_0 src1_sel:DWORD
	v_add_u16_e32 v3, 0x8000, v1
	v_lshlrev_b32_e32 v2, 16, v3
	v_or_b32_e32 v1, v4, v2
	v_lshrrev_b32_e32 v22, 8, v1
	v_lshrrev_b32_e32 v6, 24, v2
	s_cbranch_scc1 .LBB60_16
.LBB60_2:                               ; =>This Inner Loop Header: Depth=1
	s_waitcnt vmcnt(0)
	v_xor_b32_e32 v1, 0x80, v4
	v_xor_b32_e32 v2, 0x80, v22
	v_and_b32_e32 v1, 0xff, v1
	ds_bpermute_b32 v4, v11, v1
	v_xor_b32_e32 v3, 0x80, v3
	v_and_b32_e32 v2, 0xff, v2
	ds_bpermute_b32 v22, v11, v2
	v_and_b32_e32 v3, 0xff, v3
	ds_bpermute_b32 v23, v11, v3
	v_xor_b32_e32 v6, 0x80, v6
	v_and_b32_e32 v6, 0xff, v6
	s_waitcnt lgkmcnt(2)
	v_and_b32_e32 v4, 0xff, v4
	ds_bpermute_b32 v24, v11, v6
	v_cndmask_b32_e64 v4, 0, v4, s[4:5]
	s_waitcnt lgkmcnt(2)
	v_and_b32_e32 v22, 0xff, v22
	v_cndmask_b32_e64 v4, v4, v22, s[2:3]
	s_waitcnt lgkmcnt(1)
	v_and_b32_e32 v22, 0xff, v23
	ds_bpermute_b32 v23, v12, v1
	v_cndmask_b32_e64 v4, v4, v22, s[0:1]
	s_waitcnt lgkmcnt(1)
	v_perm_b32 v22, v24, v4, s42
	v_cndmask_b32_e32 v4, v4, v22, vcc
	ds_bpermute_b32 v22, v12, v2
	s_waitcnt lgkmcnt(1)
	v_lshlrev_b16_e32 v23, 8, v23
	v_or_b32_sdwa v23, v4, v23 dst_sel:DWORD dst_unused:UNUSED_PAD src0_sel:BYTE_0 src1_sel:DWORD
	v_and_b32_e32 v23, 0xffff, v23
	v_cndmask_b32_e64 v4, v4, v23, s[4:5]
	ds_bpermute_b32 v23, v12, v3
	s_waitcnt lgkmcnt(1)
	v_lshlrev_b16_e32 v22, 8, v22
	v_or_b32_sdwa v22, v4, v22 dst_sel:DWORD dst_unused:UNUSED_PAD src0_sel:BYTE_0 src1_sel:DWORD
	v_and_b32_e32 v22, 0xffff, v22
	v_and_or_b32 v22, v4, s43, v22
	v_cndmask_b32_e64 v4, v4, v22, s[2:3]
	s_waitcnt lgkmcnt(0)
	v_lshlrev_b16_e32 v22, 8, v23
	ds_bpermute_b32 v23, v12, v6
	v_or_b32_sdwa v22, v4, v22 dst_sel:DWORD dst_unused:UNUSED_PAD src0_sel:BYTE_0 src1_sel:DWORD
	v_and_b32_e32 v22, 0xffff, v22
	v_and_or_b32 v22, v4, s43, v22
	v_cndmask_b32_e64 v4, v4, v22, s[0:1]
	s_waitcnt lgkmcnt(0)
	v_lshlrev_b16_e32 v22, 8, v23
	ds_bpermute_b32 v23, v13, v1
	v_or_b32_sdwa v22, v4, v22 dst_sel:DWORD dst_unused:UNUSED_PAD src0_sel:BYTE_0 src1_sel:DWORD
	v_and_b32_e32 v22, 0xffff, v22
	v_and_or_b32 v22, v4, s43, v22
	v_cndmask_b32_e32 v4, v4, v22, vcc
	ds_bpermute_b32 v22, v13, v2
	s_waitcnt lgkmcnt(1)
	v_perm_b32 v23, v23, v4, s44
	v_lshlrev_b32_e32 v23, 16, v23
	v_and_or_b32 v23, v4, s37, v23
	v_cndmask_b32_e64 v4, v4, v23, s[4:5]
	ds_bpermute_b32 v23, v13, v3
	s_waitcnt lgkmcnt(1)
	v_perm_b32 v22, v22, v4, s44
	v_lshlrev_b32_e32 v22, 16, v22
	v_and_or_b32 v22, v4, s37, v22
	v_cndmask_b32_e64 v4, v4, v22, s[2:3]
	;; [unrolled: 6-line block ×3, first 2 shown]
	ds_bpermute_b32 v1, v14, v1
	s_waitcnt lgkmcnt(1)
	v_perm_b32 v22, v22, v4, s44
	v_lshlrev_b32_e32 v22, 16, v22
	v_and_or_b32 v22, v4, s37, v22
	v_cndmask_b32_e32 v4, v4, v22, vcc
	ds_bpermute_b32 v2, v14, v2
	v_and_b32_sdwa v22, v4, s41 dst_sel:DWORD dst_unused:UNUSED_PAD src0_sel:WORD_1 src1_sel:DWORD
	s_waitcnt lgkmcnt(1)
	v_lshlrev_b16_e32 v1, 8, v1
	v_or_b32_sdwa v1, v22, v1 dst_sel:WORD_1 dst_unused:UNUSED_PAD src0_sel:DWORD src1_sel:DWORD
	v_and_or_b32 v1, v4, s37, v1
	v_cndmask_b32_e64 v1, v4, v1, s[4:5]
	ds_bpermute_b32 v3, v14, v3
	v_and_b32_sdwa v4, v1, s41 dst_sel:DWORD dst_unused:UNUSED_PAD src0_sel:WORD_1 src1_sel:DWORD
	s_waitcnt lgkmcnt(1)
	v_lshlrev_b16_e32 v2, 8, v2
	v_or_b32_sdwa v2, v4, v2 dst_sel:WORD_1 dst_unused:UNUSED_PAD src0_sel:DWORD src1_sel:DWORD
	v_and_or_b32 v2, v1, s37, v2
	v_cndmask_b32_e64 v1, v1, v2, s[2:3]
	;; [unrolled: 7-line block ×3, first 2 shown]
	v_and_b32_sdwa v2, v1, s41 dst_sel:DWORD dst_unused:UNUSED_PAD src0_sel:WORD_1 src1_sel:DWORD
	s_waitcnt lgkmcnt(0)
	v_lshlrev_b16_e32 v3, 8, v4
	v_or_b32_sdwa v2, v2, v3 dst_sel:WORD_1 dst_unused:UNUSED_PAD src0_sel:DWORD src1_sel:DWORD
	v_and_or_b32 v2, v1, s37, v2
	v_cndmask_b32_e32 v22, v1, v2, vcc
	v_and_b32_e32 v1, 1, v22
	v_add_co_u32_e64 v2, s[30:31], -1, v1
	v_addc_co_u32_e64 v4, s[30:31], 0, -1, s[30:31]
	v_cmp_ne_u32_e64 s[30:31], 0, v1
	v_lshlrev_b32_e32 v6, 30, v22
	v_xor_b32_e32 v1, s31, v4
	v_xor_b32_e32 v2, s30, v2
	v_cmp_gt_i64_e64 s[30:31], 0, v[5:6]
	v_not_b32_e32 v4, v6
	v_ashrrev_i32_e32 v4, 31, v4
	v_and_b32_e32 v1, exec_hi, v1
	v_xor_b32_e32 v6, s31, v4
	v_and_b32_e32 v2, exec_lo, v2
	v_xor_b32_e32 v4, s30, v4
	v_and_b32_e32 v1, v1, v6
	v_lshlrev_b32_e32 v6, 29, v22
	v_and_b32_e32 v2, v2, v4
	v_cmp_gt_i64_e64 s[30:31], 0, v[5:6]
	v_not_b32_e32 v4, v6
	v_ashrrev_i32_e32 v4, 31, v4
	v_xor_b32_e32 v6, s31, v4
	v_xor_b32_e32 v4, s30, v4
	v_and_b32_e32 v1, v1, v6
	v_lshlrev_b32_e32 v6, 28, v22
	v_and_b32_e32 v2, v2, v4
	v_cmp_gt_i64_e64 s[30:31], 0, v[5:6]
	v_not_b32_e32 v4, v6
	v_ashrrev_i32_e32 v4, 31, v4
	v_xor_b32_e32 v6, s31, v4
	;; [unrolled: 8-line block ×6, first 2 shown]
	v_xor_b32_e32 v23, s30, v2
	v_and_b32_e32 v2, v1, v6
	v_and_b32_e32 v1, v4, v23
	v_mbcnt_lo_u32_b32 v4, v1, 0
	v_mbcnt_hi_u32_b32 v23, v2, v4
	v_cmp_ne_u64_e64 s[30:31], 0, v[1:2]
	v_lshlrev_b32_sdwa v3, v20, v22 dst_sel:DWORD dst_unused:UNUSED_PAD src0_sel:DWORD src1_sel:BYTE_0
	v_cmp_eq_u32_e64 s[34:35], 0, v23
	s_and_b64 s[34:35], s[34:35], s[30:31]
	v_add_u32_e32 v24, v16, v3
	s_barrier
	ds_write2_b64 v15, v[7:8], v[9:10] offset0:1 offset1:2
	s_waitcnt lgkmcnt(0)
	s_barrier
	; wave barrier
	s_and_saveexec_b64 s[30:31], s[34:35]
; %bb.3:                                ;   in Loop: Header=BB60_2 Depth=1
	v_bcnt_u32_b32 v1, v1, 0
	v_bcnt_u32_b32 v1, v2, v1
	ds_write_b32 v24, v1 offset:8
; %bb.4:                                ;   in Loop: Header=BB60_2 Depth=1
	s_or_b64 exec, exec, s[30:31]
	v_lshlrev_b32_sdwa v1, v20, v22 dst_sel:DWORD dst_unused:UNUSED_PAD src0_sel:DWORD src1_sel:BYTE_1
	v_add_u32_e32 v27, v16, v1
	v_bfe_u32 v1, v22, 8, 1
	v_add_co_u32_e64 v2, s[30:31], -1, v1
	v_lshrrev_b32_e32 v25, 8, v22
	v_addc_co_u32_e64 v3, s[30:31], 0, -1, s[30:31]
	v_cmp_ne_u32_e64 s[30:31], 0, v1
	v_lshlrev_b32_e32 v6, 30, v25
	v_xor_b32_e32 v1, s31, v3
	v_xor_b32_e32 v2, s30, v2
	v_cmp_gt_i64_e64 s[30:31], 0, v[5:6]
	v_not_b32_e32 v3, v6
	v_ashrrev_i32_e32 v3, 31, v3
	v_and_b32_e32 v2, exec_lo, v2
	v_xor_b32_e32 v4, s31, v3
	v_xor_b32_e32 v3, s30, v3
	v_lshlrev_b32_e32 v6, 29, v25
	v_and_b32_e32 v2, v2, v3
	v_cmp_gt_i64_e64 s[30:31], 0, v[5:6]
	v_not_b32_e32 v3, v6
	v_and_b32_e32 v1, exec_hi, v1
	v_ashrrev_i32_e32 v3, 31, v3
	v_and_b32_e32 v1, v1, v4
	v_xor_b32_e32 v4, s31, v3
	v_xor_b32_e32 v3, s30, v3
	v_lshlrev_b32_e32 v6, 28, v25
	v_and_b32_e32 v2, v2, v3
	v_cmp_gt_i64_e64 s[30:31], 0, v[5:6]
	v_not_b32_e32 v3, v6
	v_ashrrev_i32_e32 v3, 31, v3
	v_and_b32_e32 v1, v1, v4
	v_xor_b32_e32 v4, s31, v3
	v_xor_b32_e32 v3, s30, v3
	v_lshlrev_b32_e32 v6, 27, v25
	v_and_b32_e32 v2, v2, v3
	v_cmp_gt_i64_e64 s[30:31], 0, v[5:6]
	v_not_b32_e32 v3, v6
	;; [unrolled: 8-line block ×5, first 2 shown]
	v_ashrrev_i32_e32 v2, 31, v2
	v_and_b32_e32 v1, v1, v4
	v_xor_b32_e32 v4, s31, v2
	v_xor_b32_e32 v6, s30, v2
	; wave barrier
	ds_read_b32 v26, v27 offset:8
	v_and_b32_e32 v2, v1, v4
	v_and_b32_e32 v1, v3, v6
	v_mbcnt_lo_u32_b32 v3, v1, 0
	v_mbcnt_hi_u32_b32 v28, v2, v3
	v_cmp_ne_u64_e64 s[30:31], 0, v[1:2]
	v_cmp_eq_u32_e64 s[34:35], 0, v28
	s_and_b64 s[34:35], s[30:31], s[34:35]
	; wave barrier
	s_and_saveexec_b64 s[30:31], s[34:35]
	s_cbranch_execz .LBB60_6
; %bb.5:                                ;   in Loop: Header=BB60_2 Depth=1
	v_bcnt_u32_b32 v1, v1, 0
	v_bcnt_u32_b32 v1, v2, v1
	s_waitcnt lgkmcnt(0)
	v_add_u32_e32 v1, v26, v1
	ds_write_b32 v27, v1 offset:8
.LBB60_6:                               ;   in Loop: Header=BB60_2 Depth=1
	s_or_b64 exec, exec, s[30:31]
	v_lshlrev_b32_sdwa v1, v20, v22 dst_sel:DWORD dst_unused:UNUSED_PAD src0_sel:DWORD src1_sel:BYTE_2
	v_add_u32_e32 v31, v16, v1
	v_bfe_u32 v1, v22, 16, 1
	v_add_co_u32_e64 v2, s[30:31], -1, v1
	v_lshrrev_b32_e32 v29, 16, v22
	v_addc_co_u32_e64 v3, s[30:31], 0, -1, s[30:31]
	v_cmp_ne_u32_e64 s[30:31], 0, v1
	v_lshlrev_b32_e32 v6, 30, v29
	v_xor_b32_e32 v1, s31, v3
	v_xor_b32_e32 v2, s30, v2
	v_cmp_gt_i64_e64 s[30:31], 0, v[5:6]
	v_not_b32_e32 v3, v6
	v_ashrrev_i32_e32 v3, 31, v3
	v_and_b32_e32 v2, exec_lo, v2
	v_xor_b32_e32 v4, s31, v3
	v_xor_b32_e32 v3, s30, v3
	v_lshlrev_b32_e32 v6, 29, v29
	v_and_b32_e32 v2, v2, v3
	v_cmp_gt_i64_e64 s[30:31], 0, v[5:6]
	v_not_b32_e32 v3, v6
	v_and_b32_e32 v1, exec_hi, v1
	v_ashrrev_i32_e32 v3, 31, v3
	v_and_b32_e32 v1, v1, v4
	v_xor_b32_e32 v4, s31, v3
	v_xor_b32_e32 v3, s30, v3
	v_lshlrev_b32_e32 v6, 28, v29
	v_and_b32_e32 v2, v2, v3
	v_cmp_gt_i64_e64 s[30:31], 0, v[5:6]
	v_not_b32_e32 v3, v6
	v_ashrrev_i32_e32 v3, 31, v3
	v_and_b32_e32 v1, v1, v4
	v_xor_b32_e32 v4, s31, v3
	v_xor_b32_e32 v3, s30, v3
	v_lshlrev_b32_e32 v6, 27, v29
	v_and_b32_e32 v2, v2, v3
	v_cmp_gt_i64_e64 s[30:31], 0, v[5:6]
	v_not_b32_e32 v3, v6
	;; [unrolled: 8-line block ×5, first 2 shown]
	v_ashrrev_i32_e32 v2, 31, v2
	v_and_b32_e32 v1, v1, v4
	v_xor_b32_e32 v4, s31, v2
	v_xor_b32_e32 v6, s30, v2
	; wave barrier
	ds_read_b32 v30, v31 offset:8
	v_and_b32_e32 v2, v1, v4
	v_and_b32_e32 v1, v3, v6
	v_mbcnt_lo_u32_b32 v3, v1, 0
	v_mbcnt_hi_u32_b32 v32, v2, v3
	v_cmp_ne_u64_e64 s[30:31], 0, v[1:2]
	v_cmp_eq_u32_e64 s[34:35], 0, v32
	s_and_b64 s[34:35], s[30:31], s[34:35]
	; wave barrier
	s_and_saveexec_b64 s[30:31], s[34:35]
	s_cbranch_execz .LBB60_8
; %bb.7:                                ;   in Loop: Header=BB60_2 Depth=1
	v_bcnt_u32_b32 v1, v1, 0
	v_bcnt_u32_b32 v1, v2, v1
	s_waitcnt lgkmcnt(0)
	v_add_u32_e32 v1, v30, v1
	ds_write_b32 v31, v1 offset:8
.LBB60_8:                               ;   in Loop: Header=BB60_2 Depth=1
	s_or_b64 exec, exec, s[30:31]
	v_lshrrev_b32_e32 v33, 24, v22
	v_lshlrev_b32_e32 v1, 3, v33
	v_add_u32_e32 v35, v16, v1
	v_bfe_u32 v1, v22, 24, 1
	v_add_co_u32_e64 v2, s[30:31], -1, v1
	v_addc_co_u32_e64 v3, s[30:31], 0, -1, s[30:31]
	v_cmp_ne_u32_e64 s[30:31], 0, v1
	v_lshlrev_b32_e32 v6, 30, v33
	v_xor_b32_e32 v1, s31, v3
	v_xor_b32_e32 v2, s30, v2
	v_cmp_gt_i64_e64 s[30:31], 0, v[5:6]
	v_not_b32_e32 v3, v6
	v_ashrrev_i32_e32 v3, 31, v3
	v_and_b32_e32 v2, exec_lo, v2
	v_xor_b32_e32 v4, s31, v3
	v_xor_b32_e32 v3, s30, v3
	v_lshlrev_b32_e32 v6, 29, v33
	v_and_b32_e32 v2, v2, v3
	v_cmp_gt_i64_e64 s[30:31], 0, v[5:6]
	v_not_b32_e32 v3, v6
	v_and_b32_e32 v1, exec_hi, v1
	v_ashrrev_i32_e32 v3, 31, v3
	v_and_b32_e32 v1, v1, v4
	v_xor_b32_e32 v4, s31, v3
	v_xor_b32_e32 v3, s30, v3
	v_lshlrev_b32_e32 v6, 28, v33
	v_and_b32_e32 v2, v2, v3
	v_cmp_gt_i64_e64 s[30:31], 0, v[5:6]
	v_not_b32_e32 v3, v6
	v_ashrrev_i32_e32 v3, 31, v3
	v_and_b32_e32 v1, v1, v4
	v_xor_b32_e32 v4, s31, v3
	v_xor_b32_e32 v3, s30, v3
	v_lshlrev_b32_e32 v6, 27, v33
	v_and_b32_e32 v2, v2, v3
	v_cmp_gt_i64_e64 s[30:31], 0, v[5:6]
	v_not_b32_e32 v3, v6
	;; [unrolled: 8-line block ×4, first 2 shown]
	v_ashrrev_i32_e32 v3, 31, v3
	v_and_b32_e32 v1, v1, v4
	v_xor_b32_e32 v4, s31, v3
	v_xor_b32_e32 v3, s30, v3
	v_and_b32_e32 v6, 0xff000000, v22
	v_and_b32_e32 v3, v2, v3
	v_cmp_gt_i64_e64 s[30:31], 0, v[5:6]
	v_not_b32_e32 v2, v6
	v_ashrrev_i32_e32 v2, 31, v2
	v_and_b32_e32 v1, v1, v4
	v_xor_b32_e32 v4, s31, v2
	v_xor_b32_e32 v6, s30, v2
	; wave barrier
	ds_read_b32 v34, v35 offset:8
	v_and_b32_e32 v2, v1, v4
	v_and_b32_e32 v1, v3, v6
	v_mbcnt_lo_u32_b32 v3, v1, 0
	v_mbcnt_hi_u32_b32 v6, v2, v3
	v_cmp_ne_u64_e64 s[30:31], 0, v[1:2]
	v_cmp_eq_u32_e64 s[34:35], 0, v6
	s_and_b64 s[34:35], s[30:31], s[34:35]
	; wave barrier
	s_and_saveexec_b64 s[30:31], s[34:35]
	s_cbranch_execz .LBB60_10
; %bb.9:                                ;   in Loop: Header=BB60_2 Depth=1
	v_bcnt_u32_b32 v1, v1, 0
	v_bcnt_u32_b32 v1, v2, v1
	s_waitcnt lgkmcnt(0)
	v_add_u32_e32 v1, v34, v1
	ds_write_b32 v35, v1 offset:8
.LBB60_10:                              ;   in Loop: Header=BB60_2 Depth=1
	s_or_b64 exec, exec, s[30:31]
	; wave barrier
	s_waitcnt lgkmcnt(0)
	s_barrier
	ds_read2_b64 v[1:4], v15 offset0:1 offset1:2
	s_waitcnt lgkmcnt(0)
	v_add_u32_e32 v36, v2, v1
	v_add3_u32 v4, v36, v3, v4
	s_nop 1
	v_mov_b32_dpp v36, v4 row_shr:1 row_mask:0xf bank_mask:0xf
	v_cndmask_b32_e64 v36, v36, 0, s[6:7]
	v_add_u32_e32 v4, v36, v4
	s_nop 1
	v_mov_b32_dpp v36, v4 row_shr:2 row_mask:0xf bank_mask:0xf
	v_cndmask_b32_e64 v36, 0, v36, s[8:9]
	v_add_u32_e32 v4, v4, v36
	;; [unrolled: 4-line block ×4, first 2 shown]
	s_nop 1
	v_mov_b32_dpp v36, v4 row_bcast:15 row_mask:0xf bank_mask:0xf
	v_cndmask_b32_e64 v36, v36, 0, s[14:15]
	v_add_u32_e32 v4, v4, v36
	s_nop 1
	v_mov_b32_dpp v36, v4 row_bcast:31 row_mask:0xf bank_mask:0xf
	v_cndmask_b32_e64 v36, 0, v36, s[16:17]
	v_add_u32_e32 v4, v4, v36
	s_and_saveexec_b64 s[30:31], s[18:19]
; %bb.11:                               ;   in Loop: Header=BB60_2 Depth=1
	ds_write_b32 v18, v4
; %bb.12:                               ;   in Loop: Header=BB60_2 Depth=1
	s_or_b64 exec, exec, s[30:31]
	s_waitcnt lgkmcnt(0)
	s_barrier
	s_and_saveexec_b64 s[30:31], s[20:21]
	s_cbranch_execz .LBB60_14
; %bb.13:                               ;   in Loop: Header=BB60_2 Depth=1
	ds_read_b32 v36, v21
	s_waitcnt lgkmcnt(0)
	s_nop 0
	v_mov_b32_dpp v37, v36 row_shr:1 row_mask:0xf bank_mask:0xf
	v_cndmask_b32_e64 v37, v37, 0, s[28:29]
	v_add_u32_e32 v36, v37, v36
	ds_write_b32 v21, v36
.LBB60_14:                              ;   in Loop: Header=BB60_2 Depth=1
	s_or_b64 exec, exec, s[30:31]
	v_mov_b32_e32 v36, 0
	s_waitcnt lgkmcnt(0)
	s_barrier
	s_and_saveexec_b64 s[30:31], s[22:23]
	s_cbranch_execz .LBB60_1
; %bb.15:                               ;   in Loop: Header=BB60_2 Depth=1
	ds_read_b32 v36, v19
	s_branch .LBB60_1
.LBB60_16:
	s_add_u32 s0, s38, s33
	s_addc_u32 s1, s39, 0
	v_mov_b32_e32 v3, s1
	v_add_co_u32_e32 v2, vcc, s0, v0
	v_addc_co_u32_e32 v3, vcc, 0, v3, vcc
	v_lshrrev_b32_e32 v0, 8, v1
	global_store_byte v[2:3], v1, off
	global_store_byte v[2:3], v0, off offset:128
	global_store_byte_d16_hi v[2:3], v1, off offset:256
	v_lshrrev_b32_e32 v0, 24, v1
	global_store_byte v[2:3], v0, off offset:384
	s_endpgm
	.section	.rodata,"a",@progbits
	.p2align	6, 0x0
	.amdhsa_kernel _Z16sort_keys_kernelI22helper_blocked_blockedaLj128ELj4ELj10EEvPKT0_PS1_
		.amdhsa_group_segment_fixed_size 2064
		.amdhsa_private_segment_fixed_size 0
		.amdhsa_kernarg_size 272
		.amdhsa_user_sgpr_count 6
		.amdhsa_user_sgpr_private_segment_buffer 1
		.amdhsa_user_sgpr_dispatch_ptr 0
		.amdhsa_user_sgpr_queue_ptr 0
		.amdhsa_user_sgpr_kernarg_segment_ptr 1
		.amdhsa_user_sgpr_dispatch_id 0
		.amdhsa_user_sgpr_flat_scratch_init 0
		.amdhsa_user_sgpr_private_segment_size 0
		.amdhsa_uses_dynamic_stack 0
		.amdhsa_system_sgpr_private_segment_wavefront_offset 0
		.amdhsa_system_sgpr_workgroup_id_x 1
		.amdhsa_system_sgpr_workgroup_id_y 0
		.amdhsa_system_sgpr_workgroup_id_z 0
		.amdhsa_system_sgpr_workgroup_info 0
		.amdhsa_system_vgpr_workitem_id 2
		.amdhsa_next_free_vgpr 38
		.amdhsa_next_free_sgpr 61
		.amdhsa_reserve_vcc 1
		.amdhsa_reserve_flat_scratch 0
		.amdhsa_float_round_mode_32 0
		.amdhsa_float_round_mode_16_64 0
		.amdhsa_float_denorm_mode_32 3
		.amdhsa_float_denorm_mode_16_64 3
		.amdhsa_dx10_clamp 1
		.amdhsa_ieee_mode 1
		.amdhsa_fp16_overflow 0
		.amdhsa_exception_fp_ieee_invalid_op 0
		.amdhsa_exception_fp_denorm_src 0
		.amdhsa_exception_fp_ieee_div_zero 0
		.amdhsa_exception_fp_ieee_overflow 0
		.amdhsa_exception_fp_ieee_underflow 0
		.amdhsa_exception_fp_ieee_inexact 0
		.amdhsa_exception_int_div_zero 0
	.end_amdhsa_kernel
	.section	.text._Z16sort_keys_kernelI22helper_blocked_blockedaLj128ELj4ELj10EEvPKT0_PS1_,"axG",@progbits,_Z16sort_keys_kernelI22helper_blocked_blockedaLj128ELj4ELj10EEvPKT0_PS1_,comdat
.Lfunc_end60:
	.size	_Z16sort_keys_kernelI22helper_blocked_blockedaLj128ELj4ELj10EEvPKT0_PS1_, .Lfunc_end60-_Z16sort_keys_kernelI22helper_blocked_blockedaLj128ELj4ELj10EEvPKT0_PS1_
                                        ; -- End function
	.set _Z16sort_keys_kernelI22helper_blocked_blockedaLj128ELj4ELj10EEvPKT0_PS1_.num_vgpr, 38
	.set _Z16sort_keys_kernelI22helper_blocked_blockedaLj128ELj4ELj10EEvPKT0_PS1_.num_agpr, 0
	.set _Z16sort_keys_kernelI22helper_blocked_blockedaLj128ELj4ELj10EEvPKT0_PS1_.numbered_sgpr, 46
	.set _Z16sort_keys_kernelI22helper_blocked_blockedaLj128ELj4ELj10EEvPKT0_PS1_.num_named_barrier, 0
	.set _Z16sort_keys_kernelI22helper_blocked_blockedaLj128ELj4ELj10EEvPKT0_PS1_.private_seg_size, 0
	.set _Z16sort_keys_kernelI22helper_blocked_blockedaLj128ELj4ELj10EEvPKT0_PS1_.uses_vcc, 1
	.set _Z16sort_keys_kernelI22helper_blocked_blockedaLj128ELj4ELj10EEvPKT0_PS1_.uses_flat_scratch, 0
	.set _Z16sort_keys_kernelI22helper_blocked_blockedaLj128ELj4ELj10EEvPKT0_PS1_.has_dyn_sized_stack, 0
	.set _Z16sort_keys_kernelI22helper_blocked_blockedaLj128ELj4ELj10EEvPKT0_PS1_.has_recursion, 0
	.set _Z16sort_keys_kernelI22helper_blocked_blockedaLj128ELj4ELj10EEvPKT0_PS1_.has_indirect_call, 0
	.section	.AMDGPU.csdata,"",@progbits
; Kernel info:
; codeLenInByte = 3384
; TotalNumSgprs: 50
; NumVgprs: 38
; ScratchSize: 0
; MemoryBound: 0
; FloatMode: 240
; IeeeMode: 1
; LDSByteSize: 2064 bytes/workgroup (compile time only)
; SGPRBlocks: 8
; VGPRBlocks: 9
; NumSGPRsForWavesPerEU: 65
; NumVGPRsForWavesPerEU: 38
; Occupancy: 6
; WaveLimiterHint : 1
; COMPUTE_PGM_RSRC2:SCRATCH_EN: 0
; COMPUTE_PGM_RSRC2:USER_SGPR: 6
; COMPUTE_PGM_RSRC2:TRAP_HANDLER: 0
; COMPUTE_PGM_RSRC2:TGID_X_EN: 1
; COMPUTE_PGM_RSRC2:TGID_Y_EN: 0
; COMPUTE_PGM_RSRC2:TGID_Z_EN: 0
; COMPUTE_PGM_RSRC2:TIDIG_COMP_CNT: 2
	.section	.text._Z17sort_pairs_kernelI22helper_blocked_blockedaLj128ELj4ELj10EEvPKT0_PS1_,"axG",@progbits,_Z17sort_pairs_kernelI22helper_blocked_blockedaLj128ELj4ELj10EEvPKT0_PS1_,comdat
	.protected	_Z17sort_pairs_kernelI22helper_blocked_blockedaLj128ELj4ELj10EEvPKT0_PS1_ ; -- Begin function _Z17sort_pairs_kernelI22helper_blocked_blockedaLj128ELj4ELj10EEvPKT0_PS1_
	.globl	_Z17sort_pairs_kernelI22helper_blocked_blockedaLj128ELj4ELj10EEvPKT0_PS1_
	.p2align	8
	.type	_Z17sort_pairs_kernelI22helper_blocked_blockedaLj128ELj4ELj10EEvPKT0_PS1_,@function
_Z17sort_pairs_kernelI22helper_blocked_blockedaLj128ELj4ELj10EEvPKT0_PS1_: ; @_Z17sort_pairs_kernelI22helper_blocked_blockedaLj128ELj4ELj10EEvPKT0_PS1_
; %bb.0:
	s_load_dwordx4 s[36:39], s[4:5], 0x0
	s_load_dword s30, s[4:5], 0x1c
	s_lshl_b32 s33, s6, 9
	v_mbcnt_lo_u32_b32 v7, -1, 0
	v_mbcnt_hi_u32_b32 v14, -1, v7
	s_waitcnt lgkmcnt(0)
	s_add_u32 s0, s36, s33
	s_addc_u32 s1, s37, 0
	global_load_ubyte v4, v0, s[0:1]
	global_load_ubyte v6, v0, s[0:1] offset:128
	global_load_ubyte v3, v0, s[0:1] offset:256
	;; [unrolled: 1-line block ×3, first 2 shown]
	s_lshr_b32 s34, s30, 16
	s_and_b32 s30, s30, 0xffff
	v_mad_u32_u24 v1, v2, s34, v1
	s_mov_b32 s12, 0
	v_lshrrev_b32_e32 v15, 2, v14
	v_and_b32_e32 v17, 64, v14
	v_subrev_co_u32_e64 v20, s[10:11], 1, v14
	v_mad_u32_u24 v1, v1, s30, v0
	v_or_b32_e32 v7, 63, v0
	v_lshrrev_b32_e32 v8, 4, v0
	s_mov_b32 s14, s12
	v_and_b32_e32 v18, 15, v14
	v_and_b32_e32 v19, 16, v14
	v_and_b32_e32 v23, 1, v14
	v_add_u32_e32 v24, 48, v15
	v_cmp_lt_i32_e64 s[28:29], v20, v17
	v_lshrrev_b32_e32 v1, 4, v1
	s_mov_b32 s13, s12
	s_mov_b32 s15, s12
	v_and_b32_e32 v16, 3, v14
	v_cmp_eq_u32_e64 s[8:9], v0, v7
	v_and_b32_e32 v13, 4, v8
	v_mov_b32_e32 v7, s12
	v_mov_b32_e32 v9, s14
	v_cmp_eq_u32_e64 s[18:19], 0, v18
	v_cmp_lt_u32_e64 s[20:21], 1, v18
	v_cmp_lt_u32_e64 s[22:23], 3, v18
	;; [unrolled: 1-line block ×3, first 2 shown]
	v_cmp_eq_u32_e64 s[26:27], 0, v19
	v_cndmask_b32_e64 v18, v20, v14, s[28:29]
	v_cmp_eq_u32_e64 s[28:29], 0, v23
	v_and_or_b32 v19, v24, 63, v17
	v_and_b32_e32 v20, 0xffffffc, v1
	s_movk_i32 s31, 0x100
	v_mov_b32_e32 v8, s13
	v_mov_b32_e32 v10, s15
	v_cmp_eq_u32_e64 s[12:13], 3, v16
	v_cmp_eq_u32_e64 s[14:15], 2, v16
	;; [unrolled: 1-line block ×3, first 2 shown]
	v_cmp_eq_u32_e32 vcc, 0, v16
	v_or_b32_e32 v16, v15, v17
	v_lshlrev_b32_e32 v12, 4, v0
	v_mul_i32_i24_e32 v21, -12, v0
	v_lshlrev_b32_e32 v15, 2, v16
	v_mov_b32_e32 v5, 0
	s_movk_i32 s36, 0xff
	s_movk_i32 s37, 0x80
	s_mov_b32 s40, 0xffff
	s_mov_b32 s41, 10
	s_mov_b32 s42, 0x3020104
	s_mov_b32 s43, 0xffff0000
	s_mov_b32 s44, 0xc0c0304
	s_mov_b32 s45, 0x7060004
	s_mov_b32 s46, 0xc0c0006
	s_movk_i32 s47, 0xff00
	v_mov_b32_e32 v11, 3
	v_cmp_gt_u32_e64 s[0:1], 2, v0
	v_cmp_lt_u32_e64 s[2:3], 63, v0
	v_cmp_eq_u32_e64 s[4:5], 0, v0
	v_cmp_lt_u32_e64 s[6:7], 31, v14
	v_add_u32_e32 v14, -4, v13
	v_lshlrev_b32_e32 v16, 2, v18
	v_add_u32_e32 v17, 64, v15
	v_or_b32_e32 v18, 0x80, v15
	v_lshlrev_b32_e32 v19, 2, v19
	v_add_u32_e32 v21, v12, v21
	s_waitcnt vmcnt(3)
	v_add_u16_e32 v1, 1, v4
	s_waitcnt vmcnt(2)
	v_lshlrev_b16_e32 v2, 8, v6
	s_waitcnt vmcnt(1)
	v_add_u16_e32 v23, 1, v3
	s_waitcnt vmcnt(0)
	v_lshlrev_b16_e32 v24, 8, v22
	v_or_b32_sdwa v1, v2, v1 dst_sel:DWORD dst_unused:UNUSED_PAD src0_sel:DWORD src1_sel:BYTE_0
	v_or_b32_sdwa v2, v24, v23 dst_sel:DWORD dst_unused:UNUSED_PAD src0_sel:DWORD src1_sel:BYTE_0
	v_add_u16_e32 v1, 0x100, v1
	v_add_u16_sdwa v2, v2, s31 dst_sel:WORD_1 dst_unused:UNUSED_PAD src0_sel:DWORD src1_sel:DWORD
	v_or_b32_e32 v1, v1, v2
	s_branch .LBB61_2
.LBB61_1:                               ;   in Loop: Header=BB61_2 Depth=1
	s_or_b64 exec, exec, s[30:31]
	v_cndmask_b32_sdwa v25, v5, v25, vcc dst_sel:DWORD dst_unused:UNUSED_PAD src0_sel:DWORD src1_sel:BYTE_0
	v_and_b32_e32 v27, 0xff, v27
	v_cndmask_b32_e64 v25, v25, v27, s[16:17]
	v_and_b32_e32 v27, 0xff, v28
	v_cndmask_b32_e64 v25, v25, v27, s[14:15]
	v_perm_b32 v27, v43, v25, s42
	v_cndmask_b32_e64 v25, v25, v27, s[12:13]
	v_perm_b32 v26, v25, v26, s45
	v_cndmask_b32_e32 v25, v25, v26, vcc
	v_perm_b32 v24, v25, v24, s45
	v_cndmask_b32_e64 v24, v25, v24, s[16:17]
	v_perm_b32 v23, v24, v23, s45
	v_cndmask_b32_e64 v23, v24, v23, s[14:15]
	;; [unrolled: 2-line block ×3, first 2 shown]
	v_perm_b32 v24, v41, v23, s44
	v_lshlrev_b32_e32 v24, 16, v24
	v_and_or_b32 v24, v23, s40, v24
	v_cndmask_b32_e32 v23, v23, v24, vcc
	v_perm_b32 v24, v40, v23, s44
	v_lshlrev_b32_e32 v24, 16, v24
	v_and_or_b32 v24, v23, s40, v24
	v_cndmask_b32_e64 v23, v23, v24, s[16:17]
	v_perm_b32 v24, v38, v23, s44
	v_lshlrev_b32_e32 v24, 16, v24
	v_and_or_b32 v24, v23, s40, v24
	v_cndmask_b32_e64 v23, v23, v24, s[14:15]
	;; [unrolled: 4-line block ×3, first 2 shown]
	v_perm_b32 v24, v23, v36, s46
	v_lshlrev_b32_e32 v24, 16, v24
	v_and_or_b32 v24, v23, s40, v24
	v_cndmask_b32_e32 v23, v23, v24, vcc
	v_perm_b32 v24, v23, v34, s46
	v_lshlrev_b32_e32 v24, 16, v24
	v_and_or_b32 v24, v23, s40, v24
	v_cndmask_b32_e64 v23, v23, v24, s[16:17]
	v_perm_b32 v24, v23, v32, s46
	s_waitcnt lgkmcnt(0)
	v_add_u32_e32 v4, v52, v4
	v_lshlrev_b32_e32 v24, 16, v24
	ds_bpermute_b32 v4, v16, v4
	v_and_or_b32 v24, v23, s40, v24
	v_cndmask_b32_e64 v23, v23, v24, s[14:15]
	v_perm_b32 v24, v23, v33, s46
	v_lshlrev_b32_e32 v24, 16, v24
	v_and_or_b32 v24, v23, s40, v24
	s_waitcnt lgkmcnt(0)
	v_cndmask_b32_e64 v4, v4, v52, s[10:11]
	v_cndmask_b32_e64 v25, v23, v24, s[12:13]
	;; [unrolled: 1-line block ×3, first 2 shown]
	v_add_u32_e32 v24, v23, v1
	v_add_u32_e32 v1, v24, v2
	;; [unrolled: 1-line block ×3, first 2 shown]
	ds_write2_b64 v12, v[23:24], v[1:2] offset0:1 offset1:2
	s_waitcnt lgkmcnt(0)
	s_barrier
	ds_read_b32 v1, v30 offset:8
	ds_read_b32 v2, v37 offset:8
	ds_read_b32 v3, v47 offset:8
	ds_read_b32 v4, v51 offset:8
	s_waitcnt lgkmcnt(0)
	v_add_u32_e32 v1, v1, v29
	v_add3_u32 v2, v44, v35, v2
	v_add3_u32 v3, v48, v46, v3
	v_add3_u32 v4, v6, v50, v4
	s_barrier
	ds_write_b8 v1, v22
	ds_write_b8 v2, v31
	;; [unrolled: 1-line block ×4, first 2 shown]
	s_waitcnt lgkmcnt(0)
	s_barrier
	ds_read_b32 v6, v21
	v_lshrrev_b32_e32 v26, 8, v25
	v_lshrrev_b32_e32 v27, 24, v25
	s_waitcnt lgkmcnt(0)
	s_barrier
	ds_write_b8 v1, v25
	ds_write_b8 v2, v26
	ds_write_b8_d16_hi v3, v25
	ds_write_b8 v4, v27
	v_and_b32_e32 v2, 0xffffff00, v6
	v_xor_b32_e32 v3, 0x80, v6
	v_or_b32_sdwa v2, v3, v2 dst_sel:DWORD dst_unused:UNUSED_PAD src0_sel:BYTE_0 src1_sel:DWORD
	v_add_u16_e32 v4, 0x8000, v2
	v_and_b32_sdwa v2, v6, s47 dst_sel:DWORD dst_unused:UNUSED_PAD src0_sel:WORD_1 src1_sel:DWORD
	v_xor_b32_sdwa v3, v6, s37 dst_sel:DWORD dst_unused:UNUSED_PAD src0_sel:WORD_1 src1_sel:DWORD
	s_waitcnt lgkmcnt(0)
	s_barrier
	ds_read_b32 v1, v21
	v_or_b32_sdwa v2, v3, v2 dst_sel:DWORD dst_unused:UNUSED_PAD src0_sel:BYTE_0 src1_sel:DWORD
	v_add_u16_e32 v3, 0x8000, v2
	v_lshlrev_b32_e32 v2, 16, v3
	v_or_b32_e32 v6, v4, v2
	s_add_i32 s41, s41, -1
	v_lshrrev_b32_e32 v6, 8, v6
	s_cmp_eq_u32 s41, 0
	v_lshrrev_b32_e32 v22, 24, v2
	s_cbranch_scc1 .LBB61_16
.LBB61_2:                               ; =>This Inner Loop Header: Depth=1
	v_xor_b32_e32 v2, 0x80, v4
	v_xor_b32_e32 v4, 0x80, v6
	v_and_b32_e32 v2, 0xff, v2
	ds_bpermute_b32 v6, v15, v2
	v_xor_b32_e32 v3, 0x80, v3
	v_and_b32_e32 v4, 0xff, v4
	ds_bpermute_b32 v23, v15, v4
	v_and_b32_e32 v3, 0xff, v3
	ds_bpermute_b32 v24, v15, v3
	v_xor_b32_e32 v22, 0x80, v22
	v_and_b32_e32 v22, 0xff, v22
	s_waitcnt lgkmcnt(2)
	v_and_b32_e32 v6, 0xff, v6
	ds_bpermute_b32 v25, v15, v22
	v_cndmask_b32_e32 v6, 0, v6, vcc
	s_waitcnt lgkmcnt(2)
	v_and_b32_e32 v23, 0xff, v23
	v_cndmask_b32_e64 v6, v6, v23, s[16:17]
	s_waitcnt lgkmcnt(1)
	v_and_b32_e32 v23, 0xff, v24
	ds_bpermute_b32 v24, v17, v2
	v_cndmask_b32_e64 v6, v6, v23, s[14:15]
	s_waitcnt lgkmcnt(1)
	v_perm_b32 v23, v25, v6, s42
	v_cndmask_b32_e64 v6, v6, v23, s[12:13]
	ds_bpermute_b32 v23, v17, v4
	s_waitcnt lgkmcnt(1)
	v_lshlrev_b16_e32 v24, 8, v24
	v_or_b32_sdwa v24, v6, v24 dst_sel:DWORD dst_unused:UNUSED_PAD src0_sel:BYTE_0 src1_sel:DWORD
	v_and_b32_e32 v24, 0xffff, v24
	v_cndmask_b32_e32 v6, v6, v24, vcc
	ds_bpermute_b32 v24, v17, v3
	s_waitcnt lgkmcnt(1)
	v_lshlrev_b16_e32 v23, 8, v23
	v_or_b32_sdwa v23, v6, v23 dst_sel:DWORD dst_unused:UNUSED_PAD src0_sel:BYTE_0 src1_sel:DWORD
	v_and_b32_e32 v23, 0xffff, v23
	v_and_or_b32 v23, v6, s43, v23
	v_cndmask_b32_e64 v6, v6, v23, s[16:17]
	s_waitcnt lgkmcnt(0)
	v_lshlrev_b16_e32 v23, 8, v24
	ds_bpermute_b32 v24, v17, v22
	v_or_b32_sdwa v23, v6, v23 dst_sel:DWORD dst_unused:UNUSED_PAD src0_sel:BYTE_0 src1_sel:DWORD
	v_and_b32_e32 v23, 0xffff, v23
	v_and_or_b32 v23, v6, s43, v23
	v_cndmask_b32_e64 v6, v6, v23, s[14:15]
	s_waitcnt lgkmcnt(0)
	v_lshlrev_b16_e32 v23, 8, v24
	ds_bpermute_b32 v24, v18, v2
	v_or_b32_sdwa v23, v6, v23 dst_sel:DWORD dst_unused:UNUSED_PAD src0_sel:BYTE_0 src1_sel:DWORD
	v_and_b32_e32 v23, 0xffff, v23
	v_and_or_b32 v23, v6, s43, v23
	v_cndmask_b32_e64 v6, v6, v23, s[12:13]
	ds_bpermute_b32 v23, v18, v4
	s_waitcnt lgkmcnt(1)
	v_perm_b32 v24, v24, v6, s44
	v_lshlrev_b32_e32 v24, 16, v24
	v_and_or_b32 v24, v6, s40, v24
	v_cndmask_b32_e32 v6, v6, v24, vcc
	ds_bpermute_b32 v24, v18, v3
	s_waitcnt lgkmcnt(1)
	v_perm_b32 v23, v23, v6, s44
	v_lshlrev_b32_e32 v23, 16, v23
	v_and_or_b32 v23, v6, s40, v23
	v_cndmask_b32_e64 v6, v6, v23, s[16:17]
	ds_bpermute_b32 v23, v18, v22
	s_waitcnt lgkmcnt(1)
	v_perm_b32 v24, v24, v6, s44
	v_lshlrev_b32_e32 v24, 16, v24
	v_and_or_b32 v24, v6, s40, v24
	v_cndmask_b32_e64 v6, v6, v24, s[14:15]
	;; [unrolled: 6-line block ×3, first 2 shown]
	ds_bpermute_b32 v4, v19, v4
	v_and_b32_sdwa v23, v6, s36 dst_sel:DWORD dst_unused:UNUSED_PAD src0_sel:WORD_1 src1_sel:DWORD
	s_waitcnt lgkmcnt(1)
	v_lshlrev_b16_e32 v2, 8, v2
	v_or_b32_sdwa v2, v23, v2 dst_sel:WORD_1 dst_unused:UNUSED_PAD src0_sel:DWORD src1_sel:DWORD
	v_and_or_b32 v2, v6, s40, v2
	v_cndmask_b32_e32 v2, v6, v2, vcc
	ds_bpermute_b32 v3, v19, v3
	v_and_b32_sdwa v6, v2, s36 dst_sel:DWORD dst_unused:UNUSED_PAD src0_sel:WORD_1 src1_sel:DWORD
	s_waitcnt lgkmcnt(1)
	v_lshlrev_b16_e32 v4, 8, v4
	v_or_b32_sdwa v4, v6, v4 dst_sel:WORD_1 dst_unused:UNUSED_PAD src0_sel:DWORD src1_sel:DWORD
	v_and_or_b32 v4, v2, s40, v4
	v_cndmask_b32_e64 v2, v2, v4, s[16:17]
	ds_bpermute_b32 v6, v19, v22
	v_and_b32_sdwa v4, v2, s36 dst_sel:DWORD dst_unused:UNUSED_PAD src0_sel:WORD_1 src1_sel:DWORD
	s_waitcnt lgkmcnt(1)
	v_lshlrev_b16_e32 v3, 8, v3
	v_or_b32_sdwa v3, v4, v3 dst_sel:WORD_1 dst_unused:UNUSED_PAD src0_sel:DWORD src1_sel:DWORD
	v_and_or_b32 v3, v2, s40, v3
	v_cndmask_b32_e64 v2, v2, v3, s[14:15]
	v_and_b32_sdwa v3, v2, s36 dst_sel:DWORD dst_unused:UNUSED_PAD src0_sel:WORD_1 src1_sel:DWORD
	s_waitcnt lgkmcnt(0)
	v_lshlrev_b16_e32 v4, 8, v6
	v_or_b32_sdwa v3, v3, v4 dst_sel:WORD_1 dst_unused:UNUSED_PAD src0_sel:DWORD src1_sel:DWORD
	v_and_or_b32 v3, v2, s40, v3
	v_cndmask_b32_e64 v22, v2, v3, s[12:13]
	v_and_b32_e32 v3, 0xff, v1
	v_bfe_u32 v4, v1, 8, 8
	v_bfe_u32 v29, v1, 16, 8
	v_lshrrev_b32_e32 v30, 24, v1
	v_and_b32_e32 v1, 1, v22
	v_add_co_u32_e64 v2, s[30:31], -1, v1
	v_addc_co_u32_e64 v6, s[30:31], 0, -1, s[30:31]
	v_cmp_ne_u32_e64 s[30:31], 0, v1
	v_xor_b32_e32 v1, s31, v6
	v_lshlrev_b32_e32 v6, 30, v22
	v_xor_b32_e32 v2, s30, v2
	v_cmp_gt_i64_e64 s[30:31], 0, v[5:6]
	v_not_b32_e32 v6, v6
	v_ashrrev_i32_e32 v6, 31, v6
	v_and_b32_e32 v2, exec_lo, v2
	v_xor_b32_e32 v31, s31, v6
	v_xor_b32_e32 v6, s30, v6
	v_and_b32_e32 v2, v2, v6
	v_lshlrev_b32_e32 v6, 29, v22
	v_cmp_gt_i64_e64 s[30:31], 0, v[5:6]
	v_not_b32_e32 v6, v6
	v_and_b32_e32 v1, exec_hi, v1
	v_ashrrev_i32_e32 v6, 31, v6
	v_and_b32_e32 v1, v1, v31
	v_xor_b32_e32 v31, s31, v6
	v_xor_b32_e32 v6, s30, v6
	v_and_b32_e32 v2, v2, v6
	v_lshlrev_b32_e32 v6, 28, v22
	v_cmp_gt_i64_e64 s[30:31], 0, v[5:6]
	v_not_b32_e32 v6, v6
	v_ashrrev_i32_e32 v6, 31, v6
	v_and_b32_e32 v1, v1, v31
	v_xor_b32_e32 v31, s31, v6
	v_xor_b32_e32 v6, s30, v6
	v_and_b32_e32 v2, v2, v6
	v_lshlrev_b32_e32 v6, 27, v22
	v_cmp_gt_i64_e64 s[30:31], 0, v[5:6]
	v_not_b32_e32 v6, v6
	;; [unrolled: 8-line block ×4, first 2 shown]
	v_ashrrev_i32_e32 v6, 31, v6
	v_and_b32_e32 v1, v1, v31
	v_xor_b32_e32 v31, s31, v6
	v_xor_b32_e32 v6, s30, v6
	v_and_b32_e32 v1, v1, v31
	v_and_b32_e32 v31, v2, v6
	v_lshlrev_b32_e32 v6, 24, v22
	v_cmp_gt_i64_e64 s[30:31], 0, v[5:6]
	v_not_b32_e32 v2, v6
	v_ashrrev_i32_e32 v2, 31, v2
	v_xor_b32_e32 v6, s31, v2
	v_xor_b32_e32 v32, s30, v2
	ds_bpermute_b32 v25, v15, v3
	ds_bpermute_b32 v27, v15, v4
	;; [unrolled: 1-line block ×6, first 2 shown]
	v_and_b32_e32 v2, v1, v6
	v_and_b32_e32 v1, v31, v32
	ds_bpermute_b32 v41, v18, v3
	ds_bpermute_b32 v40, v18, v4
	;; [unrolled: 1-line block ×10, first 2 shown]
	v_mbcnt_lo_u32_b32 v3, v1, 0
	v_mbcnt_hi_u32_b32 v29, v2, v3
	v_cmp_ne_u64_e64 s[30:31], 0, v[1:2]
	v_cmp_eq_u32_e64 s[34:35], 0, v29
	v_lshlrev_b32_sdwa v3, v11, v22 dst_sel:DWORD dst_unused:UNUSED_PAD src0_sel:DWORD src1_sel:BYTE_0
	s_and_b64 s[34:35], s[30:31], s[34:35]
	v_add_u32_e32 v30, v20, v3
	s_waitcnt lgkmcnt(0)
	s_barrier
	ds_write2_b64 v12, v[7:8], v[9:10] offset0:1 offset1:2
	s_waitcnt lgkmcnt(0)
	s_barrier
	; wave barrier
	s_and_saveexec_b64 s[30:31], s[34:35]
; %bb.3:                                ;   in Loop: Header=BB61_2 Depth=1
	v_bcnt_u32_b32 v1, v1, 0
	v_bcnt_u32_b32 v1, v2, v1
	ds_write_b32 v30, v1 offset:8
; %bb.4:                                ;   in Loop: Header=BB61_2 Depth=1
	s_or_b64 exec, exec, s[30:31]
	v_lshlrev_b32_sdwa v1, v11, v22 dst_sel:DWORD dst_unused:UNUSED_PAD src0_sel:DWORD src1_sel:BYTE_1
	v_add_u32_e32 v37, v20, v1
	v_bfe_u32 v1, v22, 8, 1
	v_add_co_u32_e64 v2, s[30:31], -1, v1
	v_lshrrev_b32_e32 v31, 8, v22
	v_addc_co_u32_e64 v3, s[30:31], 0, -1, s[30:31]
	v_cmp_ne_u32_e64 s[30:31], 0, v1
	v_lshlrev_b32_e32 v6, 30, v31
	v_xor_b32_e32 v1, s31, v3
	v_xor_b32_e32 v2, s30, v2
	v_cmp_gt_i64_e64 s[30:31], 0, v[5:6]
	v_not_b32_e32 v3, v6
	v_ashrrev_i32_e32 v3, 31, v3
	v_and_b32_e32 v2, exec_lo, v2
	v_xor_b32_e32 v4, s31, v3
	v_xor_b32_e32 v3, s30, v3
	v_lshlrev_b32_e32 v6, 29, v31
	v_and_b32_e32 v2, v2, v3
	v_cmp_gt_i64_e64 s[30:31], 0, v[5:6]
	v_not_b32_e32 v3, v6
	v_and_b32_e32 v1, exec_hi, v1
	v_ashrrev_i32_e32 v3, 31, v3
	v_and_b32_e32 v1, v1, v4
	v_xor_b32_e32 v4, s31, v3
	v_xor_b32_e32 v3, s30, v3
	v_lshlrev_b32_e32 v6, 28, v31
	v_and_b32_e32 v2, v2, v3
	v_cmp_gt_i64_e64 s[30:31], 0, v[5:6]
	v_not_b32_e32 v3, v6
	v_ashrrev_i32_e32 v3, 31, v3
	v_and_b32_e32 v1, v1, v4
	v_xor_b32_e32 v4, s31, v3
	v_xor_b32_e32 v3, s30, v3
	v_lshlrev_b32_e32 v6, 27, v31
	v_and_b32_e32 v2, v2, v3
	v_cmp_gt_i64_e64 s[30:31], 0, v[5:6]
	v_not_b32_e32 v3, v6
	;; [unrolled: 8-line block ×5, first 2 shown]
	v_ashrrev_i32_e32 v2, 31, v2
	v_and_b32_e32 v1, v1, v4
	v_xor_b32_e32 v4, s31, v2
	v_xor_b32_e32 v6, s30, v2
	; wave barrier
	ds_read_b32 v35, v37 offset:8
	v_and_b32_e32 v2, v1, v4
	v_and_b32_e32 v1, v3, v6
	v_mbcnt_lo_u32_b32 v3, v1, 0
	v_mbcnt_hi_u32_b32 v44, v2, v3
	v_cmp_ne_u64_e64 s[30:31], 0, v[1:2]
	v_cmp_eq_u32_e64 s[34:35], 0, v44
	s_and_b64 s[34:35], s[30:31], s[34:35]
	; wave barrier
	s_and_saveexec_b64 s[30:31], s[34:35]
	s_cbranch_execz .LBB61_6
; %bb.5:                                ;   in Loop: Header=BB61_2 Depth=1
	v_bcnt_u32_b32 v1, v1, 0
	v_bcnt_u32_b32 v1, v2, v1
	s_waitcnt lgkmcnt(0)
	v_add_u32_e32 v1, v35, v1
	ds_write_b32 v37, v1 offset:8
.LBB61_6:                               ;   in Loop: Header=BB61_2 Depth=1
	s_or_b64 exec, exec, s[30:31]
	v_lshlrev_b32_sdwa v1, v11, v22 dst_sel:DWORD dst_unused:UNUSED_PAD src0_sel:DWORD src1_sel:BYTE_2
	v_add_u32_e32 v47, v20, v1
	v_bfe_u32 v1, v22, 16, 1
	v_add_co_u32_e64 v2, s[30:31], -1, v1
	v_lshrrev_b32_e32 v45, 16, v22
	v_addc_co_u32_e64 v3, s[30:31], 0, -1, s[30:31]
	v_cmp_ne_u32_e64 s[30:31], 0, v1
	v_lshlrev_b32_e32 v6, 30, v45
	v_xor_b32_e32 v1, s31, v3
	v_xor_b32_e32 v2, s30, v2
	v_cmp_gt_i64_e64 s[30:31], 0, v[5:6]
	v_not_b32_e32 v3, v6
	v_ashrrev_i32_e32 v3, 31, v3
	v_and_b32_e32 v2, exec_lo, v2
	v_xor_b32_e32 v4, s31, v3
	v_xor_b32_e32 v3, s30, v3
	v_lshlrev_b32_e32 v6, 29, v45
	v_and_b32_e32 v2, v2, v3
	v_cmp_gt_i64_e64 s[30:31], 0, v[5:6]
	v_not_b32_e32 v3, v6
	v_and_b32_e32 v1, exec_hi, v1
	v_ashrrev_i32_e32 v3, 31, v3
	v_and_b32_e32 v1, v1, v4
	v_xor_b32_e32 v4, s31, v3
	v_xor_b32_e32 v3, s30, v3
	v_lshlrev_b32_e32 v6, 28, v45
	v_and_b32_e32 v2, v2, v3
	v_cmp_gt_i64_e64 s[30:31], 0, v[5:6]
	v_not_b32_e32 v3, v6
	v_ashrrev_i32_e32 v3, 31, v3
	v_and_b32_e32 v1, v1, v4
	v_xor_b32_e32 v4, s31, v3
	v_xor_b32_e32 v3, s30, v3
	v_lshlrev_b32_e32 v6, 27, v45
	v_and_b32_e32 v2, v2, v3
	v_cmp_gt_i64_e64 s[30:31], 0, v[5:6]
	v_not_b32_e32 v3, v6
	v_ashrrev_i32_e32 v3, 31, v3
	v_and_b32_e32 v1, v1, v4
	v_xor_b32_e32 v4, s31, v3
	v_xor_b32_e32 v3, s30, v3
	v_lshlrev_b32_e32 v6, 26, v45
	v_and_b32_e32 v2, v2, v3
	v_cmp_gt_i64_e64 s[30:31], 0, v[5:6]
	v_not_b32_e32 v3, v6
	v_ashrrev_i32_e32 v3, 31, v3
	v_and_b32_e32 v1, v1, v4
	v_xor_b32_e32 v4, s31, v3
	v_xor_b32_e32 v3, s30, v3
	v_lshlrev_b32_e32 v6, 25, v45
	v_and_b32_e32 v2, v2, v3
	v_cmp_gt_i64_e64 s[30:31], 0, v[5:6]
	v_not_b32_e32 v3, v6
	v_ashrrev_i32_e32 v3, 31, v3
	v_and_b32_e32 v1, v1, v4
	v_xor_b32_e32 v4, s31, v3
	v_xor_b32_e32 v3, s30, v3
	v_lshlrev_b32_e32 v6, 24, v45
	v_and_b32_e32 v3, v2, v3
	v_cmp_gt_i64_e64 s[30:31], 0, v[5:6]
	v_not_b32_e32 v2, v6
	v_ashrrev_i32_e32 v2, 31, v2
	v_and_b32_e32 v1, v1, v4
	v_xor_b32_e32 v4, s31, v2
	v_xor_b32_e32 v6, s30, v2
	; wave barrier
	ds_read_b32 v46, v47 offset:8
	v_and_b32_e32 v2, v1, v4
	v_and_b32_e32 v1, v3, v6
	v_mbcnt_lo_u32_b32 v3, v1, 0
	v_mbcnt_hi_u32_b32 v48, v2, v3
	v_cmp_ne_u64_e64 s[30:31], 0, v[1:2]
	v_cmp_eq_u32_e64 s[34:35], 0, v48
	s_and_b64 s[34:35], s[30:31], s[34:35]
	; wave barrier
	s_and_saveexec_b64 s[30:31], s[34:35]
	s_cbranch_execz .LBB61_8
; %bb.7:                                ;   in Loop: Header=BB61_2 Depth=1
	v_bcnt_u32_b32 v1, v1, 0
	v_bcnt_u32_b32 v1, v2, v1
	s_waitcnt lgkmcnt(0)
	v_add_u32_e32 v1, v46, v1
	ds_write_b32 v47, v1 offset:8
.LBB61_8:                               ;   in Loop: Header=BB61_2 Depth=1
	s_or_b64 exec, exec, s[30:31]
	v_lshrrev_b32_e32 v49, 24, v22
	v_lshlrev_b32_e32 v1, 3, v49
	v_add_u32_e32 v51, v20, v1
	v_bfe_u32 v1, v22, 24, 1
	v_add_co_u32_e64 v2, s[30:31], -1, v1
	v_addc_co_u32_e64 v3, s[30:31], 0, -1, s[30:31]
	v_cmp_ne_u32_e64 s[30:31], 0, v1
	v_lshlrev_b32_e32 v6, 30, v49
	v_xor_b32_e32 v1, s31, v3
	v_xor_b32_e32 v2, s30, v2
	v_cmp_gt_i64_e64 s[30:31], 0, v[5:6]
	v_not_b32_e32 v3, v6
	v_ashrrev_i32_e32 v3, 31, v3
	v_and_b32_e32 v2, exec_lo, v2
	v_xor_b32_e32 v4, s31, v3
	v_xor_b32_e32 v3, s30, v3
	v_lshlrev_b32_e32 v6, 29, v49
	v_and_b32_e32 v2, v2, v3
	v_cmp_gt_i64_e64 s[30:31], 0, v[5:6]
	v_not_b32_e32 v3, v6
	v_and_b32_e32 v1, exec_hi, v1
	v_ashrrev_i32_e32 v3, 31, v3
	v_and_b32_e32 v1, v1, v4
	v_xor_b32_e32 v4, s31, v3
	v_xor_b32_e32 v3, s30, v3
	v_lshlrev_b32_e32 v6, 28, v49
	v_and_b32_e32 v2, v2, v3
	v_cmp_gt_i64_e64 s[30:31], 0, v[5:6]
	v_not_b32_e32 v3, v6
	v_ashrrev_i32_e32 v3, 31, v3
	v_and_b32_e32 v1, v1, v4
	v_xor_b32_e32 v4, s31, v3
	v_xor_b32_e32 v3, s30, v3
	v_lshlrev_b32_e32 v6, 27, v49
	v_and_b32_e32 v2, v2, v3
	v_cmp_gt_i64_e64 s[30:31], 0, v[5:6]
	v_not_b32_e32 v3, v6
	;; [unrolled: 8-line block ×4, first 2 shown]
	v_ashrrev_i32_e32 v3, 31, v3
	v_and_b32_e32 v1, v1, v4
	v_xor_b32_e32 v4, s31, v3
	v_xor_b32_e32 v3, s30, v3
	v_and_b32_e32 v6, 0xff000000, v22
	v_and_b32_e32 v3, v2, v3
	v_cmp_gt_i64_e64 s[30:31], 0, v[5:6]
	v_not_b32_e32 v2, v6
	v_ashrrev_i32_e32 v2, 31, v2
	v_and_b32_e32 v1, v1, v4
	v_xor_b32_e32 v4, s31, v2
	v_xor_b32_e32 v6, s30, v2
	; wave barrier
	ds_read_b32 v50, v51 offset:8
	v_and_b32_e32 v2, v1, v4
	v_and_b32_e32 v1, v3, v6
	v_mbcnt_lo_u32_b32 v3, v1, 0
	v_mbcnt_hi_u32_b32 v6, v2, v3
	v_cmp_ne_u64_e64 s[30:31], 0, v[1:2]
	v_cmp_eq_u32_e64 s[34:35], 0, v6
	s_and_b64 s[34:35], s[30:31], s[34:35]
	; wave barrier
	s_and_saveexec_b64 s[30:31], s[34:35]
	s_cbranch_execz .LBB61_10
; %bb.9:                                ;   in Loop: Header=BB61_2 Depth=1
	v_bcnt_u32_b32 v1, v1, 0
	v_bcnt_u32_b32 v1, v2, v1
	s_waitcnt lgkmcnt(0)
	v_add_u32_e32 v1, v50, v1
	ds_write_b32 v51, v1 offset:8
.LBB61_10:                              ;   in Loop: Header=BB61_2 Depth=1
	s_or_b64 exec, exec, s[30:31]
	; wave barrier
	s_waitcnt lgkmcnt(0)
	s_barrier
	ds_read2_b64 v[1:4], v12 offset0:1 offset1:2
	s_waitcnt lgkmcnt(0)
	v_add_u32_e32 v52, v2, v1
	v_add3_u32 v4, v52, v3, v4
	s_nop 1
	v_mov_b32_dpp v52, v4 row_shr:1 row_mask:0xf bank_mask:0xf
	v_cndmask_b32_e64 v52, v52, 0, s[18:19]
	v_add_u32_e32 v4, v52, v4
	s_nop 1
	v_mov_b32_dpp v52, v4 row_shr:2 row_mask:0xf bank_mask:0xf
	v_cndmask_b32_e64 v52, 0, v52, s[20:21]
	v_add_u32_e32 v4, v4, v52
	;; [unrolled: 4-line block ×4, first 2 shown]
	s_nop 1
	v_mov_b32_dpp v52, v4 row_bcast:15 row_mask:0xf bank_mask:0xf
	v_cndmask_b32_e64 v52, v52, 0, s[26:27]
	v_add_u32_e32 v4, v4, v52
	s_nop 1
	v_mov_b32_dpp v52, v4 row_bcast:31 row_mask:0xf bank_mask:0xf
	v_cndmask_b32_e64 v52, 0, v52, s[6:7]
	v_add_u32_e32 v4, v4, v52
	s_and_saveexec_b64 s[30:31], s[8:9]
; %bb.11:                               ;   in Loop: Header=BB61_2 Depth=1
	ds_write_b32 v13, v4
; %bb.12:                               ;   in Loop: Header=BB61_2 Depth=1
	s_or_b64 exec, exec, s[30:31]
	s_waitcnt lgkmcnt(0)
	s_barrier
	s_and_saveexec_b64 s[30:31], s[0:1]
	s_cbranch_execz .LBB61_14
; %bb.13:                               ;   in Loop: Header=BB61_2 Depth=1
	ds_read_b32 v52, v21
	s_waitcnt lgkmcnt(0)
	s_nop 0
	v_mov_b32_dpp v53, v52 row_shr:1 row_mask:0xf bank_mask:0xf
	v_cndmask_b32_e64 v53, v53, 0, s[28:29]
	v_add_u32_e32 v52, v53, v52
	ds_write_b32 v21, v52
.LBB61_14:                              ;   in Loop: Header=BB61_2 Depth=1
	s_or_b64 exec, exec, s[30:31]
	v_mov_b32_e32 v52, 0
	s_waitcnt lgkmcnt(0)
	s_barrier
	s_and_saveexec_b64 s[30:31], s[2:3]
	s_cbranch_execz .LBB61_1
; %bb.15:                               ;   in Loop: Header=BB61_2 Depth=1
	ds_read_b32 v52, v14
	s_branch .LBB61_1
.LBB61_16:
	s_add_u32 s0, s38, s33
	s_addc_u32 s1, s39, 0
	s_waitcnt lgkmcnt(0)
	v_add_u16_e32 v2, v4, v1
	v_lshrrev_b32_e32 v4, 8, v1
	v_add_u16_sdwa v3, v3, v1 dst_sel:DWORD dst_unused:UNUSED_PAD src0_sel:DWORD src1_sel:WORD_1
	v_add_u16_sdwa v5, v22, v1 dst_sel:DWORD dst_unused:UNUSED_PAD src0_sel:DWORD src1_sel:BYTE_3
	v_mov_b32_e32 v1, s1
	v_add_co_u32_e32 v0, vcc, s0, v0
	v_addc_co_u32_e32 v1, vcc, 0, v1, vcc
	v_add_u16_e32 v4, v6, v4
	global_store_byte v[0:1], v2, off
	global_store_byte v[0:1], v4, off offset:128
	global_store_byte v[0:1], v3, off offset:256
	;; [unrolled: 1-line block ×3, first 2 shown]
	s_endpgm
	.section	.rodata,"a",@progbits
	.p2align	6, 0x0
	.amdhsa_kernel _Z17sort_pairs_kernelI22helper_blocked_blockedaLj128ELj4ELj10EEvPKT0_PS1_
		.amdhsa_group_segment_fixed_size 2064
		.amdhsa_private_segment_fixed_size 0
		.amdhsa_kernarg_size 272
		.amdhsa_user_sgpr_count 6
		.amdhsa_user_sgpr_private_segment_buffer 1
		.amdhsa_user_sgpr_dispatch_ptr 0
		.amdhsa_user_sgpr_queue_ptr 0
		.amdhsa_user_sgpr_kernarg_segment_ptr 1
		.amdhsa_user_sgpr_dispatch_id 0
		.amdhsa_user_sgpr_flat_scratch_init 0
		.amdhsa_user_sgpr_private_segment_size 0
		.amdhsa_uses_dynamic_stack 0
		.amdhsa_system_sgpr_private_segment_wavefront_offset 0
		.amdhsa_system_sgpr_workgroup_id_x 1
		.amdhsa_system_sgpr_workgroup_id_y 0
		.amdhsa_system_sgpr_workgroup_id_z 0
		.amdhsa_system_sgpr_workgroup_info 0
		.amdhsa_system_vgpr_workitem_id 2
		.amdhsa_next_free_vgpr 54
		.amdhsa_next_free_sgpr 61
		.amdhsa_reserve_vcc 1
		.amdhsa_reserve_flat_scratch 0
		.amdhsa_float_round_mode_32 0
		.amdhsa_float_round_mode_16_64 0
		.amdhsa_float_denorm_mode_32 3
		.amdhsa_float_denorm_mode_16_64 3
		.amdhsa_dx10_clamp 1
		.amdhsa_ieee_mode 1
		.amdhsa_fp16_overflow 0
		.amdhsa_exception_fp_ieee_invalid_op 0
		.amdhsa_exception_fp_denorm_src 0
		.amdhsa_exception_fp_ieee_div_zero 0
		.amdhsa_exception_fp_ieee_overflow 0
		.amdhsa_exception_fp_ieee_underflow 0
		.amdhsa_exception_fp_ieee_inexact 0
		.amdhsa_exception_int_div_zero 0
	.end_amdhsa_kernel
	.section	.text._Z17sort_pairs_kernelI22helper_blocked_blockedaLj128ELj4ELj10EEvPKT0_PS1_,"axG",@progbits,_Z17sort_pairs_kernelI22helper_blocked_blockedaLj128ELj4ELj10EEvPKT0_PS1_,comdat
.Lfunc_end61:
	.size	_Z17sort_pairs_kernelI22helper_blocked_blockedaLj128ELj4ELj10EEvPKT0_PS1_, .Lfunc_end61-_Z17sort_pairs_kernelI22helper_blocked_blockedaLj128ELj4ELj10EEvPKT0_PS1_
                                        ; -- End function
	.set _Z17sort_pairs_kernelI22helper_blocked_blockedaLj128ELj4ELj10EEvPKT0_PS1_.num_vgpr, 54
	.set _Z17sort_pairs_kernelI22helper_blocked_blockedaLj128ELj4ELj10EEvPKT0_PS1_.num_agpr, 0
	.set _Z17sort_pairs_kernelI22helper_blocked_blockedaLj128ELj4ELj10EEvPKT0_PS1_.numbered_sgpr, 48
	.set _Z17sort_pairs_kernelI22helper_blocked_blockedaLj128ELj4ELj10EEvPKT0_PS1_.num_named_barrier, 0
	.set _Z17sort_pairs_kernelI22helper_blocked_blockedaLj128ELj4ELj10EEvPKT0_PS1_.private_seg_size, 0
	.set _Z17sort_pairs_kernelI22helper_blocked_blockedaLj128ELj4ELj10EEvPKT0_PS1_.uses_vcc, 1
	.set _Z17sort_pairs_kernelI22helper_blocked_blockedaLj128ELj4ELj10EEvPKT0_PS1_.uses_flat_scratch, 0
	.set _Z17sort_pairs_kernelI22helper_blocked_blockedaLj128ELj4ELj10EEvPKT0_PS1_.has_dyn_sized_stack, 0
	.set _Z17sort_pairs_kernelI22helper_blocked_blockedaLj128ELj4ELj10EEvPKT0_PS1_.has_recursion, 0
	.set _Z17sort_pairs_kernelI22helper_blocked_blockedaLj128ELj4ELj10EEvPKT0_PS1_.has_indirect_call, 0
	.section	.AMDGPU.csdata,"",@progbits
; Kernel info:
; codeLenInByte = 4044
; TotalNumSgprs: 52
; NumVgprs: 54
; ScratchSize: 0
; MemoryBound: 0
; FloatMode: 240
; IeeeMode: 1
; LDSByteSize: 2064 bytes/workgroup (compile time only)
; SGPRBlocks: 8
; VGPRBlocks: 13
; NumSGPRsForWavesPerEU: 65
; NumVGPRsForWavesPerEU: 54
; Occupancy: 4
; WaveLimiterHint : 1
; COMPUTE_PGM_RSRC2:SCRATCH_EN: 0
; COMPUTE_PGM_RSRC2:USER_SGPR: 6
; COMPUTE_PGM_RSRC2:TRAP_HANDLER: 0
; COMPUTE_PGM_RSRC2:TGID_X_EN: 1
; COMPUTE_PGM_RSRC2:TGID_Y_EN: 0
; COMPUTE_PGM_RSRC2:TGID_Z_EN: 0
; COMPUTE_PGM_RSRC2:TIDIG_COMP_CNT: 2
	.section	.text._Z16sort_keys_kernelI22helper_blocked_blockedaLj128ELj8ELj10EEvPKT0_PS1_,"axG",@progbits,_Z16sort_keys_kernelI22helper_blocked_blockedaLj128ELj8ELj10EEvPKT0_PS1_,comdat
	.protected	_Z16sort_keys_kernelI22helper_blocked_blockedaLj128ELj8ELj10EEvPKT0_PS1_ ; -- Begin function _Z16sort_keys_kernelI22helper_blocked_blockedaLj128ELj8ELj10EEvPKT0_PS1_
	.globl	_Z16sort_keys_kernelI22helper_blocked_blockedaLj128ELj8ELj10EEvPKT0_PS1_
	.p2align	8
	.type	_Z16sort_keys_kernelI22helper_blocked_blockedaLj128ELj8ELj10EEvPKT0_PS1_,@function
_Z16sort_keys_kernelI22helper_blocked_blockedaLj128ELj8ELj10EEvPKT0_PS1_: ; @_Z16sort_keys_kernelI22helper_blocked_blockedaLj128ELj8ELj10EEvPKT0_PS1_
; %bb.0:
	s_load_dwordx4 s[24:27], s[4:5], 0x0
	s_load_dword s22, s[4:5], 0x1c
	s_lshl_b32 s28, s6, 10
	v_mbcnt_lo_u32_b32 v7, -1, 0
	v_mbcnt_hi_u32_b32 v16, -1, v7
	s_waitcnt lgkmcnt(0)
	s_add_u32 s0, s24, s28
	s_addc_u32 s1, s25, 0
	global_load_ubyte v3, v0, s[0:1] offset:128
	global_load_ubyte v4, v0, s[0:1] offset:256
	;; [unrolled: 1-line block ×5, first 2 shown]
	global_load_ubyte v22, v0, s[0:1]
	global_load_ubyte v23, v0, s[0:1] offset:512
	global_load_ubyte v24, v0, s[0:1] offset:768
	s_lshr_b32 s24, s22, 16
	s_and_b32 s22, s22, 0xffff
	v_mad_u32_u24 v1, v2, s24, v1
	s_mov_b32 s8, 0
	v_and_b32_e32 v8, 64, v0
	v_subrev_co_u32_e64 v25, s[6:7], 1, v16
	v_and_b32_e32 v26, 64, v16
	v_mad_u32_u24 v1, v1, s22, v0
	s_mov_b32 s23, 0xc0c0004
	v_lshlrev_b32_e32 v7, 3, v0
	v_lshlrev_b32_e32 v11, 4, v0
	v_lshrrev_b32_e32 v9, 4, v0
	v_lshlrev_b32_e32 v10, 2, v0
	s_mov_b32 s10, s8
	v_and_b32_e32 v18, 16, v16
	v_or_b32_e32 v19, 63, v8
	v_cmp_lt_i32_e64 s[20:21], v25, v26
	v_lshrrev_b32_e32 v1, 4, v1
	s_mov_b32 s9, s8
	s_mov_b32 s11, s8
	v_add_lshl_u32 v12, v16, v8, 3
	v_and_b32_e32 v17, 0x200, v7
	v_and_b32_e32 v15, 15, v16
	v_sub_u32_e32 v13, v11, v7
	v_and_b32_e32 v14, 4, v9
	v_sub_u32_e32 v27, 0, v10
	v_and_b32_e32 v28, 1, v16
	v_mov_b32_e32 v7, s8
	v_mov_b32_e32 v9, s10
	v_cmp_eq_u32_e64 s[16:17], 0, v18
	v_cmp_eq_u32_e64 s[18:19], v0, v19
	v_cndmask_b32_e64 v18, v25, v16, s[20:21]
	v_and_b32_e32 v19, 0xffffffc, v1
	s_mov_b32 s29, 10
	v_mov_b32_e32 v5, 0
	s_movk_i32 s30, 0xff00
	s_movk_i32 s31, 0x80
	;; [unrolled: 1-line block ×3, first 2 shown]
	v_cmp_gt_u32_e32 vcc, 2, v0
	v_cmp_lt_u32_e64 s[0:1], 63, v0
	v_cmp_eq_u32_e64 s[2:3], 0, v0
	v_cmp_lt_u32_e64 s[4:5], 31, v16
	v_mov_b32_e32 v8, s9
	v_mov_b32_e32 v10, s11
	v_cmp_eq_u32_e64 s[8:9], 0, v15
	v_cmp_lt_u32_e64 s[10:11], 1, v15
	v_cmp_lt_u32_e64 s[12:13], 3, v15
	;; [unrolled: 1-line block ×3, first 2 shown]
	v_cmp_eq_u32_e64 s[20:21], 0, v28
	v_add_u32_e32 v15, -4, v14
	v_add_u32_e32 v16, v16, v17
	v_add_u32_e32 v17, v13, v27
	v_lshlrev_b32_e32 v18, 2, v18
	s_waitcnt vmcnt(3)
	v_perm_b32 v2, v4, v21, s23
	s_waitcnt vmcnt(2)
	v_perm_b32 v1, v22, v3, s23
	;; [unrolled: 2-line block ×4, first 2 shown]
	v_lshl_or_b32 v2, v2, 16, v1
	v_lshl_or_b32 v1, v4, 16, v3
	v_mov_b32_e32 v20, 3
	s_branch .LBB62_2
.LBB62_1:                               ;   in Loop: Header=BB62_2 Depth=1
	s_or_b64 exec, exec, s[22:23]
	s_waitcnt lgkmcnt(0)
	v_add_u32_e32 v4, v51, v4
	ds_bpermute_b32 v4, v18, v4
	s_add_i32 s29, s29, -1
	s_cmp_eq_u32 s29, 0
	s_waitcnt lgkmcnt(0)
	v_cndmask_b32_e64 v4, v4, v51, s[6:7]
	v_cndmask_b32_e64 v51, v4, 0, s[2:3]
	v_add_u32_e32 v52, v51, v1
	v_add_u32_e32 v1, v52, v2
	;; [unrolled: 1-line block ×3, first 2 shown]
	ds_write2_b64 v11, v[51:52], v[1:2] offset0:1 offset1:2
	s_waitcnt lgkmcnt(0)
	s_barrier
	ds_read_b32 v1, v30 offset:8
	ds_read_b32 v2, v32 offset:8
	;; [unrolled: 1-line block ×8, first 2 shown]
	s_waitcnt lgkmcnt(7)
	v_add_u32_e32 v1, v1, v29
	s_waitcnt lgkmcnt(0)
	s_barrier
	ds_write_b8 v1, v28
	v_add3_u32 v1, v33, v31, v2
	ds_write_b8 v1, v27
	v_add3_u32 v1, v36, v34, v3
	;; [unrolled: 2-line block ×7, first 2 shown]
	ds_write_b8 v1, v21
	s_waitcnt lgkmcnt(0)
	s_barrier
	ds_read_b64 v[2:3], v13
	s_waitcnt lgkmcnt(0)
	v_and_b32_e32 v1, 0xffffff00, v2
	v_xor_b32_e32 v4, 0x80, v2
	v_or_b32_sdwa v1, v4, v1 dst_sel:DWORD dst_unused:UNUSED_PAD src0_sel:BYTE_0 src1_sel:DWORD
	v_and_b32_sdwa v4, v2, s30 dst_sel:DWORD dst_unused:UNUSED_PAD src0_sel:WORD_1 src1_sel:DWORD
	v_xor_b32_sdwa v2, v2, s31 dst_sel:DWORD dst_unused:UNUSED_PAD src0_sel:WORD_1 src1_sel:DWORD
	v_or_b32_sdwa v2, v2, v4 dst_sel:DWORD dst_unused:UNUSED_PAD src0_sel:BYTE_0 src1_sel:DWORD
	v_add_u16_e32 v1, 0x8000, v1
	v_add_u16_sdwa v2, v2, s33 dst_sel:WORD_1 dst_unused:UNUSED_PAD src0_sel:DWORD src1_sel:DWORD
	v_or_b32_e32 v2, v1, v2
	v_and_b32_e32 v1, 0xffffff00, v3
	v_xor_b32_e32 v4, 0x80, v3
	v_or_b32_sdwa v1, v4, v1 dst_sel:DWORD dst_unused:UNUSED_PAD src0_sel:BYTE_0 src1_sel:DWORD
	v_and_b32_sdwa v4, v3, s30 dst_sel:DWORD dst_unused:UNUSED_PAD src0_sel:WORD_1 src1_sel:DWORD
	v_xor_b32_sdwa v3, v3, s31 dst_sel:DWORD dst_unused:UNUSED_PAD src0_sel:WORD_1 src1_sel:DWORD
	v_or_b32_sdwa v3, v3, v4 dst_sel:DWORD dst_unused:UNUSED_PAD src0_sel:BYTE_0 src1_sel:DWORD
	v_add_u16_e32 v1, 0x8000, v1
	v_add_u16_sdwa v3, v3, s33 dst_sel:WORD_1 dst_unused:UNUSED_PAD src0_sel:DWORD src1_sel:DWORD
	v_or_b32_e32 v1, v1, v3
	s_cbranch_scc1 .LBB62_24
.LBB62_2:                               ; =>This Inner Loop Header: Depth=1
	v_and_b32_e32 v3, 0xffffff00, v2
	v_xor_b32_e32 v4, 0x80, v2
	v_or_b32_sdwa v3, v4, v3 dst_sel:DWORD dst_unused:UNUSED_PAD src0_sel:BYTE_0 src1_sel:DWORD
	v_and_b32_sdwa v4, v2, s30 dst_sel:DWORD dst_unused:UNUSED_PAD src0_sel:WORD_1 src1_sel:DWORD
	v_xor_b32_sdwa v2, v2, s31 dst_sel:DWORD dst_unused:UNUSED_PAD src0_sel:WORD_1 src1_sel:DWORD
	v_or_b32_sdwa v2, v2, v4 dst_sel:DWORD dst_unused:UNUSED_PAD src0_sel:BYTE_0 src1_sel:DWORD
	v_add_u16_e32 v3, 0x8000, v3
	v_add_u16_sdwa v2, v2, s33 dst_sel:WORD_1 dst_unused:UNUSED_PAD src0_sel:DWORD src1_sel:DWORD
	v_or_b32_e32 v2, v3, v2
	v_and_b32_e32 v3, 0xffffff00, v1
	v_xor_b32_e32 v4, 0x80, v1
	v_or_b32_sdwa v3, v4, v3 dst_sel:DWORD dst_unused:UNUSED_PAD src0_sel:BYTE_0 src1_sel:DWORD
	v_and_b32_sdwa v4, v1, s30 dst_sel:DWORD dst_unused:UNUSED_PAD src0_sel:WORD_1 src1_sel:DWORD
	v_xor_b32_sdwa v1, v1, s31 dst_sel:DWORD dst_unused:UNUSED_PAD src0_sel:WORD_1 src1_sel:DWORD
	v_or_b32_sdwa v1, v1, v4 dst_sel:DWORD dst_unused:UNUSED_PAD src0_sel:BYTE_0 src1_sel:DWORD
	v_add_u16_e32 v3, 0x8000, v3
	v_add_u16_sdwa v1, v1, s33 dst_sel:WORD_1 dst_unused:UNUSED_PAD src0_sel:DWORD src1_sel:DWORD
	v_or_b32_e32 v3, v3, v1
	ds_write_b64 v12, v[2:3]
	; wave barrier
	ds_read_u8 v28, v16
	ds_read_u8 v27, v16 offset:64
	ds_read_u8 v26, v16 offset:128
	;; [unrolled: 1-line block ×7, first 2 shown]
	s_waitcnt lgkmcnt(7)
	v_and_b32_e32 v1, 1, v28
	v_add_co_u32_e64 v2, s[22:23], -1, v1
	v_addc_co_u32_e64 v4, s[22:23], 0, -1, s[22:23]
	v_cmp_ne_u32_e64 s[22:23], 0, v1
	v_lshlrev_b32_e32 v6, 30, v28
	v_xor_b32_e32 v1, s23, v4
	v_xor_b32_e32 v2, s22, v2
	v_cmp_gt_i64_e64 s[22:23], 0, v[5:6]
	v_not_b32_e32 v4, v6
	v_ashrrev_i32_e32 v4, 31, v4
	v_and_b32_e32 v1, exec_hi, v1
	v_xor_b32_e32 v6, s23, v4
	v_and_b32_e32 v2, exec_lo, v2
	v_xor_b32_e32 v4, s22, v4
	v_and_b32_e32 v1, v1, v6
	v_lshlrev_b32_e32 v6, 29, v28
	v_and_b32_e32 v2, v2, v4
	v_cmp_gt_i64_e64 s[22:23], 0, v[5:6]
	v_not_b32_e32 v4, v6
	v_ashrrev_i32_e32 v4, 31, v4
	v_xor_b32_e32 v6, s23, v4
	v_xor_b32_e32 v4, s22, v4
	v_and_b32_e32 v1, v1, v6
	v_lshlrev_b32_e32 v6, 28, v28
	v_and_b32_e32 v2, v2, v4
	v_cmp_gt_i64_e64 s[22:23], 0, v[5:6]
	v_not_b32_e32 v4, v6
	v_ashrrev_i32_e32 v4, 31, v4
	v_xor_b32_e32 v6, s23, v4
	;; [unrolled: 8-line block ×6, first 2 shown]
	v_xor_b32_e32 v29, s22, v2
	v_and_b32_e32 v2, v1, v6
	v_and_b32_e32 v1, v4, v29
	v_mbcnt_lo_u32_b32 v4, v1, 0
	v_mbcnt_hi_u32_b32 v29, v2, v4
	v_cmp_ne_u64_e64 s[22:23], 0, v[1:2]
	v_lshlrev_b32_sdwa v3, v20, v28 dst_sel:DWORD dst_unused:UNUSED_PAD src0_sel:DWORD src1_sel:BYTE_0
	v_cmp_eq_u32_e64 s[24:25], 0, v29
	s_and_b64 s[24:25], s[22:23], s[24:25]
	v_add_u32_e32 v30, v19, v3
	; wave barrier
	; wave barrier
	s_waitcnt lgkmcnt(0)
	s_barrier
	ds_write2_b64 v11, v[7:8], v[9:10] offset0:1 offset1:2
	s_waitcnt lgkmcnt(0)
	s_barrier
	; wave barrier
	s_and_saveexec_b64 s[22:23], s[24:25]
; %bb.3:                                ;   in Loop: Header=BB62_2 Depth=1
	v_bcnt_u32_b32 v1, v1, 0
	v_bcnt_u32_b32 v1, v2, v1
	ds_write_b32 v30, v1 offset:8
; %bb.4:                                ;   in Loop: Header=BB62_2 Depth=1
	s_or_b64 exec, exec, s[22:23]
	v_lshlrev_b32_sdwa v1, v20, v27 dst_sel:DWORD dst_unused:UNUSED_PAD src0_sel:DWORD src1_sel:BYTE_0
	v_add_u32_e32 v32, v19, v1
	v_and_b32_e32 v1, 1, v27
	v_add_co_u32_e64 v2, s[22:23], -1, v1
	v_addc_co_u32_e64 v3, s[22:23], 0, -1, s[22:23]
	v_cmp_ne_u32_e64 s[22:23], 0, v1
	v_lshlrev_b32_e32 v6, 30, v27
	v_xor_b32_e32 v1, s23, v3
	v_xor_b32_e32 v2, s22, v2
	v_cmp_gt_i64_e64 s[22:23], 0, v[5:6]
	v_not_b32_e32 v3, v6
	v_ashrrev_i32_e32 v3, 31, v3
	v_and_b32_e32 v2, exec_lo, v2
	v_xor_b32_e32 v4, s23, v3
	v_xor_b32_e32 v3, s22, v3
	v_lshlrev_b32_e32 v6, 29, v27
	v_and_b32_e32 v2, v2, v3
	v_cmp_gt_i64_e64 s[22:23], 0, v[5:6]
	v_not_b32_e32 v3, v6
	v_and_b32_e32 v1, exec_hi, v1
	v_ashrrev_i32_e32 v3, 31, v3
	v_and_b32_e32 v1, v1, v4
	v_xor_b32_e32 v4, s23, v3
	v_xor_b32_e32 v3, s22, v3
	v_lshlrev_b32_e32 v6, 28, v27
	v_and_b32_e32 v2, v2, v3
	v_cmp_gt_i64_e64 s[22:23], 0, v[5:6]
	v_not_b32_e32 v3, v6
	v_ashrrev_i32_e32 v3, 31, v3
	v_and_b32_e32 v1, v1, v4
	v_xor_b32_e32 v4, s23, v3
	v_xor_b32_e32 v3, s22, v3
	v_lshlrev_b32_e32 v6, 27, v27
	v_and_b32_e32 v2, v2, v3
	v_cmp_gt_i64_e64 s[22:23], 0, v[5:6]
	v_not_b32_e32 v3, v6
	;; [unrolled: 8-line block ×5, first 2 shown]
	v_ashrrev_i32_e32 v2, 31, v2
	v_and_b32_e32 v1, v1, v4
	v_xor_b32_e32 v4, s23, v2
	v_xor_b32_e32 v6, s22, v2
	; wave barrier
	ds_read_b32 v31, v32 offset:8
	v_and_b32_e32 v2, v1, v4
	v_and_b32_e32 v1, v3, v6
	v_mbcnt_lo_u32_b32 v3, v1, 0
	v_mbcnt_hi_u32_b32 v33, v2, v3
	v_cmp_ne_u64_e64 s[22:23], 0, v[1:2]
	v_cmp_eq_u32_e64 s[24:25], 0, v33
	s_and_b64 s[24:25], s[22:23], s[24:25]
	; wave barrier
	s_and_saveexec_b64 s[22:23], s[24:25]
	s_cbranch_execz .LBB62_6
; %bb.5:                                ;   in Loop: Header=BB62_2 Depth=1
	v_bcnt_u32_b32 v1, v1, 0
	v_bcnt_u32_b32 v1, v2, v1
	s_waitcnt lgkmcnt(0)
	v_add_u32_e32 v1, v31, v1
	ds_write_b32 v32, v1 offset:8
.LBB62_6:                               ;   in Loop: Header=BB62_2 Depth=1
	s_or_b64 exec, exec, s[22:23]
	v_lshlrev_b32_sdwa v1, v20, v26 dst_sel:DWORD dst_unused:UNUSED_PAD src0_sel:DWORD src1_sel:BYTE_0
	v_add_u32_e32 v35, v19, v1
	v_and_b32_e32 v1, 1, v26
	v_add_co_u32_e64 v2, s[22:23], -1, v1
	v_addc_co_u32_e64 v3, s[22:23], 0, -1, s[22:23]
	v_cmp_ne_u32_e64 s[22:23], 0, v1
	v_lshlrev_b32_e32 v6, 30, v26
	v_xor_b32_e32 v1, s23, v3
	v_xor_b32_e32 v2, s22, v2
	v_cmp_gt_i64_e64 s[22:23], 0, v[5:6]
	v_not_b32_e32 v3, v6
	v_ashrrev_i32_e32 v3, 31, v3
	v_and_b32_e32 v2, exec_lo, v2
	v_xor_b32_e32 v4, s23, v3
	v_xor_b32_e32 v3, s22, v3
	v_lshlrev_b32_e32 v6, 29, v26
	v_and_b32_e32 v2, v2, v3
	v_cmp_gt_i64_e64 s[22:23], 0, v[5:6]
	v_not_b32_e32 v3, v6
	v_and_b32_e32 v1, exec_hi, v1
	v_ashrrev_i32_e32 v3, 31, v3
	v_and_b32_e32 v1, v1, v4
	v_xor_b32_e32 v4, s23, v3
	v_xor_b32_e32 v3, s22, v3
	v_lshlrev_b32_e32 v6, 28, v26
	v_and_b32_e32 v2, v2, v3
	v_cmp_gt_i64_e64 s[22:23], 0, v[5:6]
	v_not_b32_e32 v3, v6
	v_ashrrev_i32_e32 v3, 31, v3
	v_and_b32_e32 v1, v1, v4
	v_xor_b32_e32 v4, s23, v3
	v_xor_b32_e32 v3, s22, v3
	v_lshlrev_b32_e32 v6, 27, v26
	v_and_b32_e32 v2, v2, v3
	v_cmp_gt_i64_e64 s[22:23], 0, v[5:6]
	v_not_b32_e32 v3, v6
	;; [unrolled: 8-line block ×5, first 2 shown]
	v_ashrrev_i32_e32 v2, 31, v2
	v_and_b32_e32 v1, v1, v4
	v_xor_b32_e32 v4, s23, v2
	v_xor_b32_e32 v6, s22, v2
	; wave barrier
	ds_read_b32 v34, v35 offset:8
	v_and_b32_e32 v2, v1, v4
	v_and_b32_e32 v1, v3, v6
	v_mbcnt_lo_u32_b32 v3, v1, 0
	v_mbcnt_hi_u32_b32 v36, v2, v3
	v_cmp_ne_u64_e64 s[22:23], 0, v[1:2]
	v_cmp_eq_u32_e64 s[24:25], 0, v36
	s_and_b64 s[24:25], s[22:23], s[24:25]
	; wave barrier
	s_and_saveexec_b64 s[22:23], s[24:25]
	s_cbranch_execz .LBB62_8
; %bb.7:                                ;   in Loop: Header=BB62_2 Depth=1
	v_bcnt_u32_b32 v1, v1, 0
	v_bcnt_u32_b32 v1, v2, v1
	s_waitcnt lgkmcnt(0)
	v_add_u32_e32 v1, v34, v1
	ds_write_b32 v35, v1 offset:8
.LBB62_8:                               ;   in Loop: Header=BB62_2 Depth=1
	s_or_b64 exec, exec, s[22:23]
	v_lshlrev_b32_sdwa v1, v20, v25 dst_sel:DWORD dst_unused:UNUSED_PAD src0_sel:DWORD src1_sel:BYTE_0
	v_add_u32_e32 v38, v19, v1
	v_and_b32_e32 v1, 1, v25
	v_add_co_u32_e64 v2, s[22:23], -1, v1
	v_addc_co_u32_e64 v3, s[22:23], 0, -1, s[22:23]
	v_cmp_ne_u32_e64 s[22:23], 0, v1
	v_lshlrev_b32_e32 v6, 30, v25
	v_xor_b32_e32 v1, s23, v3
	v_xor_b32_e32 v2, s22, v2
	v_cmp_gt_i64_e64 s[22:23], 0, v[5:6]
	v_not_b32_e32 v3, v6
	v_ashrrev_i32_e32 v3, 31, v3
	v_and_b32_e32 v2, exec_lo, v2
	v_xor_b32_e32 v4, s23, v3
	v_xor_b32_e32 v3, s22, v3
	v_lshlrev_b32_e32 v6, 29, v25
	v_and_b32_e32 v2, v2, v3
	v_cmp_gt_i64_e64 s[22:23], 0, v[5:6]
	v_not_b32_e32 v3, v6
	v_and_b32_e32 v1, exec_hi, v1
	v_ashrrev_i32_e32 v3, 31, v3
	v_and_b32_e32 v1, v1, v4
	v_xor_b32_e32 v4, s23, v3
	v_xor_b32_e32 v3, s22, v3
	v_lshlrev_b32_e32 v6, 28, v25
	v_and_b32_e32 v2, v2, v3
	v_cmp_gt_i64_e64 s[22:23], 0, v[5:6]
	v_not_b32_e32 v3, v6
	v_ashrrev_i32_e32 v3, 31, v3
	v_and_b32_e32 v1, v1, v4
	v_xor_b32_e32 v4, s23, v3
	v_xor_b32_e32 v3, s22, v3
	v_lshlrev_b32_e32 v6, 27, v25
	v_and_b32_e32 v2, v2, v3
	v_cmp_gt_i64_e64 s[22:23], 0, v[5:6]
	v_not_b32_e32 v3, v6
	v_ashrrev_i32_e32 v3, 31, v3
	v_and_b32_e32 v1, v1, v4
	v_xor_b32_e32 v4, s23, v3
	v_xor_b32_e32 v3, s22, v3
	v_lshlrev_b32_e32 v6, 26, v25
	v_and_b32_e32 v2, v2, v3
	v_cmp_gt_i64_e64 s[22:23], 0, v[5:6]
	v_not_b32_e32 v3, v6
	v_ashrrev_i32_e32 v3, 31, v3
	v_and_b32_e32 v1, v1, v4
	v_xor_b32_e32 v4, s23, v3
	v_xor_b32_e32 v3, s22, v3
	v_lshlrev_b32_e32 v6, 25, v25
	v_and_b32_e32 v2, v2, v3
	v_cmp_gt_i64_e64 s[22:23], 0, v[5:6]
	v_not_b32_e32 v3, v6
	v_ashrrev_i32_e32 v3, 31, v3
	v_and_b32_e32 v1, v1, v4
	v_xor_b32_e32 v4, s23, v3
	v_xor_b32_e32 v3, s22, v3
	v_lshlrev_b32_e32 v6, 24, v25
	v_and_b32_e32 v3, v2, v3
	v_cmp_gt_i64_e64 s[22:23], 0, v[5:6]
	v_not_b32_e32 v2, v6
	v_ashrrev_i32_e32 v2, 31, v2
	v_and_b32_e32 v1, v1, v4
	v_xor_b32_e32 v4, s23, v2
	v_xor_b32_e32 v6, s22, v2
	; wave barrier
	ds_read_b32 v37, v38 offset:8
	v_and_b32_e32 v2, v1, v4
	v_and_b32_e32 v1, v3, v6
	v_mbcnt_lo_u32_b32 v3, v1, 0
	v_mbcnt_hi_u32_b32 v39, v2, v3
	v_cmp_ne_u64_e64 s[22:23], 0, v[1:2]
	v_cmp_eq_u32_e64 s[24:25], 0, v39
	s_and_b64 s[24:25], s[22:23], s[24:25]
	; wave barrier
	s_and_saveexec_b64 s[22:23], s[24:25]
	s_cbranch_execz .LBB62_10
; %bb.9:                                ;   in Loop: Header=BB62_2 Depth=1
	v_bcnt_u32_b32 v1, v1, 0
	v_bcnt_u32_b32 v1, v2, v1
	s_waitcnt lgkmcnt(0)
	v_add_u32_e32 v1, v37, v1
	ds_write_b32 v38, v1 offset:8
.LBB62_10:                              ;   in Loop: Header=BB62_2 Depth=1
	s_or_b64 exec, exec, s[22:23]
	v_lshlrev_b32_sdwa v1, v20, v24 dst_sel:DWORD dst_unused:UNUSED_PAD src0_sel:DWORD src1_sel:BYTE_0
	v_add_u32_e32 v41, v19, v1
	v_and_b32_e32 v1, 1, v24
	v_add_co_u32_e64 v2, s[22:23], -1, v1
	v_addc_co_u32_e64 v3, s[22:23], 0, -1, s[22:23]
	v_cmp_ne_u32_e64 s[22:23], 0, v1
	v_lshlrev_b32_e32 v6, 30, v24
	v_xor_b32_e32 v1, s23, v3
	v_xor_b32_e32 v2, s22, v2
	v_cmp_gt_i64_e64 s[22:23], 0, v[5:6]
	v_not_b32_e32 v3, v6
	v_ashrrev_i32_e32 v3, 31, v3
	v_and_b32_e32 v2, exec_lo, v2
	v_xor_b32_e32 v4, s23, v3
	v_xor_b32_e32 v3, s22, v3
	v_lshlrev_b32_e32 v6, 29, v24
	v_and_b32_e32 v2, v2, v3
	v_cmp_gt_i64_e64 s[22:23], 0, v[5:6]
	v_not_b32_e32 v3, v6
	v_and_b32_e32 v1, exec_hi, v1
	v_ashrrev_i32_e32 v3, 31, v3
	v_and_b32_e32 v1, v1, v4
	v_xor_b32_e32 v4, s23, v3
	v_xor_b32_e32 v3, s22, v3
	v_lshlrev_b32_e32 v6, 28, v24
	v_and_b32_e32 v2, v2, v3
	v_cmp_gt_i64_e64 s[22:23], 0, v[5:6]
	v_not_b32_e32 v3, v6
	v_ashrrev_i32_e32 v3, 31, v3
	v_and_b32_e32 v1, v1, v4
	v_xor_b32_e32 v4, s23, v3
	v_xor_b32_e32 v3, s22, v3
	v_lshlrev_b32_e32 v6, 27, v24
	v_and_b32_e32 v2, v2, v3
	v_cmp_gt_i64_e64 s[22:23], 0, v[5:6]
	v_not_b32_e32 v3, v6
	;; [unrolled: 8-line block ×5, first 2 shown]
	v_ashrrev_i32_e32 v2, 31, v2
	v_and_b32_e32 v1, v1, v4
	v_xor_b32_e32 v4, s23, v2
	v_xor_b32_e32 v6, s22, v2
	; wave barrier
	ds_read_b32 v40, v41 offset:8
	v_and_b32_e32 v2, v1, v4
	v_and_b32_e32 v1, v3, v6
	v_mbcnt_lo_u32_b32 v3, v1, 0
	v_mbcnt_hi_u32_b32 v42, v2, v3
	v_cmp_ne_u64_e64 s[22:23], 0, v[1:2]
	v_cmp_eq_u32_e64 s[24:25], 0, v42
	s_and_b64 s[24:25], s[22:23], s[24:25]
	; wave barrier
	s_and_saveexec_b64 s[22:23], s[24:25]
	s_cbranch_execz .LBB62_12
; %bb.11:                               ;   in Loop: Header=BB62_2 Depth=1
	v_bcnt_u32_b32 v1, v1, 0
	v_bcnt_u32_b32 v1, v2, v1
	s_waitcnt lgkmcnt(0)
	v_add_u32_e32 v1, v40, v1
	ds_write_b32 v41, v1 offset:8
.LBB62_12:                              ;   in Loop: Header=BB62_2 Depth=1
	s_or_b64 exec, exec, s[22:23]
	v_lshlrev_b32_sdwa v1, v20, v23 dst_sel:DWORD dst_unused:UNUSED_PAD src0_sel:DWORD src1_sel:BYTE_0
	v_add_u32_e32 v44, v19, v1
	v_and_b32_e32 v1, 1, v23
	v_add_co_u32_e64 v2, s[22:23], -1, v1
	v_addc_co_u32_e64 v3, s[22:23], 0, -1, s[22:23]
	v_cmp_ne_u32_e64 s[22:23], 0, v1
	v_lshlrev_b32_e32 v6, 30, v23
	v_xor_b32_e32 v1, s23, v3
	v_xor_b32_e32 v2, s22, v2
	v_cmp_gt_i64_e64 s[22:23], 0, v[5:6]
	v_not_b32_e32 v3, v6
	v_ashrrev_i32_e32 v3, 31, v3
	v_and_b32_e32 v2, exec_lo, v2
	v_xor_b32_e32 v4, s23, v3
	v_xor_b32_e32 v3, s22, v3
	v_lshlrev_b32_e32 v6, 29, v23
	v_and_b32_e32 v2, v2, v3
	v_cmp_gt_i64_e64 s[22:23], 0, v[5:6]
	v_not_b32_e32 v3, v6
	v_and_b32_e32 v1, exec_hi, v1
	v_ashrrev_i32_e32 v3, 31, v3
	v_and_b32_e32 v1, v1, v4
	v_xor_b32_e32 v4, s23, v3
	v_xor_b32_e32 v3, s22, v3
	v_lshlrev_b32_e32 v6, 28, v23
	v_and_b32_e32 v2, v2, v3
	v_cmp_gt_i64_e64 s[22:23], 0, v[5:6]
	v_not_b32_e32 v3, v6
	v_ashrrev_i32_e32 v3, 31, v3
	v_and_b32_e32 v1, v1, v4
	v_xor_b32_e32 v4, s23, v3
	v_xor_b32_e32 v3, s22, v3
	v_lshlrev_b32_e32 v6, 27, v23
	v_and_b32_e32 v2, v2, v3
	v_cmp_gt_i64_e64 s[22:23], 0, v[5:6]
	v_not_b32_e32 v3, v6
	;; [unrolled: 8-line block ×5, first 2 shown]
	v_ashrrev_i32_e32 v2, 31, v2
	v_and_b32_e32 v1, v1, v4
	v_xor_b32_e32 v4, s23, v2
	v_xor_b32_e32 v6, s22, v2
	; wave barrier
	ds_read_b32 v43, v44 offset:8
	v_and_b32_e32 v2, v1, v4
	v_and_b32_e32 v1, v3, v6
	v_mbcnt_lo_u32_b32 v3, v1, 0
	v_mbcnt_hi_u32_b32 v45, v2, v3
	v_cmp_ne_u64_e64 s[22:23], 0, v[1:2]
	v_cmp_eq_u32_e64 s[24:25], 0, v45
	s_and_b64 s[24:25], s[22:23], s[24:25]
	; wave barrier
	s_and_saveexec_b64 s[22:23], s[24:25]
	s_cbranch_execz .LBB62_14
; %bb.13:                               ;   in Loop: Header=BB62_2 Depth=1
	v_bcnt_u32_b32 v1, v1, 0
	v_bcnt_u32_b32 v1, v2, v1
	s_waitcnt lgkmcnt(0)
	v_add_u32_e32 v1, v43, v1
	ds_write_b32 v44, v1 offset:8
.LBB62_14:                              ;   in Loop: Header=BB62_2 Depth=1
	s_or_b64 exec, exec, s[22:23]
	v_lshlrev_b32_sdwa v1, v20, v22 dst_sel:DWORD dst_unused:UNUSED_PAD src0_sel:DWORD src1_sel:BYTE_0
	v_add_u32_e32 v47, v19, v1
	v_and_b32_e32 v1, 1, v22
	v_add_co_u32_e64 v2, s[22:23], -1, v1
	v_addc_co_u32_e64 v3, s[22:23], 0, -1, s[22:23]
	v_cmp_ne_u32_e64 s[22:23], 0, v1
	v_lshlrev_b32_e32 v6, 30, v22
	v_xor_b32_e32 v1, s23, v3
	v_xor_b32_e32 v2, s22, v2
	v_cmp_gt_i64_e64 s[22:23], 0, v[5:6]
	v_not_b32_e32 v3, v6
	v_ashrrev_i32_e32 v3, 31, v3
	v_and_b32_e32 v2, exec_lo, v2
	v_xor_b32_e32 v4, s23, v3
	v_xor_b32_e32 v3, s22, v3
	v_lshlrev_b32_e32 v6, 29, v22
	v_and_b32_e32 v2, v2, v3
	v_cmp_gt_i64_e64 s[22:23], 0, v[5:6]
	v_not_b32_e32 v3, v6
	v_and_b32_e32 v1, exec_hi, v1
	v_ashrrev_i32_e32 v3, 31, v3
	v_and_b32_e32 v1, v1, v4
	v_xor_b32_e32 v4, s23, v3
	v_xor_b32_e32 v3, s22, v3
	v_lshlrev_b32_e32 v6, 28, v22
	v_and_b32_e32 v2, v2, v3
	v_cmp_gt_i64_e64 s[22:23], 0, v[5:6]
	v_not_b32_e32 v3, v6
	v_ashrrev_i32_e32 v3, 31, v3
	v_and_b32_e32 v1, v1, v4
	v_xor_b32_e32 v4, s23, v3
	v_xor_b32_e32 v3, s22, v3
	v_lshlrev_b32_e32 v6, 27, v22
	v_and_b32_e32 v2, v2, v3
	v_cmp_gt_i64_e64 s[22:23], 0, v[5:6]
	v_not_b32_e32 v3, v6
	;; [unrolled: 8-line block ×5, first 2 shown]
	v_ashrrev_i32_e32 v2, 31, v2
	v_and_b32_e32 v1, v1, v4
	v_xor_b32_e32 v4, s23, v2
	v_xor_b32_e32 v6, s22, v2
	; wave barrier
	ds_read_b32 v46, v47 offset:8
	v_and_b32_e32 v2, v1, v4
	v_and_b32_e32 v1, v3, v6
	v_mbcnt_lo_u32_b32 v3, v1, 0
	v_mbcnt_hi_u32_b32 v48, v2, v3
	v_cmp_ne_u64_e64 s[22:23], 0, v[1:2]
	v_cmp_eq_u32_e64 s[24:25], 0, v48
	s_and_b64 s[24:25], s[22:23], s[24:25]
	; wave barrier
	s_and_saveexec_b64 s[22:23], s[24:25]
	s_cbranch_execz .LBB62_16
; %bb.15:                               ;   in Loop: Header=BB62_2 Depth=1
	v_bcnt_u32_b32 v1, v1, 0
	v_bcnt_u32_b32 v1, v2, v1
	s_waitcnt lgkmcnt(0)
	v_add_u32_e32 v1, v46, v1
	ds_write_b32 v47, v1 offset:8
.LBB62_16:                              ;   in Loop: Header=BB62_2 Depth=1
	s_or_b64 exec, exec, s[22:23]
	v_lshlrev_b32_sdwa v1, v20, v21 dst_sel:DWORD dst_unused:UNUSED_PAD src0_sel:DWORD src1_sel:BYTE_0
	v_add_u32_e32 v50, v19, v1
	v_and_b32_e32 v1, 1, v21
	v_add_co_u32_e64 v2, s[22:23], -1, v1
	v_addc_co_u32_e64 v3, s[22:23], 0, -1, s[22:23]
	v_cmp_ne_u32_e64 s[22:23], 0, v1
	v_lshlrev_b32_e32 v6, 30, v21
	v_xor_b32_e32 v1, s23, v3
	v_xor_b32_e32 v2, s22, v2
	v_cmp_gt_i64_e64 s[22:23], 0, v[5:6]
	v_not_b32_e32 v3, v6
	v_ashrrev_i32_e32 v3, 31, v3
	v_and_b32_e32 v2, exec_lo, v2
	v_xor_b32_e32 v4, s23, v3
	v_xor_b32_e32 v3, s22, v3
	v_lshlrev_b32_e32 v6, 29, v21
	v_and_b32_e32 v2, v2, v3
	v_cmp_gt_i64_e64 s[22:23], 0, v[5:6]
	v_not_b32_e32 v3, v6
	v_and_b32_e32 v1, exec_hi, v1
	v_ashrrev_i32_e32 v3, 31, v3
	v_and_b32_e32 v1, v1, v4
	v_xor_b32_e32 v4, s23, v3
	v_xor_b32_e32 v3, s22, v3
	v_lshlrev_b32_e32 v6, 28, v21
	v_and_b32_e32 v2, v2, v3
	v_cmp_gt_i64_e64 s[22:23], 0, v[5:6]
	v_not_b32_e32 v3, v6
	v_ashrrev_i32_e32 v3, 31, v3
	v_and_b32_e32 v1, v1, v4
	v_xor_b32_e32 v4, s23, v3
	v_xor_b32_e32 v3, s22, v3
	v_lshlrev_b32_e32 v6, 27, v21
	v_and_b32_e32 v2, v2, v3
	v_cmp_gt_i64_e64 s[22:23], 0, v[5:6]
	v_not_b32_e32 v3, v6
	;; [unrolled: 8-line block ×5, first 2 shown]
	v_ashrrev_i32_e32 v2, 31, v2
	v_and_b32_e32 v1, v1, v4
	v_xor_b32_e32 v4, s23, v2
	v_xor_b32_e32 v6, s22, v2
	; wave barrier
	ds_read_b32 v49, v50 offset:8
	v_and_b32_e32 v2, v1, v4
	v_and_b32_e32 v1, v3, v6
	v_mbcnt_lo_u32_b32 v3, v1, 0
	v_mbcnt_hi_u32_b32 v6, v2, v3
	v_cmp_ne_u64_e64 s[22:23], 0, v[1:2]
	v_cmp_eq_u32_e64 s[24:25], 0, v6
	s_and_b64 s[24:25], s[22:23], s[24:25]
	; wave barrier
	s_and_saveexec_b64 s[22:23], s[24:25]
	s_cbranch_execz .LBB62_18
; %bb.17:                               ;   in Loop: Header=BB62_2 Depth=1
	v_bcnt_u32_b32 v1, v1, 0
	v_bcnt_u32_b32 v1, v2, v1
	s_waitcnt lgkmcnt(0)
	v_add_u32_e32 v1, v49, v1
	ds_write_b32 v50, v1 offset:8
.LBB62_18:                              ;   in Loop: Header=BB62_2 Depth=1
	s_or_b64 exec, exec, s[22:23]
	; wave barrier
	s_waitcnt lgkmcnt(0)
	s_barrier
	ds_read2_b64 v[1:4], v11 offset0:1 offset1:2
	s_waitcnt lgkmcnt(0)
	v_add_u32_e32 v51, v2, v1
	v_add3_u32 v4, v51, v3, v4
	s_nop 1
	v_mov_b32_dpp v51, v4 row_shr:1 row_mask:0xf bank_mask:0xf
	v_cndmask_b32_e64 v51, v51, 0, s[8:9]
	v_add_u32_e32 v4, v51, v4
	s_nop 1
	v_mov_b32_dpp v51, v4 row_shr:2 row_mask:0xf bank_mask:0xf
	v_cndmask_b32_e64 v51, 0, v51, s[10:11]
	v_add_u32_e32 v4, v4, v51
	;; [unrolled: 4-line block ×4, first 2 shown]
	s_nop 1
	v_mov_b32_dpp v51, v4 row_bcast:15 row_mask:0xf bank_mask:0xf
	v_cndmask_b32_e64 v51, v51, 0, s[16:17]
	v_add_u32_e32 v4, v4, v51
	s_nop 1
	v_mov_b32_dpp v51, v4 row_bcast:31 row_mask:0xf bank_mask:0xf
	v_cndmask_b32_e64 v51, 0, v51, s[4:5]
	v_add_u32_e32 v4, v4, v51
	s_and_saveexec_b64 s[22:23], s[18:19]
; %bb.19:                               ;   in Loop: Header=BB62_2 Depth=1
	ds_write_b32 v14, v4
; %bb.20:                               ;   in Loop: Header=BB62_2 Depth=1
	s_or_b64 exec, exec, s[22:23]
	s_waitcnt lgkmcnt(0)
	s_barrier
	s_and_saveexec_b64 s[22:23], vcc
	s_cbranch_execz .LBB62_22
; %bb.21:                               ;   in Loop: Header=BB62_2 Depth=1
	ds_read_b32 v51, v17
	s_waitcnt lgkmcnt(0)
	s_nop 0
	v_mov_b32_dpp v52, v51 row_shr:1 row_mask:0xf bank_mask:0xf
	v_cndmask_b32_e64 v52, v52, 0, s[20:21]
	v_add_u32_e32 v51, v52, v51
	ds_write_b32 v17, v51
.LBB62_22:                              ;   in Loop: Header=BB62_2 Depth=1
	s_or_b64 exec, exec, s[22:23]
	v_mov_b32_e32 v51, 0
	s_waitcnt lgkmcnt(0)
	s_barrier
	s_and_saveexec_b64 s[22:23], s[0:1]
	s_cbranch_execz .LBB62_1
; %bb.23:                               ;   in Loop: Header=BB62_2 Depth=1
	ds_read_b32 v51, v15
	s_branch .LBB62_1
.LBB62_24:
	s_add_u32 s0, s26, s28
	s_addc_u32 s1, s27, 0
	v_mov_b32_e32 v4, s1
	v_add_co_u32_e32 v3, vcc, s0, v0
	v_addc_co_u32_e32 v4, vcc, 0, v4, vcc
	v_lshrrev_b32_e32 v0, 8, v2
	global_store_byte v[3:4], v2, off
	global_store_byte v[3:4], v0, off offset:128
	global_store_byte_d16_hi v[3:4], v2, off offset:256
	v_lshrrev_b32_e32 v0, 24, v2
	global_store_byte v[3:4], v0, off offset:384
	global_store_byte v[3:4], v1, off offset:512
	v_lshrrev_b32_e32 v0, 8, v1
	global_store_byte v[3:4], v0, off offset:640
	global_store_byte_d16_hi v[3:4], v1, off offset:768
	v_lshrrev_b32_e32 v0, 24, v1
	global_store_byte v[3:4], v0, off offset:896
	s_endpgm
	.section	.rodata,"a",@progbits
	.p2align	6, 0x0
	.amdhsa_kernel _Z16sort_keys_kernelI22helper_blocked_blockedaLj128ELj8ELj10EEvPKT0_PS1_
		.amdhsa_group_segment_fixed_size 2064
		.amdhsa_private_segment_fixed_size 0
		.amdhsa_kernarg_size 272
		.amdhsa_user_sgpr_count 6
		.amdhsa_user_sgpr_private_segment_buffer 1
		.amdhsa_user_sgpr_dispatch_ptr 0
		.amdhsa_user_sgpr_queue_ptr 0
		.amdhsa_user_sgpr_kernarg_segment_ptr 1
		.amdhsa_user_sgpr_dispatch_id 0
		.amdhsa_user_sgpr_flat_scratch_init 0
		.amdhsa_user_sgpr_private_segment_size 0
		.amdhsa_uses_dynamic_stack 0
		.amdhsa_system_sgpr_private_segment_wavefront_offset 0
		.amdhsa_system_sgpr_workgroup_id_x 1
		.amdhsa_system_sgpr_workgroup_id_y 0
		.amdhsa_system_sgpr_workgroup_id_z 0
		.amdhsa_system_sgpr_workgroup_info 0
		.amdhsa_system_vgpr_workitem_id 2
		.amdhsa_next_free_vgpr 53
		.amdhsa_next_free_sgpr 61
		.amdhsa_reserve_vcc 1
		.amdhsa_reserve_flat_scratch 0
		.amdhsa_float_round_mode_32 0
		.amdhsa_float_round_mode_16_64 0
		.amdhsa_float_denorm_mode_32 3
		.amdhsa_float_denorm_mode_16_64 3
		.amdhsa_dx10_clamp 1
		.amdhsa_ieee_mode 1
		.amdhsa_fp16_overflow 0
		.amdhsa_exception_fp_ieee_invalid_op 0
		.amdhsa_exception_fp_denorm_src 0
		.amdhsa_exception_fp_ieee_div_zero 0
		.amdhsa_exception_fp_ieee_overflow 0
		.amdhsa_exception_fp_ieee_underflow 0
		.amdhsa_exception_fp_ieee_inexact 0
		.amdhsa_exception_int_div_zero 0
	.end_amdhsa_kernel
	.section	.text._Z16sort_keys_kernelI22helper_blocked_blockedaLj128ELj8ELj10EEvPKT0_PS1_,"axG",@progbits,_Z16sort_keys_kernelI22helper_blocked_blockedaLj128ELj8ELj10EEvPKT0_PS1_,comdat
.Lfunc_end62:
	.size	_Z16sort_keys_kernelI22helper_blocked_blockedaLj128ELj8ELj10EEvPKT0_PS1_, .Lfunc_end62-_Z16sort_keys_kernelI22helper_blocked_blockedaLj128ELj8ELj10EEvPKT0_PS1_
                                        ; -- End function
	.set _Z16sort_keys_kernelI22helper_blocked_blockedaLj128ELj8ELj10EEvPKT0_PS1_.num_vgpr, 53
	.set _Z16sort_keys_kernelI22helper_blocked_blockedaLj128ELj8ELj10EEvPKT0_PS1_.num_agpr, 0
	.set _Z16sort_keys_kernelI22helper_blocked_blockedaLj128ELj8ELj10EEvPKT0_PS1_.numbered_sgpr, 34
	.set _Z16sort_keys_kernelI22helper_blocked_blockedaLj128ELj8ELj10EEvPKT0_PS1_.num_named_barrier, 0
	.set _Z16sort_keys_kernelI22helper_blocked_blockedaLj128ELj8ELj10EEvPKT0_PS1_.private_seg_size, 0
	.set _Z16sort_keys_kernelI22helper_blocked_blockedaLj128ELj8ELj10EEvPKT0_PS1_.uses_vcc, 1
	.set _Z16sort_keys_kernelI22helper_blocked_blockedaLj128ELj8ELj10EEvPKT0_PS1_.uses_flat_scratch, 0
	.set _Z16sort_keys_kernelI22helper_blocked_blockedaLj128ELj8ELj10EEvPKT0_PS1_.has_dyn_sized_stack, 0
	.set _Z16sort_keys_kernelI22helper_blocked_blockedaLj128ELj8ELj10EEvPKT0_PS1_.has_recursion, 0
	.set _Z16sort_keys_kernelI22helper_blocked_blockedaLj128ELj8ELj10EEvPKT0_PS1_.has_indirect_call, 0
	.section	.AMDGPU.csdata,"",@progbits
; Kernel info:
; codeLenInByte = 4688
; TotalNumSgprs: 38
; NumVgprs: 53
; ScratchSize: 0
; MemoryBound: 0
; FloatMode: 240
; IeeeMode: 1
; LDSByteSize: 2064 bytes/workgroup (compile time only)
; SGPRBlocks: 8
; VGPRBlocks: 13
; NumSGPRsForWavesPerEU: 65
; NumVGPRsForWavesPerEU: 53
; Occupancy: 4
; WaveLimiterHint : 1
; COMPUTE_PGM_RSRC2:SCRATCH_EN: 0
; COMPUTE_PGM_RSRC2:USER_SGPR: 6
; COMPUTE_PGM_RSRC2:TRAP_HANDLER: 0
; COMPUTE_PGM_RSRC2:TGID_X_EN: 1
; COMPUTE_PGM_RSRC2:TGID_Y_EN: 0
; COMPUTE_PGM_RSRC2:TGID_Z_EN: 0
; COMPUTE_PGM_RSRC2:TIDIG_COMP_CNT: 2
	.section	.text._Z17sort_pairs_kernelI22helper_blocked_blockedaLj128ELj8ELj10EEvPKT0_PS1_,"axG",@progbits,_Z17sort_pairs_kernelI22helper_blocked_blockedaLj128ELj8ELj10EEvPKT0_PS1_,comdat
	.protected	_Z17sort_pairs_kernelI22helper_blocked_blockedaLj128ELj8ELj10EEvPKT0_PS1_ ; -- Begin function _Z17sort_pairs_kernelI22helper_blocked_blockedaLj128ELj8ELj10EEvPKT0_PS1_
	.globl	_Z17sort_pairs_kernelI22helper_blocked_blockedaLj128ELj8ELj10EEvPKT0_PS1_
	.p2align	8
	.type	_Z17sort_pairs_kernelI22helper_blocked_blockedaLj128ELj8ELj10EEvPKT0_PS1_,@function
_Z17sort_pairs_kernelI22helper_blocked_blockedaLj128ELj8ELj10EEvPKT0_PS1_: ; @_Z17sort_pairs_kernelI22helper_blocked_blockedaLj128ELj8ELj10EEvPKT0_PS1_
; %bb.0:
	s_load_dwordx4 s[24:27], s[4:5], 0x0
	s_load_dword s34, s[4:5], 0x1c
	s_lshl_b32 s28, s6, 10
	v_mbcnt_lo_u32_b32 v11, -1, 0
	v_mbcnt_hi_u32_b32 v16, -1, v11
	s_waitcnt lgkmcnt(0)
	s_add_u32 s0, s24, s28
	s_addc_u32 s1, s25, 0
	global_load_ubyte v3, v0, s[0:1]
	global_load_ubyte v4, v0, s[0:1] offset:256
	global_load_ubyte v6, v0, s[0:1] offset:512
	;; [unrolled: 1-line block ×7, first 2 shown]
	s_lshr_b32 s35, s34, 16
	s_and_b32 s34, s34, 0xffff
	v_mad_u32_u24 v1, v2, s35, v1
	v_lshlrev_b32_e32 v13, 3, v0
	v_subrev_co_u32_e64 v23, s[6:7], 1, v16
	v_and_b32_e32 v24, 64, v16
	v_mad_u32_u24 v1, v1, s34, v0
	s_mov_b32 s24, 0xc0c0004
	v_and_b32_e32 v14, 64, v0
	v_lshrrev_b32_e32 v15, 4, v0
	v_lshlrev_b32_e32 v17, 2, v0
	v_and_b32_e32 v18, 0x200, v13
	v_and_b32_e32 v20, 15, v16
	v_and_b32_e32 v21, 16, v16
	v_cmp_lt_i32_e64 s[20:21], v23, v24
	v_lshrrev_b32_e32 v1, 4, v1
	v_add_lshl_u32 v12, v16, v14, 3
	v_cmp_lt_u32_e64 s[4:5], 31, v16
	v_or_b32_e32 v22, 63, v14
	v_and_b32_e32 v14, 4, v15
	v_sub_u32_e32 v25, 0, v17
	v_and_b32_e32 v15, 1, v16
	v_cmp_eq_u32_e64 s[8:9], 0, v20
	v_cmp_lt_u32_e64 s[10:11], 1, v20
	v_cmp_lt_u32_e64 s[12:13], 3, v20
	;; [unrolled: 1-line block ×3, first 2 shown]
	v_cmp_eq_u32_e64 s[16:17], 0, v21
	v_cndmask_b32_e64 v17, v23, v16, s[20:21]
	v_add_u32_e32 v16, v16, v18
	v_and_b32_e32 v18, 0xffffffc, v1
	s_mov_b32 s22, 0
	s_movk_i32 s25, 0x100
	v_lshlrev_b32_e32 v11, 4, v0
	s_mov_b32 s23, s22
	v_sub_u32_e32 v13, v11, v13
	s_mov_b32 s29, 10
	v_mov_b32_e32 v5, 0
	s_movk_i32 s30, 0xff00
	s_movk_i32 s31, 0x80
	;; [unrolled: 1-line block ×3, first 2 shown]
	v_cmp_gt_u32_e32 vcc, 2, v0
	v_cmp_lt_u32_e64 s[0:1], 63, v0
	v_cmp_eq_u32_e64 s[2:3], 0, v0
	v_cmp_eq_u32_e64 s[18:19], v0, v22
	;; [unrolled: 1-line block ×3, first 2 shown]
	v_add_u32_e32 v15, -4, v14
	v_lshlrev_b32_e32 v17, 2, v17
	s_waitcnt vmcnt(7)
	v_add_u16_e32 v1, 1, v3
	s_waitcnt vmcnt(6)
	v_add_u16_e32 v2, 1, v4
	;; [unrolled: 2-line block ×4, first 2 shown]
	s_waitcnt vmcnt(3)
	v_perm_b32 v3, v3, v8, s24
	s_waitcnt vmcnt(2)
	v_perm_b32 v4, v4, v9, s24
	v_lshlrev_b16_e32 v9, 8, v9
	v_lshlrev_b16_e32 v8, 8, v8
	s_waitcnt vmcnt(1)
	v_perm_b32 v6, v6, v10, s24
	s_waitcnt vmcnt(0)
	v_perm_b32 v7, v7, v19, s24
	v_lshlrev_b16_e32 v19, 8, v19
	v_lshlrev_b16_e32 v10, 8, v10
	v_lshl_or_b32 v3, v4, 16, v3
	v_lshl_or_b32 v4, v7, 16, v6
	v_or_b32_sdwa v1, v8, v1 dst_sel:DWORD dst_unused:UNUSED_PAD src0_sel:DWORD src1_sel:BYTE_0
	v_or_b32_sdwa v2, v9, v2 dst_sel:DWORD dst_unused:UNUSED_PAD src0_sel:DWORD src1_sel:BYTE_0
	;; [unrolled: 1-line block ×4, first 2 shown]
	v_add_u16_e32 v1, 0x100, v1
	v_add_u16_sdwa v2, v2, s25 dst_sel:WORD_1 dst_unused:UNUSED_PAD src0_sel:DWORD src1_sel:DWORD
	v_add_u16_e32 v6, 0x100, v6
	v_add_u16_sdwa v7, v7, s25 dst_sel:WORD_1 dst_unused:UNUSED_PAD src0_sel:DWORD src1_sel:DWORD
	s_mov_b32 s24, s22
	v_or_b32_e32 v1, v1, v2
	v_or_b32_e32 v2, v6, v7
	s_mov_b32 s25, s22
	v_mov_b32_e32 v7, s22
	v_mov_b32_e32 v9, s24
	;; [unrolled: 1-line block ×4, first 2 shown]
	v_add_u32_e32 v19, v13, v25
	v_mov_b32_e32 v20, 3
	s_branch .LBB63_2
.LBB63_1:                               ;   in Loop: Header=BB63_2 Depth=1
	s_or_b64 exec, exec, s[22:23]
	s_waitcnt lgkmcnt(0)
	v_add_u32_e32 v4, v59, v4
	ds_bpermute_b32 v4, v17, v4
	s_add_i32 s29, s29, -1
	s_cmp_eq_u32 s29, 0
	s_waitcnt lgkmcnt(0)
	v_cndmask_b32_e64 v4, v4, v59, s[6:7]
	v_cndmask_b32_e64 v59, v4, 0, s[2:3]
	v_add_u32_e32 v60, v59, v1
	v_add_u32_e32 v1, v60, v2
	;; [unrolled: 1-line block ×3, first 2 shown]
	ds_write2_b64 v11, v[59:60], v[1:2] offset0:1 offset1:2
	s_waitcnt lgkmcnt(0)
	s_barrier
	ds_read_b32 v1, v38 offset:8
	ds_read_b32 v2, v40 offset:8
	ds_read_b32 v3, v43 offset:8
	ds_read_b32 v4, v46 offset:8
	ds_read_b32 v38, v49 offset:8
	ds_read_b32 v40, v52 offset:8
	ds_read_b32 v43, v55 offset:8
	ds_read_b32 v46, v58 offset:8
	s_waitcnt lgkmcnt(7)
	v_add_u32_e32 v1, v1, v37
	s_waitcnt lgkmcnt(6)
	v_add3_u32 v2, v41, v39, v2
	s_waitcnt lgkmcnt(0)
	s_barrier
	ds_write_b8 v1, v28
	ds_write_b8 v2, v27
	v_add3_u32 v27, v44, v42, v3
	ds_write_b8 v27, v26
	v_add3_u32 v26, v47, v45, v4
	;; [unrolled: 2-line block ×5, first 2 shown]
	v_add3_u32 v6, v6, v57, v46
	ds_write_b8 v23, v22
	ds_write_b8 v6, v21
	s_waitcnt lgkmcnt(0)
	s_barrier
	ds_read_b64 v[3:4], v13
	s_waitcnt lgkmcnt(0)
	s_barrier
	ds_write_b8 v1, v29
	ds_write_b8 v2, v30
	;; [unrolled: 1-line block ×8, first 2 shown]
	v_and_b32_e32 v21, 0xffffff00, v3
	v_xor_b32_e32 v22, 0x80, v3
	v_or_b32_sdwa v21, v22, v21 dst_sel:DWORD dst_unused:UNUSED_PAD src0_sel:BYTE_0 src1_sel:DWORD
	v_and_b32_sdwa v22, v3, s30 dst_sel:DWORD dst_unused:UNUSED_PAD src0_sel:WORD_1 src1_sel:DWORD
	v_xor_b32_sdwa v3, v3, s31 dst_sel:DWORD dst_unused:UNUSED_PAD src0_sel:WORD_1 src1_sel:DWORD
	v_or_b32_sdwa v3, v3, v22 dst_sel:DWORD dst_unused:UNUSED_PAD src0_sel:BYTE_0 src1_sel:DWORD
	v_add_u16_e32 v21, 0x8000, v21
	v_add_u16_sdwa v3, v3, s33 dst_sel:WORD_1 dst_unused:UNUSED_PAD src0_sel:DWORD src1_sel:DWORD
	v_or_b32_e32 v3, v21, v3
	s_waitcnt lgkmcnt(0)
	s_barrier
	ds_read_b64 v[1:2], v13
	v_and_b32_e32 v6, 0xffffff00, v4
	v_xor_b32_e32 v21, 0x80, v4
	v_or_b32_sdwa v6, v21, v6 dst_sel:DWORD dst_unused:UNUSED_PAD src0_sel:BYTE_0 src1_sel:DWORD
	v_and_b32_sdwa v21, v4, s30 dst_sel:DWORD dst_unused:UNUSED_PAD src0_sel:WORD_1 src1_sel:DWORD
	v_xor_b32_sdwa v4, v4, s31 dst_sel:DWORD dst_unused:UNUSED_PAD src0_sel:WORD_1 src1_sel:DWORD
	v_or_b32_sdwa v4, v4, v21 dst_sel:DWORD dst_unused:UNUSED_PAD src0_sel:BYTE_0 src1_sel:DWORD
	v_add_u16_e32 v6, 0x8000, v6
	v_add_u16_sdwa v4, v4, s33 dst_sel:WORD_1 dst_unused:UNUSED_PAD src0_sel:DWORD src1_sel:DWORD
	v_or_b32_e32 v4, v6, v4
	s_cbranch_scc1 .LBB63_24
.LBB63_2:                               ; =>This Inner Loop Header: Depth=1
	v_and_b32_e32 v6, 0xffffff00, v3
	v_xor_b32_e32 v21, 0x80, v3
	v_or_b32_sdwa v6, v21, v6 dst_sel:DWORD dst_unused:UNUSED_PAD src0_sel:BYTE_0 src1_sel:DWORD
	v_and_b32_sdwa v21, v3, s30 dst_sel:DWORD dst_unused:UNUSED_PAD src0_sel:WORD_1 src1_sel:DWORD
	v_xor_b32_sdwa v3, v3, s31 dst_sel:DWORD dst_unused:UNUSED_PAD src0_sel:WORD_1 src1_sel:DWORD
	v_or_b32_sdwa v3, v3, v21 dst_sel:DWORD dst_unused:UNUSED_PAD src0_sel:BYTE_0 src1_sel:DWORD
	v_add_u16_e32 v6, 0x8000, v6
	v_add_u16_sdwa v3, v3, s33 dst_sel:WORD_1 dst_unused:UNUSED_PAD src0_sel:DWORD src1_sel:DWORD
	v_or_b32_e32 v3, v6, v3
	v_and_b32_e32 v6, 0xffffff00, v4
	v_xor_b32_e32 v21, 0x80, v4
	v_or_b32_sdwa v6, v21, v6 dst_sel:DWORD dst_unused:UNUSED_PAD src0_sel:BYTE_0 src1_sel:DWORD
	v_and_b32_sdwa v21, v4, s30 dst_sel:DWORD dst_unused:UNUSED_PAD src0_sel:WORD_1 src1_sel:DWORD
	v_xor_b32_sdwa v4, v4, s31 dst_sel:DWORD dst_unused:UNUSED_PAD src0_sel:WORD_1 src1_sel:DWORD
	v_or_b32_sdwa v4, v4, v21 dst_sel:DWORD dst_unused:UNUSED_PAD src0_sel:BYTE_0 src1_sel:DWORD
	v_add_u16_e32 v6, 0x8000, v6
	v_add_u16_sdwa v4, v4, s33 dst_sel:WORD_1 dst_unused:UNUSED_PAD src0_sel:DWORD src1_sel:DWORD
	v_or_b32_e32 v4, v6, v4
	ds_write_b64 v12, v[3:4]
	; wave barrier
	ds_read_u8 v28, v16
	ds_read_u8 v27, v16 offset:64
	ds_read_u8 v26, v16 offset:128
	;; [unrolled: 1-line block ×7, first 2 shown]
	; wave barrier
	s_waitcnt lgkmcnt(9)
	ds_write_b64 v12, v[1:2]
	s_waitcnt lgkmcnt(8)
	v_and_b32_e32 v1, 1, v28
	v_add_co_u32_e64 v2, s[22:23], -1, v1
	v_addc_co_u32_e64 v3, s[22:23], 0, -1, s[22:23]
	v_cmp_ne_u32_e64 s[22:23], 0, v1
	v_lshlrev_b32_e32 v6, 30, v28
	v_xor_b32_e32 v1, s23, v3
	v_xor_b32_e32 v2, s22, v2
	v_cmp_gt_i64_e64 s[22:23], 0, v[5:6]
	v_not_b32_e32 v3, v6
	v_ashrrev_i32_e32 v3, 31, v3
	v_and_b32_e32 v2, exec_lo, v2
	v_xor_b32_e32 v4, s23, v3
	v_xor_b32_e32 v3, s22, v3
	v_lshlrev_b32_e32 v6, 29, v28
	v_and_b32_e32 v2, v2, v3
	v_cmp_gt_i64_e64 s[22:23], 0, v[5:6]
	v_not_b32_e32 v3, v6
	v_and_b32_e32 v1, exec_hi, v1
	v_ashrrev_i32_e32 v3, 31, v3
	v_and_b32_e32 v1, v1, v4
	v_xor_b32_e32 v4, s23, v3
	v_xor_b32_e32 v3, s22, v3
	v_lshlrev_b32_e32 v6, 28, v28
	v_and_b32_e32 v2, v2, v3
	v_cmp_gt_i64_e64 s[22:23], 0, v[5:6]
	v_not_b32_e32 v3, v6
	v_ashrrev_i32_e32 v3, 31, v3
	v_and_b32_e32 v1, v1, v4
	v_xor_b32_e32 v4, s23, v3
	v_xor_b32_e32 v3, s22, v3
	v_lshlrev_b32_e32 v6, 27, v28
	v_and_b32_e32 v2, v2, v3
	v_cmp_gt_i64_e64 s[22:23], 0, v[5:6]
	v_not_b32_e32 v3, v6
	;; [unrolled: 8-line block ×3, first 2 shown]
	v_ashrrev_i32_e32 v3, 31, v3
	v_and_b32_e32 v1, v1, v4
	v_xor_b32_e32 v4, s23, v3
	v_xor_b32_e32 v3, s22, v3
	v_lshlrev_b32_e32 v6, 25, v28
	; wave barrier
	v_and_b32_e32 v2, v2, v3
	v_cmp_gt_i64_e64 s[22:23], 0, v[5:6]
	v_not_b32_e32 v3, v6
	ds_read_u8 v29, v16
	ds_read_u8 v30, v16 offset:64
	ds_read_u8 v31, v16 offset:128
	;; [unrolled: 1-line block ×7, first 2 shown]
	v_ashrrev_i32_e32 v3, 31, v3
	v_and_b32_e32 v1, v1, v4
	v_xor_b32_e32 v4, s23, v3
	v_xor_b32_e32 v3, s22, v3
	v_lshlrev_b32_e32 v6, 24, v28
	v_and_b32_e32 v3, v2, v3
	v_cmp_gt_i64_e64 s[22:23], 0, v[5:6]
	v_not_b32_e32 v2, v6
	v_ashrrev_i32_e32 v2, 31, v2
	v_and_b32_e32 v1, v1, v4
	v_xor_b32_e32 v4, s23, v2
	v_xor_b32_e32 v6, s22, v2
	v_and_b32_e32 v2, v1, v4
	v_and_b32_e32 v1, v3, v6
	v_mbcnt_lo_u32_b32 v3, v1, 0
	v_mbcnt_hi_u32_b32 v37, v2, v3
	v_cmp_ne_u64_e64 s[22:23], 0, v[1:2]
	v_cmp_eq_u32_e64 s[24:25], 0, v37
	v_lshlrev_b32_sdwa v3, v20, v28 dst_sel:DWORD dst_unused:UNUSED_PAD src0_sel:DWORD src1_sel:BYTE_0
	s_and_b64 s[24:25], s[22:23], s[24:25]
	v_add_u32_e32 v38, v18, v3
	s_waitcnt lgkmcnt(0)
	s_barrier
	ds_write2_b64 v11, v[7:8], v[9:10] offset0:1 offset1:2
	s_waitcnt lgkmcnt(0)
	s_barrier
	; wave barrier
	s_and_saveexec_b64 s[22:23], s[24:25]
; %bb.3:                                ;   in Loop: Header=BB63_2 Depth=1
	v_bcnt_u32_b32 v1, v1, 0
	v_bcnt_u32_b32 v1, v2, v1
	ds_write_b32 v38, v1 offset:8
; %bb.4:                                ;   in Loop: Header=BB63_2 Depth=1
	s_or_b64 exec, exec, s[22:23]
	v_lshlrev_b32_sdwa v1, v20, v27 dst_sel:DWORD dst_unused:UNUSED_PAD src0_sel:DWORD src1_sel:BYTE_0
	v_add_u32_e32 v40, v18, v1
	v_and_b32_e32 v1, 1, v27
	v_add_co_u32_e64 v2, s[22:23], -1, v1
	v_addc_co_u32_e64 v3, s[22:23], 0, -1, s[22:23]
	v_cmp_ne_u32_e64 s[22:23], 0, v1
	v_lshlrev_b32_e32 v6, 30, v27
	v_xor_b32_e32 v1, s23, v3
	v_xor_b32_e32 v2, s22, v2
	v_cmp_gt_i64_e64 s[22:23], 0, v[5:6]
	v_not_b32_e32 v3, v6
	v_ashrrev_i32_e32 v3, 31, v3
	v_and_b32_e32 v2, exec_lo, v2
	v_xor_b32_e32 v4, s23, v3
	v_xor_b32_e32 v3, s22, v3
	v_lshlrev_b32_e32 v6, 29, v27
	v_and_b32_e32 v2, v2, v3
	v_cmp_gt_i64_e64 s[22:23], 0, v[5:6]
	v_not_b32_e32 v3, v6
	v_and_b32_e32 v1, exec_hi, v1
	v_ashrrev_i32_e32 v3, 31, v3
	v_and_b32_e32 v1, v1, v4
	v_xor_b32_e32 v4, s23, v3
	v_xor_b32_e32 v3, s22, v3
	v_lshlrev_b32_e32 v6, 28, v27
	v_and_b32_e32 v2, v2, v3
	v_cmp_gt_i64_e64 s[22:23], 0, v[5:6]
	v_not_b32_e32 v3, v6
	v_ashrrev_i32_e32 v3, 31, v3
	v_and_b32_e32 v1, v1, v4
	v_xor_b32_e32 v4, s23, v3
	v_xor_b32_e32 v3, s22, v3
	v_lshlrev_b32_e32 v6, 27, v27
	v_and_b32_e32 v2, v2, v3
	v_cmp_gt_i64_e64 s[22:23], 0, v[5:6]
	v_not_b32_e32 v3, v6
	v_ashrrev_i32_e32 v3, 31, v3
	v_and_b32_e32 v1, v1, v4
	v_xor_b32_e32 v4, s23, v3
	v_xor_b32_e32 v3, s22, v3
	v_lshlrev_b32_e32 v6, 26, v27
	v_and_b32_e32 v2, v2, v3
	v_cmp_gt_i64_e64 s[22:23], 0, v[5:6]
	v_not_b32_e32 v3, v6
	v_ashrrev_i32_e32 v3, 31, v3
	v_and_b32_e32 v1, v1, v4
	v_xor_b32_e32 v4, s23, v3
	v_xor_b32_e32 v3, s22, v3
	v_lshlrev_b32_e32 v6, 25, v27
	v_and_b32_e32 v2, v2, v3
	v_cmp_gt_i64_e64 s[22:23], 0, v[5:6]
	v_not_b32_e32 v3, v6
	v_ashrrev_i32_e32 v3, 31, v3
	v_and_b32_e32 v1, v1, v4
	v_xor_b32_e32 v4, s23, v3
	v_xor_b32_e32 v3, s22, v3
	v_lshlrev_b32_e32 v6, 24, v27
	v_and_b32_e32 v3, v2, v3
	v_cmp_gt_i64_e64 s[22:23], 0, v[5:6]
	v_not_b32_e32 v2, v6
	v_ashrrev_i32_e32 v2, 31, v2
	v_and_b32_e32 v1, v1, v4
	v_xor_b32_e32 v4, s23, v2
	v_xor_b32_e32 v6, s22, v2
	; wave barrier
	ds_read_b32 v39, v40 offset:8
	v_and_b32_e32 v2, v1, v4
	v_and_b32_e32 v1, v3, v6
	v_mbcnt_lo_u32_b32 v3, v1, 0
	v_mbcnt_hi_u32_b32 v41, v2, v3
	v_cmp_ne_u64_e64 s[22:23], 0, v[1:2]
	v_cmp_eq_u32_e64 s[24:25], 0, v41
	s_and_b64 s[24:25], s[22:23], s[24:25]
	; wave barrier
	s_and_saveexec_b64 s[22:23], s[24:25]
	s_cbranch_execz .LBB63_6
; %bb.5:                                ;   in Loop: Header=BB63_2 Depth=1
	v_bcnt_u32_b32 v1, v1, 0
	v_bcnt_u32_b32 v1, v2, v1
	s_waitcnt lgkmcnt(0)
	v_add_u32_e32 v1, v39, v1
	ds_write_b32 v40, v1 offset:8
.LBB63_6:                               ;   in Loop: Header=BB63_2 Depth=1
	s_or_b64 exec, exec, s[22:23]
	v_lshlrev_b32_sdwa v1, v20, v26 dst_sel:DWORD dst_unused:UNUSED_PAD src0_sel:DWORD src1_sel:BYTE_0
	v_add_u32_e32 v43, v18, v1
	v_and_b32_e32 v1, 1, v26
	v_add_co_u32_e64 v2, s[22:23], -1, v1
	v_addc_co_u32_e64 v3, s[22:23], 0, -1, s[22:23]
	v_cmp_ne_u32_e64 s[22:23], 0, v1
	v_lshlrev_b32_e32 v6, 30, v26
	v_xor_b32_e32 v1, s23, v3
	v_xor_b32_e32 v2, s22, v2
	v_cmp_gt_i64_e64 s[22:23], 0, v[5:6]
	v_not_b32_e32 v3, v6
	v_ashrrev_i32_e32 v3, 31, v3
	v_and_b32_e32 v2, exec_lo, v2
	v_xor_b32_e32 v4, s23, v3
	v_xor_b32_e32 v3, s22, v3
	v_lshlrev_b32_e32 v6, 29, v26
	v_and_b32_e32 v2, v2, v3
	v_cmp_gt_i64_e64 s[22:23], 0, v[5:6]
	v_not_b32_e32 v3, v6
	v_and_b32_e32 v1, exec_hi, v1
	v_ashrrev_i32_e32 v3, 31, v3
	v_and_b32_e32 v1, v1, v4
	v_xor_b32_e32 v4, s23, v3
	v_xor_b32_e32 v3, s22, v3
	v_lshlrev_b32_e32 v6, 28, v26
	v_and_b32_e32 v2, v2, v3
	v_cmp_gt_i64_e64 s[22:23], 0, v[5:6]
	v_not_b32_e32 v3, v6
	v_ashrrev_i32_e32 v3, 31, v3
	v_and_b32_e32 v1, v1, v4
	v_xor_b32_e32 v4, s23, v3
	v_xor_b32_e32 v3, s22, v3
	v_lshlrev_b32_e32 v6, 27, v26
	v_and_b32_e32 v2, v2, v3
	v_cmp_gt_i64_e64 s[22:23], 0, v[5:6]
	v_not_b32_e32 v3, v6
	;; [unrolled: 8-line block ×5, first 2 shown]
	v_ashrrev_i32_e32 v2, 31, v2
	v_and_b32_e32 v1, v1, v4
	v_xor_b32_e32 v4, s23, v2
	v_xor_b32_e32 v6, s22, v2
	; wave barrier
	ds_read_b32 v42, v43 offset:8
	v_and_b32_e32 v2, v1, v4
	v_and_b32_e32 v1, v3, v6
	v_mbcnt_lo_u32_b32 v3, v1, 0
	v_mbcnt_hi_u32_b32 v44, v2, v3
	v_cmp_ne_u64_e64 s[22:23], 0, v[1:2]
	v_cmp_eq_u32_e64 s[24:25], 0, v44
	s_and_b64 s[24:25], s[22:23], s[24:25]
	; wave barrier
	s_and_saveexec_b64 s[22:23], s[24:25]
	s_cbranch_execz .LBB63_8
; %bb.7:                                ;   in Loop: Header=BB63_2 Depth=1
	v_bcnt_u32_b32 v1, v1, 0
	v_bcnt_u32_b32 v1, v2, v1
	s_waitcnt lgkmcnt(0)
	v_add_u32_e32 v1, v42, v1
	ds_write_b32 v43, v1 offset:8
.LBB63_8:                               ;   in Loop: Header=BB63_2 Depth=1
	s_or_b64 exec, exec, s[22:23]
	v_lshlrev_b32_sdwa v1, v20, v25 dst_sel:DWORD dst_unused:UNUSED_PAD src0_sel:DWORD src1_sel:BYTE_0
	v_add_u32_e32 v46, v18, v1
	v_and_b32_e32 v1, 1, v25
	v_add_co_u32_e64 v2, s[22:23], -1, v1
	v_addc_co_u32_e64 v3, s[22:23], 0, -1, s[22:23]
	v_cmp_ne_u32_e64 s[22:23], 0, v1
	v_lshlrev_b32_e32 v6, 30, v25
	v_xor_b32_e32 v1, s23, v3
	v_xor_b32_e32 v2, s22, v2
	v_cmp_gt_i64_e64 s[22:23], 0, v[5:6]
	v_not_b32_e32 v3, v6
	v_ashrrev_i32_e32 v3, 31, v3
	v_and_b32_e32 v2, exec_lo, v2
	v_xor_b32_e32 v4, s23, v3
	v_xor_b32_e32 v3, s22, v3
	v_lshlrev_b32_e32 v6, 29, v25
	v_and_b32_e32 v2, v2, v3
	v_cmp_gt_i64_e64 s[22:23], 0, v[5:6]
	v_not_b32_e32 v3, v6
	v_and_b32_e32 v1, exec_hi, v1
	v_ashrrev_i32_e32 v3, 31, v3
	v_and_b32_e32 v1, v1, v4
	v_xor_b32_e32 v4, s23, v3
	v_xor_b32_e32 v3, s22, v3
	v_lshlrev_b32_e32 v6, 28, v25
	v_and_b32_e32 v2, v2, v3
	v_cmp_gt_i64_e64 s[22:23], 0, v[5:6]
	v_not_b32_e32 v3, v6
	v_ashrrev_i32_e32 v3, 31, v3
	v_and_b32_e32 v1, v1, v4
	v_xor_b32_e32 v4, s23, v3
	v_xor_b32_e32 v3, s22, v3
	v_lshlrev_b32_e32 v6, 27, v25
	v_and_b32_e32 v2, v2, v3
	v_cmp_gt_i64_e64 s[22:23], 0, v[5:6]
	v_not_b32_e32 v3, v6
	;; [unrolled: 8-line block ×5, first 2 shown]
	v_ashrrev_i32_e32 v2, 31, v2
	v_and_b32_e32 v1, v1, v4
	v_xor_b32_e32 v4, s23, v2
	v_xor_b32_e32 v6, s22, v2
	; wave barrier
	ds_read_b32 v45, v46 offset:8
	v_and_b32_e32 v2, v1, v4
	v_and_b32_e32 v1, v3, v6
	v_mbcnt_lo_u32_b32 v3, v1, 0
	v_mbcnt_hi_u32_b32 v47, v2, v3
	v_cmp_ne_u64_e64 s[22:23], 0, v[1:2]
	v_cmp_eq_u32_e64 s[24:25], 0, v47
	s_and_b64 s[24:25], s[22:23], s[24:25]
	; wave barrier
	s_and_saveexec_b64 s[22:23], s[24:25]
	s_cbranch_execz .LBB63_10
; %bb.9:                                ;   in Loop: Header=BB63_2 Depth=1
	v_bcnt_u32_b32 v1, v1, 0
	v_bcnt_u32_b32 v1, v2, v1
	s_waitcnt lgkmcnt(0)
	v_add_u32_e32 v1, v45, v1
	ds_write_b32 v46, v1 offset:8
.LBB63_10:                              ;   in Loop: Header=BB63_2 Depth=1
	s_or_b64 exec, exec, s[22:23]
	v_lshlrev_b32_sdwa v1, v20, v24 dst_sel:DWORD dst_unused:UNUSED_PAD src0_sel:DWORD src1_sel:BYTE_0
	v_add_u32_e32 v49, v18, v1
	v_and_b32_e32 v1, 1, v24
	v_add_co_u32_e64 v2, s[22:23], -1, v1
	v_addc_co_u32_e64 v3, s[22:23], 0, -1, s[22:23]
	v_cmp_ne_u32_e64 s[22:23], 0, v1
	v_lshlrev_b32_e32 v6, 30, v24
	v_xor_b32_e32 v1, s23, v3
	v_xor_b32_e32 v2, s22, v2
	v_cmp_gt_i64_e64 s[22:23], 0, v[5:6]
	v_not_b32_e32 v3, v6
	v_ashrrev_i32_e32 v3, 31, v3
	v_and_b32_e32 v2, exec_lo, v2
	v_xor_b32_e32 v4, s23, v3
	v_xor_b32_e32 v3, s22, v3
	v_lshlrev_b32_e32 v6, 29, v24
	v_and_b32_e32 v2, v2, v3
	v_cmp_gt_i64_e64 s[22:23], 0, v[5:6]
	v_not_b32_e32 v3, v6
	v_and_b32_e32 v1, exec_hi, v1
	v_ashrrev_i32_e32 v3, 31, v3
	v_and_b32_e32 v1, v1, v4
	v_xor_b32_e32 v4, s23, v3
	v_xor_b32_e32 v3, s22, v3
	v_lshlrev_b32_e32 v6, 28, v24
	v_and_b32_e32 v2, v2, v3
	v_cmp_gt_i64_e64 s[22:23], 0, v[5:6]
	v_not_b32_e32 v3, v6
	v_ashrrev_i32_e32 v3, 31, v3
	v_and_b32_e32 v1, v1, v4
	v_xor_b32_e32 v4, s23, v3
	v_xor_b32_e32 v3, s22, v3
	v_lshlrev_b32_e32 v6, 27, v24
	v_and_b32_e32 v2, v2, v3
	v_cmp_gt_i64_e64 s[22:23], 0, v[5:6]
	v_not_b32_e32 v3, v6
	;; [unrolled: 8-line block ×5, first 2 shown]
	v_ashrrev_i32_e32 v2, 31, v2
	v_and_b32_e32 v1, v1, v4
	v_xor_b32_e32 v4, s23, v2
	v_xor_b32_e32 v6, s22, v2
	; wave barrier
	ds_read_b32 v48, v49 offset:8
	v_and_b32_e32 v2, v1, v4
	v_and_b32_e32 v1, v3, v6
	v_mbcnt_lo_u32_b32 v3, v1, 0
	v_mbcnt_hi_u32_b32 v50, v2, v3
	v_cmp_ne_u64_e64 s[22:23], 0, v[1:2]
	v_cmp_eq_u32_e64 s[24:25], 0, v50
	s_and_b64 s[24:25], s[22:23], s[24:25]
	; wave barrier
	s_and_saveexec_b64 s[22:23], s[24:25]
	s_cbranch_execz .LBB63_12
; %bb.11:                               ;   in Loop: Header=BB63_2 Depth=1
	v_bcnt_u32_b32 v1, v1, 0
	v_bcnt_u32_b32 v1, v2, v1
	s_waitcnt lgkmcnt(0)
	v_add_u32_e32 v1, v48, v1
	ds_write_b32 v49, v1 offset:8
.LBB63_12:                              ;   in Loop: Header=BB63_2 Depth=1
	s_or_b64 exec, exec, s[22:23]
	v_lshlrev_b32_sdwa v1, v20, v23 dst_sel:DWORD dst_unused:UNUSED_PAD src0_sel:DWORD src1_sel:BYTE_0
	v_add_u32_e32 v52, v18, v1
	v_and_b32_e32 v1, 1, v23
	v_add_co_u32_e64 v2, s[22:23], -1, v1
	v_addc_co_u32_e64 v3, s[22:23], 0, -1, s[22:23]
	v_cmp_ne_u32_e64 s[22:23], 0, v1
	v_lshlrev_b32_e32 v6, 30, v23
	v_xor_b32_e32 v1, s23, v3
	v_xor_b32_e32 v2, s22, v2
	v_cmp_gt_i64_e64 s[22:23], 0, v[5:6]
	v_not_b32_e32 v3, v6
	v_ashrrev_i32_e32 v3, 31, v3
	v_and_b32_e32 v2, exec_lo, v2
	v_xor_b32_e32 v4, s23, v3
	v_xor_b32_e32 v3, s22, v3
	v_lshlrev_b32_e32 v6, 29, v23
	v_and_b32_e32 v2, v2, v3
	v_cmp_gt_i64_e64 s[22:23], 0, v[5:6]
	v_not_b32_e32 v3, v6
	v_and_b32_e32 v1, exec_hi, v1
	v_ashrrev_i32_e32 v3, 31, v3
	v_and_b32_e32 v1, v1, v4
	v_xor_b32_e32 v4, s23, v3
	v_xor_b32_e32 v3, s22, v3
	v_lshlrev_b32_e32 v6, 28, v23
	v_and_b32_e32 v2, v2, v3
	v_cmp_gt_i64_e64 s[22:23], 0, v[5:6]
	v_not_b32_e32 v3, v6
	v_ashrrev_i32_e32 v3, 31, v3
	v_and_b32_e32 v1, v1, v4
	v_xor_b32_e32 v4, s23, v3
	v_xor_b32_e32 v3, s22, v3
	v_lshlrev_b32_e32 v6, 27, v23
	v_and_b32_e32 v2, v2, v3
	v_cmp_gt_i64_e64 s[22:23], 0, v[5:6]
	v_not_b32_e32 v3, v6
	;; [unrolled: 8-line block ×5, first 2 shown]
	v_ashrrev_i32_e32 v2, 31, v2
	v_and_b32_e32 v1, v1, v4
	v_xor_b32_e32 v4, s23, v2
	v_xor_b32_e32 v6, s22, v2
	; wave barrier
	ds_read_b32 v51, v52 offset:8
	v_and_b32_e32 v2, v1, v4
	v_and_b32_e32 v1, v3, v6
	v_mbcnt_lo_u32_b32 v3, v1, 0
	v_mbcnt_hi_u32_b32 v53, v2, v3
	v_cmp_ne_u64_e64 s[22:23], 0, v[1:2]
	v_cmp_eq_u32_e64 s[24:25], 0, v53
	s_and_b64 s[24:25], s[22:23], s[24:25]
	; wave barrier
	s_and_saveexec_b64 s[22:23], s[24:25]
	s_cbranch_execz .LBB63_14
; %bb.13:                               ;   in Loop: Header=BB63_2 Depth=1
	v_bcnt_u32_b32 v1, v1, 0
	v_bcnt_u32_b32 v1, v2, v1
	s_waitcnt lgkmcnt(0)
	v_add_u32_e32 v1, v51, v1
	ds_write_b32 v52, v1 offset:8
.LBB63_14:                              ;   in Loop: Header=BB63_2 Depth=1
	s_or_b64 exec, exec, s[22:23]
	v_lshlrev_b32_sdwa v1, v20, v22 dst_sel:DWORD dst_unused:UNUSED_PAD src0_sel:DWORD src1_sel:BYTE_0
	v_add_u32_e32 v55, v18, v1
	v_and_b32_e32 v1, 1, v22
	v_add_co_u32_e64 v2, s[22:23], -1, v1
	v_addc_co_u32_e64 v3, s[22:23], 0, -1, s[22:23]
	v_cmp_ne_u32_e64 s[22:23], 0, v1
	v_lshlrev_b32_e32 v6, 30, v22
	v_xor_b32_e32 v1, s23, v3
	v_xor_b32_e32 v2, s22, v2
	v_cmp_gt_i64_e64 s[22:23], 0, v[5:6]
	v_not_b32_e32 v3, v6
	v_ashrrev_i32_e32 v3, 31, v3
	v_and_b32_e32 v2, exec_lo, v2
	v_xor_b32_e32 v4, s23, v3
	v_xor_b32_e32 v3, s22, v3
	v_lshlrev_b32_e32 v6, 29, v22
	v_and_b32_e32 v2, v2, v3
	v_cmp_gt_i64_e64 s[22:23], 0, v[5:6]
	v_not_b32_e32 v3, v6
	v_and_b32_e32 v1, exec_hi, v1
	v_ashrrev_i32_e32 v3, 31, v3
	v_and_b32_e32 v1, v1, v4
	v_xor_b32_e32 v4, s23, v3
	v_xor_b32_e32 v3, s22, v3
	v_lshlrev_b32_e32 v6, 28, v22
	v_and_b32_e32 v2, v2, v3
	v_cmp_gt_i64_e64 s[22:23], 0, v[5:6]
	v_not_b32_e32 v3, v6
	v_ashrrev_i32_e32 v3, 31, v3
	v_and_b32_e32 v1, v1, v4
	v_xor_b32_e32 v4, s23, v3
	v_xor_b32_e32 v3, s22, v3
	v_lshlrev_b32_e32 v6, 27, v22
	v_and_b32_e32 v2, v2, v3
	v_cmp_gt_i64_e64 s[22:23], 0, v[5:6]
	v_not_b32_e32 v3, v6
	;; [unrolled: 8-line block ×5, first 2 shown]
	v_ashrrev_i32_e32 v2, 31, v2
	v_and_b32_e32 v1, v1, v4
	v_xor_b32_e32 v4, s23, v2
	v_xor_b32_e32 v6, s22, v2
	; wave barrier
	ds_read_b32 v54, v55 offset:8
	v_and_b32_e32 v2, v1, v4
	v_and_b32_e32 v1, v3, v6
	v_mbcnt_lo_u32_b32 v3, v1, 0
	v_mbcnt_hi_u32_b32 v56, v2, v3
	v_cmp_ne_u64_e64 s[22:23], 0, v[1:2]
	v_cmp_eq_u32_e64 s[24:25], 0, v56
	s_and_b64 s[24:25], s[22:23], s[24:25]
	; wave barrier
	s_and_saveexec_b64 s[22:23], s[24:25]
	s_cbranch_execz .LBB63_16
; %bb.15:                               ;   in Loop: Header=BB63_2 Depth=1
	v_bcnt_u32_b32 v1, v1, 0
	v_bcnt_u32_b32 v1, v2, v1
	s_waitcnt lgkmcnt(0)
	v_add_u32_e32 v1, v54, v1
	ds_write_b32 v55, v1 offset:8
.LBB63_16:                              ;   in Loop: Header=BB63_2 Depth=1
	s_or_b64 exec, exec, s[22:23]
	v_lshlrev_b32_sdwa v1, v20, v21 dst_sel:DWORD dst_unused:UNUSED_PAD src0_sel:DWORD src1_sel:BYTE_0
	v_add_u32_e32 v58, v18, v1
	v_and_b32_e32 v1, 1, v21
	v_add_co_u32_e64 v2, s[22:23], -1, v1
	v_addc_co_u32_e64 v3, s[22:23], 0, -1, s[22:23]
	v_cmp_ne_u32_e64 s[22:23], 0, v1
	v_lshlrev_b32_e32 v6, 30, v21
	v_xor_b32_e32 v1, s23, v3
	v_xor_b32_e32 v2, s22, v2
	v_cmp_gt_i64_e64 s[22:23], 0, v[5:6]
	v_not_b32_e32 v3, v6
	v_ashrrev_i32_e32 v3, 31, v3
	v_and_b32_e32 v2, exec_lo, v2
	v_xor_b32_e32 v4, s23, v3
	v_xor_b32_e32 v3, s22, v3
	v_lshlrev_b32_e32 v6, 29, v21
	v_and_b32_e32 v2, v2, v3
	v_cmp_gt_i64_e64 s[22:23], 0, v[5:6]
	v_not_b32_e32 v3, v6
	v_and_b32_e32 v1, exec_hi, v1
	v_ashrrev_i32_e32 v3, 31, v3
	v_and_b32_e32 v1, v1, v4
	v_xor_b32_e32 v4, s23, v3
	v_xor_b32_e32 v3, s22, v3
	v_lshlrev_b32_e32 v6, 28, v21
	v_and_b32_e32 v2, v2, v3
	v_cmp_gt_i64_e64 s[22:23], 0, v[5:6]
	v_not_b32_e32 v3, v6
	v_ashrrev_i32_e32 v3, 31, v3
	v_and_b32_e32 v1, v1, v4
	v_xor_b32_e32 v4, s23, v3
	v_xor_b32_e32 v3, s22, v3
	v_lshlrev_b32_e32 v6, 27, v21
	v_and_b32_e32 v2, v2, v3
	v_cmp_gt_i64_e64 s[22:23], 0, v[5:6]
	v_not_b32_e32 v3, v6
	;; [unrolled: 8-line block ×5, first 2 shown]
	v_ashrrev_i32_e32 v2, 31, v2
	v_and_b32_e32 v1, v1, v4
	v_xor_b32_e32 v4, s23, v2
	v_xor_b32_e32 v6, s22, v2
	; wave barrier
	ds_read_b32 v57, v58 offset:8
	v_and_b32_e32 v2, v1, v4
	v_and_b32_e32 v1, v3, v6
	v_mbcnt_lo_u32_b32 v3, v1, 0
	v_mbcnt_hi_u32_b32 v6, v2, v3
	v_cmp_ne_u64_e64 s[22:23], 0, v[1:2]
	v_cmp_eq_u32_e64 s[24:25], 0, v6
	s_and_b64 s[24:25], s[22:23], s[24:25]
	; wave barrier
	s_and_saveexec_b64 s[22:23], s[24:25]
	s_cbranch_execz .LBB63_18
; %bb.17:                               ;   in Loop: Header=BB63_2 Depth=1
	v_bcnt_u32_b32 v1, v1, 0
	v_bcnt_u32_b32 v1, v2, v1
	s_waitcnt lgkmcnt(0)
	v_add_u32_e32 v1, v57, v1
	ds_write_b32 v58, v1 offset:8
.LBB63_18:                              ;   in Loop: Header=BB63_2 Depth=1
	s_or_b64 exec, exec, s[22:23]
	; wave barrier
	s_waitcnt lgkmcnt(0)
	s_barrier
	ds_read2_b64 v[1:4], v11 offset0:1 offset1:2
	s_waitcnt lgkmcnt(0)
	v_add_u32_e32 v59, v2, v1
	v_add3_u32 v4, v59, v3, v4
	s_nop 1
	v_mov_b32_dpp v59, v4 row_shr:1 row_mask:0xf bank_mask:0xf
	v_cndmask_b32_e64 v59, v59, 0, s[8:9]
	v_add_u32_e32 v4, v59, v4
	s_nop 1
	v_mov_b32_dpp v59, v4 row_shr:2 row_mask:0xf bank_mask:0xf
	v_cndmask_b32_e64 v59, 0, v59, s[10:11]
	v_add_u32_e32 v4, v4, v59
	;; [unrolled: 4-line block ×4, first 2 shown]
	s_nop 1
	v_mov_b32_dpp v59, v4 row_bcast:15 row_mask:0xf bank_mask:0xf
	v_cndmask_b32_e64 v59, v59, 0, s[16:17]
	v_add_u32_e32 v4, v4, v59
	s_nop 1
	v_mov_b32_dpp v59, v4 row_bcast:31 row_mask:0xf bank_mask:0xf
	v_cndmask_b32_e64 v59, 0, v59, s[4:5]
	v_add_u32_e32 v4, v4, v59
	s_and_saveexec_b64 s[22:23], s[18:19]
; %bb.19:                               ;   in Loop: Header=BB63_2 Depth=1
	ds_write_b32 v14, v4
; %bb.20:                               ;   in Loop: Header=BB63_2 Depth=1
	s_or_b64 exec, exec, s[22:23]
	s_waitcnt lgkmcnt(0)
	s_barrier
	s_and_saveexec_b64 s[22:23], vcc
	s_cbranch_execz .LBB63_22
; %bb.21:                               ;   in Loop: Header=BB63_2 Depth=1
	ds_read_b32 v59, v19
	s_waitcnt lgkmcnt(0)
	s_nop 0
	v_mov_b32_dpp v60, v59 row_shr:1 row_mask:0xf bank_mask:0xf
	v_cndmask_b32_e64 v60, v60, 0, s[20:21]
	v_add_u32_e32 v59, v60, v59
	ds_write_b32 v19, v59
.LBB63_22:                              ;   in Loop: Header=BB63_2 Depth=1
	s_or_b64 exec, exec, s[22:23]
	v_mov_b32_e32 v59, 0
	s_waitcnt lgkmcnt(0)
	s_barrier
	s_and_saveexec_b64 s[22:23], s[0:1]
	s_cbranch_execz .LBB63_1
; %bb.23:                               ;   in Loop: Header=BB63_2 Depth=1
	ds_read_b32 v59, v15
	s_branch .LBB63_1
.LBB63_24:
	v_lshrrev_b32_e32 v6, 8, v3
	s_waitcnt lgkmcnt(0)
	v_lshrrev_b32_e32 v7, 8, v1
	s_add_u32 s0, s26, s28
	v_add_u16_e32 v5, v3, v1
	v_add_u16_e32 v6, v6, v7
	v_add_u16_sdwa v7, v3, v1 dst_sel:DWORD dst_unused:UNUSED_PAD src0_sel:WORD_1 src1_sel:WORD_1
	v_add_u16_sdwa v3, v3, v1 dst_sel:DWORD dst_unused:UNUSED_PAD src0_sel:BYTE_3 src1_sel:BYTE_3
	v_lshrrev_b32_e32 v1, 8, v4
	v_lshrrev_b32_e32 v9, 8, v2
	s_addc_u32 s1, s27, 0
	v_add_u16_e32 v9, v1, v9
	v_mov_b32_e32 v1, s1
	v_add_co_u32_e32 v0, vcc, s0, v0
	v_addc_co_u32_e32 v1, vcc, 0, v1, vcc
	v_add_u16_e32 v8, v4, v2
	v_add_u16_sdwa v10, v4, v2 dst_sel:DWORD dst_unused:UNUSED_PAD src0_sel:WORD_1 src1_sel:WORD_1
	v_add_u16_sdwa v2, v4, v2 dst_sel:DWORD dst_unused:UNUSED_PAD src0_sel:BYTE_3 src1_sel:BYTE_3
	global_store_byte v[0:1], v5, off
	global_store_byte v[0:1], v6, off offset:128
	global_store_byte v[0:1], v7, off offset:256
	;; [unrolled: 1-line block ×7, first 2 shown]
	s_endpgm
	.section	.rodata,"a",@progbits
	.p2align	6, 0x0
	.amdhsa_kernel _Z17sort_pairs_kernelI22helper_blocked_blockedaLj128ELj8ELj10EEvPKT0_PS1_
		.amdhsa_group_segment_fixed_size 2064
		.amdhsa_private_segment_fixed_size 0
		.amdhsa_kernarg_size 272
		.amdhsa_user_sgpr_count 6
		.amdhsa_user_sgpr_private_segment_buffer 1
		.amdhsa_user_sgpr_dispatch_ptr 0
		.amdhsa_user_sgpr_queue_ptr 0
		.amdhsa_user_sgpr_kernarg_segment_ptr 1
		.amdhsa_user_sgpr_dispatch_id 0
		.amdhsa_user_sgpr_flat_scratch_init 0
		.amdhsa_user_sgpr_private_segment_size 0
		.amdhsa_uses_dynamic_stack 0
		.amdhsa_system_sgpr_private_segment_wavefront_offset 0
		.amdhsa_system_sgpr_workgroup_id_x 1
		.amdhsa_system_sgpr_workgroup_id_y 0
		.amdhsa_system_sgpr_workgroup_id_z 0
		.amdhsa_system_sgpr_workgroup_info 0
		.amdhsa_system_vgpr_workitem_id 2
		.amdhsa_next_free_vgpr 61
		.amdhsa_next_free_sgpr 61
		.amdhsa_reserve_vcc 1
		.amdhsa_reserve_flat_scratch 0
		.amdhsa_float_round_mode_32 0
		.amdhsa_float_round_mode_16_64 0
		.amdhsa_float_denorm_mode_32 3
		.amdhsa_float_denorm_mode_16_64 3
		.amdhsa_dx10_clamp 1
		.amdhsa_ieee_mode 1
		.amdhsa_fp16_overflow 0
		.amdhsa_exception_fp_ieee_invalid_op 0
		.amdhsa_exception_fp_denorm_src 0
		.amdhsa_exception_fp_ieee_div_zero 0
		.amdhsa_exception_fp_ieee_overflow 0
		.amdhsa_exception_fp_ieee_underflow 0
		.amdhsa_exception_fp_ieee_inexact 0
		.amdhsa_exception_int_div_zero 0
	.end_amdhsa_kernel
	.section	.text._Z17sort_pairs_kernelI22helper_blocked_blockedaLj128ELj8ELj10EEvPKT0_PS1_,"axG",@progbits,_Z17sort_pairs_kernelI22helper_blocked_blockedaLj128ELj8ELj10EEvPKT0_PS1_,comdat
.Lfunc_end63:
	.size	_Z17sort_pairs_kernelI22helper_blocked_blockedaLj128ELj8ELj10EEvPKT0_PS1_, .Lfunc_end63-_Z17sort_pairs_kernelI22helper_blocked_blockedaLj128ELj8ELj10EEvPKT0_PS1_
                                        ; -- End function
	.set _Z17sort_pairs_kernelI22helper_blocked_blockedaLj128ELj8ELj10EEvPKT0_PS1_.num_vgpr, 61
	.set _Z17sort_pairs_kernelI22helper_blocked_blockedaLj128ELj8ELj10EEvPKT0_PS1_.num_agpr, 0
	.set _Z17sort_pairs_kernelI22helper_blocked_blockedaLj128ELj8ELj10EEvPKT0_PS1_.numbered_sgpr, 36
	.set _Z17sort_pairs_kernelI22helper_blocked_blockedaLj128ELj8ELj10EEvPKT0_PS1_.num_named_barrier, 0
	.set _Z17sort_pairs_kernelI22helper_blocked_blockedaLj128ELj8ELj10EEvPKT0_PS1_.private_seg_size, 0
	.set _Z17sort_pairs_kernelI22helper_blocked_blockedaLj128ELj8ELj10EEvPKT0_PS1_.uses_vcc, 1
	.set _Z17sort_pairs_kernelI22helper_blocked_blockedaLj128ELj8ELj10EEvPKT0_PS1_.uses_flat_scratch, 0
	.set _Z17sort_pairs_kernelI22helper_blocked_blockedaLj128ELj8ELj10EEvPKT0_PS1_.has_dyn_sized_stack, 0
	.set _Z17sort_pairs_kernelI22helper_blocked_blockedaLj128ELj8ELj10EEvPKT0_PS1_.has_recursion, 0
	.set _Z17sort_pairs_kernelI22helper_blocked_blockedaLj128ELj8ELj10EEvPKT0_PS1_.has_indirect_call, 0
	.section	.AMDGPU.csdata,"",@progbits
; Kernel info:
; codeLenInByte = 5028
; TotalNumSgprs: 40
; NumVgprs: 61
; ScratchSize: 0
; MemoryBound: 0
; FloatMode: 240
; IeeeMode: 1
; LDSByteSize: 2064 bytes/workgroup (compile time only)
; SGPRBlocks: 8
; VGPRBlocks: 15
; NumSGPRsForWavesPerEU: 65
; NumVGPRsForWavesPerEU: 61
; Occupancy: 4
; WaveLimiterHint : 1
; COMPUTE_PGM_RSRC2:SCRATCH_EN: 0
; COMPUTE_PGM_RSRC2:USER_SGPR: 6
; COMPUTE_PGM_RSRC2:TRAP_HANDLER: 0
; COMPUTE_PGM_RSRC2:TGID_X_EN: 1
; COMPUTE_PGM_RSRC2:TGID_Y_EN: 0
; COMPUTE_PGM_RSRC2:TGID_Z_EN: 0
; COMPUTE_PGM_RSRC2:TIDIG_COMP_CNT: 2
	.section	.text._Z16sort_keys_kernelI22helper_blocked_blockedaLj192ELj1ELj10EEvPKT0_PS1_,"axG",@progbits,_Z16sort_keys_kernelI22helper_blocked_blockedaLj192ELj1ELj10EEvPKT0_PS1_,comdat
	.protected	_Z16sort_keys_kernelI22helper_blocked_blockedaLj192ELj1ELj10EEvPKT0_PS1_ ; -- Begin function _Z16sort_keys_kernelI22helper_blocked_blockedaLj192ELj1ELj10EEvPKT0_PS1_
	.globl	_Z16sort_keys_kernelI22helper_blocked_blockedaLj192ELj1ELj10EEvPKT0_PS1_
	.p2align	8
	.type	_Z16sort_keys_kernelI22helper_blocked_blockedaLj192ELj1ELj10EEvPKT0_PS1_,@function
_Z16sort_keys_kernelI22helper_blocked_blockedaLj192ELj1ELj10EEvPKT0_PS1_: ; @_Z16sort_keys_kernelI22helper_blocked_blockedaLj192ELj1ELj10EEvPKT0_PS1_
; %bb.0:
	s_load_dwordx4 s[28:31], s[4:5], 0x0
	s_load_dword s22, s[4:5], 0x1c
	s_mul_i32 s33, s6, 0xc0
	v_mbcnt_lo_u32_b32 v5, -1, 0
	v_mbcnt_hi_u32_b32 v5, -1, v5
	s_waitcnt lgkmcnt(0)
	s_add_u32 s0, s28, s33
	s_addc_u32 s1, s29, 0
	global_load_ubyte v4, v0, s[0:1]
	s_lshr_b32 s23, s22, 16
	s_and_b32 s22, s22, 0xffff
	v_mad_u32_u24 v1, v2, s23, v1
	v_mad_u64_u32 v[1:2], s[22:23], v1, s22, v[0:1]
	v_and_b32_e32 v7, 0xc0, v0
	v_subrev_co_u32_e64 v13, s[6:7], 1, v5
	v_and_b32_e32 v14, 64, v5
	v_lshrrev_b32_e32 v8, 4, v0
	v_and_b32_e32 v10, 15, v5
	v_min_u32_e32 v12, 0x80, v7
	v_cmp_lt_i32_e64 s[18:19], v13, v14
	v_mul_u32_u24_e32 v9, 3, v0
	v_and_b32_e32 v11, 16, v5
	v_cmp_lt_u32_e64 s[4:5], 31, v5
	v_and_b32_e32 v7, 12, v8
	v_and_b32_e32 v15, 3, v5
	v_cmp_eq_u32_e64 s[8:9], 0, v10
	v_cmp_lt_u32_e64 s[10:11], 1, v10
	v_cmp_lt_u32_e64 s[12:13], 3, v10
	;; [unrolled: 1-line block ×3, first 2 shown]
	v_or_b32_e32 v10, 63, v12
	v_cndmask_b32_e64 v5, v13, v5, s[18:19]
	v_lshrrev_b32_e32 v1, 4, v1
	v_mov_b32_e32 v3, 0
	s_mov_b32 s28, 10
	v_lshlrev_b32_e32 v6, 4, v0
	v_cmp_gt_u32_e32 vcc, 3, v0
	v_cmp_lt_u32_e64 s[0:1], 63, v0
	v_cmp_eq_u32_e64 s[2:3], 0, v0
	v_add_u32_e32 v8, v0, v9
	v_cmp_eq_u32_e64 s[16:17], 0, v11
	v_cmp_eq_u32_e64 s[18:19], 0, v15
	v_cmp_lt_u32_e64 s[20:21], 1, v15
	v_add_u32_e32 v9, -4, v7
	v_cmp_eq_u32_e64 s[22:23], v0, v10
	v_lshlrev_b32_e32 v10, 2, v5
	v_and_b32_e32 v11, 0xffffffc, v1
	v_mov_b32_e32 v12, 12
	s_waitcnt vmcnt(0)
	v_xor_b32_e32 v13, 0xffffff80, v4
	s_branch .LBB64_2
.LBB64_1:                               ;   in Loop: Header=BB64_2 Depth=1
	s_or_b64 exec, exec, s[24:25]
	s_waitcnt lgkmcnt(0)
	v_add_u32_e32 v2, v16, v2
	ds_bpermute_b32 v2, v10, v2
	s_add_i32 s28, s28, -1
	s_cmp_eq_u32 s28, 0
	s_waitcnt lgkmcnt(0)
	v_cndmask_b32_e64 v2, v2, v16, s[6:7]
	v_cndmask_b32_e64 v2, v2, 0, s[2:3]
	v_add_u32_e32 v4, v2, v4
	v_add_u32_e32 v5, v4, v5
	;; [unrolled: 1-line block ×3, first 2 shown]
	ds_write2_b32 v6, v2, v4 offset0:3 offset1:4
	ds_write2_b32 v6, v5, v1 offset0:5 offset1:6
	s_waitcnt lgkmcnt(0)
	s_barrier
	ds_read_b32 v1, v15 offset:12
	s_waitcnt lgkmcnt(0)
	s_barrier
	v_add_u32_e32 v1, v1, v14
	ds_write_b8 v1, v13
	s_waitcnt lgkmcnt(0)
	s_barrier
	ds_read_u8 v13, v0
	s_cbranch_scc1 .LBB64_10
.LBB64_2:                               ; =>This Inner Loop Header: Depth=1
	s_waitcnt lgkmcnt(0)
	v_and_b32_e32 v1, 1, v13
	v_add_co_u32_e64 v2, s[24:25], -1, v1
	v_addc_co_u32_e64 v4, s[24:25], 0, -1, s[24:25]
	v_cmp_ne_u32_e64 s[24:25], 0, v1
	v_xor_b32_e32 v1, s25, v4
	v_lshlrev_b32_e32 v4, 30, v13
	v_xor_b32_e32 v2, s24, v2
	v_cmp_gt_i64_e64 s[24:25], 0, v[3:4]
	v_not_b32_e32 v4, v4
	v_ashrrev_i32_e32 v4, 31, v4
	v_and_b32_e32 v2, exec_lo, v2
	v_xor_b32_e32 v14, s25, v4
	v_xor_b32_e32 v4, s24, v4
	v_and_b32_e32 v2, v2, v4
	v_lshlrev_b32_e32 v4, 29, v13
	v_cmp_gt_i64_e64 s[24:25], 0, v[3:4]
	v_not_b32_e32 v4, v4
	v_and_b32_e32 v1, exec_hi, v1
	v_ashrrev_i32_e32 v4, 31, v4
	v_and_b32_e32 v1, v1, v14
	v_xor_b32_e32 v14, s25, v4
	v_xor_b32_e32 v4, s24, v4
	v_and_b32_e32 v2, v2, v4
	v_lshlrev_b32_e32 v4, 28, v13
	v_cmp_gt_i64_e64 s[24:25], 0, v[3:4]
	v_not_b32_e32 v4, v4
	v_ashrrev_i32_e32 v4, 31, v4
	v_and_b32_e32 v1, v1, v14
	v_xor_b32_e32 v14, s25, v4
	v_xor_b32_e32 v4, s24, v4
	v_and_b32_e32 v2, v2, v4
	v_lshlrev_b32_e32 v4, 27, v13
	v_cmp_gt_i64_e64 s[24:25], 0, v[3:4]
	v_not_b32_e32 v4, v4
	;; [unrolled: 8-line block ×4, first 2 shown]
	v_ashrrev_i32_e32 v4, 31, v4
	v_and_b32_e32 v1, v1, v14
	v_xor_b32_e32 v14, s25, v4
	v_xor_b32_e32 v4, s24, v4
	v_and_b32_e32 v1, v1, v14
	v_and_b32_e32 v14, v2, v4
	v_lshlrev_b32_e32 v4, 24, v13
	v_cmp_gt_i64_e64 s[24:25], 0, v[3:4]
	v_not_b32_e32 v2, v4
	v_ashrrev_i32_e32 v2, 31, v2
	v_xor_b32_e32 v4, s25, v2
	v_xor_b32_e32 v15, s24, v2
	v_and_b32_e32 v2, v1, v4
	v_and_b32_e32 v1, v14, v15
	v_mbcnt_lo_u32_b32 v4, v1, 0
	v_mbcnt_hi_u32_b32 v14, v2, v4
	v_cmp_ne_u64_e64 s[24:25], 0, v[1:2]
	v_mul_u32_u24_sdwa v5, v13, v12 dst_sel:DWORD dst_unused:UNUSED_PAD src0_sel:BYTE_0 src1_sel:DWORD
	v_cmp_eq_u32_e64 s[26:27], 0, v14
	s_and_b64 s[26:27], s[24:25], s[26:27]
	v_add_u32_e32 v15, v11, v5
	ds_write2_b32 v6, v3, v3 offset0:3 offset1:4
	ds_write2_b32 v6, v3, v3 offset0:5 offset1:6
	s_waitcnt lgkmcnt(0)
	s_barrier
	; wave barrier
	s_and_saveexec_b64 s[24:25], s[26:27]
; %bb.3:                                ;   in Loop: Header=BB64_2 Depth=1
	v_bcnt_u32_b32 v1, v1, 0
	v_bcnt_u32_b32 v1, v2, v1
	ds_write_b32 v15, v1 offset:12
; %bb.4:                                ;   in Loop: Header=BB64_2 Depth=1
	s_or_b64 exec, exec, s[24:25]
	; wave barrier
	s_waitcnt lgkmcnt(0)
	s_barrier
	ds_read2_b32 v[4:5], v6 offset0:3 offset1:4
	ds_read2_b32 v[1:2], v6 offset0:5 offset1:6
	s_waitcnt lgkmcnt(1)
	v_add_u32_e32 v16, v5, v4
	s_waitcnt lgkmcnt(0)
	v_add3_u32 v2, v16, v1, v2
	s_nop 1
	v_mov_b32_dpp v16, v2 row_shr:1 row_mask:0xf bank_mask:0xf
	v_cndmask_b32_e64 v16, v16, 0, s[8:9]
	v_add_u32_e32 v2, v16, v2
	s_nop 1
	v_mov_b32_dpp v16, v2 row_shr:2 row_mask:0xf bank_mask:0xf
	v_cndmask_b32_e64 v16, 0, v16, s[10:11]
	v_add_u32_e32 v2, v2, v16
	s_nop 1
	v_mov_b32_dpp v16, v2 row_shr:4 row_mask:0xf bank_mask:0xf
	v_cndmask_b32_e64 v16, 0, v16, s[12:13]
	v_add_u32_e32 v2, v2, v16
	s_nop 1
	v_mov_b32_dpp v16, v2 row_shr:8 row_mask:0xf bank_mask:0xf
	v_cndmask_b32_e64 v16, 0, v16, s[14:15]
	v_add_u32_e32 v2, v2, v16
	s_nop 1
	v_mov_b32_dpp v16, v2 row_bcast:15 row_mask:0xf bank_mask:0xf
	v_cndmask_b32_e64 v16, v16, 0, s[16:17]
	v_add_u32_e32 v2, v2, v16
	s_nop 1
	v_mov_b32_dpp v16, v2 row_bcast:31 row_mask:0xf bank_mask:0xf
	v_cndmask_b32_e64 v16, 0, v16, s[4:5]
	v_add_u32_e32 v2, v2, v16
	s_and_saveexec_b64 s[24:25], s[22:23]
; %bb.5:                                ;   in Loop: Header=BB64_2 Depth=1
	ds_write_b32 v7, v2
; %bb.6:                                ;   in Loop: Header=BB64_2 Depth=1
	s_or_b64 exec, exec, s[24:25]
	s_waitcnt lgkmcnt(0)
	s_barrier
	s_and_saveexec_b64 s[24:25], vcc
	s_cbranch_execz .LBB64_8
; %bb.7:                                ;   in Loop: Header=BB64_2 Depth=1
	ds_read_b32 v16, v8
	s_waitcnt lgkmcnt(0)
	s_nop 0
	v_mov_b32_dpp v17, v16 row_shr:1 row_mask:0xf bank_mask:0xf
	v_cndmask_b32_e64 v17, v17, 0, s[18:19]
	v_add_u32_e32 v16, v17, v16
	s_nop 1
	v_mov_b32_dpp v17, v16 row_shr:2 row_mask:0xf bank_mask:0xf
	v_cndmask_b32_e64 v17, 0, v17, s[20:21]
	v_add_u32_e32 v16, v16, v17
	ds_write_b32 v8, v16
.LBB64_8:                               ;   in Loop: Header=BB64_2 Depth=1
	s_or_b64 exec, exec, s[24:25]
	v_mov_b32_e32 v16, 0
	s_waitcnt lgkmcnt(0)
	s_barrier
	s_and_saveexec_b64 s[24:25], s[0:1]
	s_cbranch_execz .LBB64_1
; %bb.9:                                ;   in Loop: Header=BB64_2 Depth=1
	ds_read_b32 v16, v9
	s_branch .LBB64_1
.LBB64_10:
	s_add_u32 s0, s30, s33
	s_addc_u32 s1, s31, 0
	v_mov_b32_e32 v1, s1
	v_add_co_u32_e32 v0, vcc, s0, v0
	s_waitcnt lgkmcnt(0)
	v_xor_b32_e32 v2, 0x80, v13
	v_addc_co_u32_e32 v1, vcc, 0, v1, vcc
	global_store_byte v[0:1], v2, off
	s_endpgm
	.section	.rodata,"a",@progbits
	.p2align	6, 0x0
	.amdhsa_kernel _Z16sort_keys_kernelI22helper_blocked_blockedaLj192ELj1ELj10EEvPKT0_PS1_
		.amdhsa_group_segment_fixed_size 3088
		.amdhsa_private_segment_fixed_size 0
		.amdhsa_kernarg_size 272
		.amdhsa_user_sgpr_count 6
		.amdhsa_user_sgpr_private_segment_buffer 1
		.amdhsa_user_sgpr_dispatch_ptr 0
		.amdhsa_user_sgpr_queue_ptr 0
		.amdhsa_user_sgpr_kernarg_segment_ptr 1
		.amdhsa_user_sgpr_dispatch_id 0
		.amdhsa_user_sgpr_flat_scratch_init 0
		.amdhsa_user_sgpr_private_segment_size 0
		.amdhsa_uses_dynamic_stack 0
		.amdhsa_system_sgpr_private_segment_wavefront_offset 0
		.amdhsa_system_sgpr_workgroup_id_x 1
		.amdhsa_system_sgpr_workgroup_id_y 0
		.amdhsa_system_sgpr_workgroup_id_z 0
		.amdhsa_system_sgpr_workgroup_info 0
		.amdhsa_system_vgpr_workitem_id 2
		.amdhsa_next_free_vgpr 18
		.amdhsa_next_free_sgpr 34
		.amdhsa_reserve_vcc 1
		.amdhsa_reserve_flat_scratch 0
		.amdhsa_float_round_mode_32 0
		.amdhsa_float_round_mode_16_64 0
		.amdhsa_float_denorm_mode_32 3
		.amdhsa_float_denorm_mode_16_64 3
		.amdhsa_dx10_clamp 1
		.amdhsa_ieee_mode 1
		.amdhsa_fp16_overflow 0
		.amdhsa_exception_fp_ieee_invalid_op 0
		.amdhsa_exception_fp_denorm_src 0
		.amdhsa_exception_fp_ieee_div_zero 0
		.amdhsa_exception_fp_ieee_overflow 0
		.amdhsa_exception_fp_ieee_underflow 0
		.amdhsa_exception_fp_ieee_inexact 0
		.amdhsa_exception_int_div_zero 0
	.end_amdhsa_kernel
	.section	.text._Z16sort_keys_kernelI22helper_blocked_blockedaLj192ELj1ELj10EEvPKT0_PS1_,"axG",@progbits,_Z16sort_keys_kernelI22helper_blocked_blockedaLj192ELj1ELj10EEvPKT0_PS1_,comdat
.Lfunc_end64:
	.size	_Z16sort_keys_kernelI22helper_blocked_blockedaLj192ELj1ELj10EEvPKT0_PS1_, .Lfunc_end64-_Z16sort_keys_kernelI22helper_blocked_blockedaLj192ELj1ELj10EEvPKT0_PS1_
                                        ; -- End function
	.set _Z16sort_keys_kernelI22helper_blocked_blockedaLj192ELj1ELj10EEvPKT0_PS1_.num_vgpr, 18
	.set _Z16sort_keys_kernelI22helper_blocked_blockedaLj192ELj1ELj10EEvPKT0_PS1_.num_agpr, 0
	.set _Z16sort_keys_kernelI22helper_blocked_blockedaLj192ELj1ELj10EEvPKT0_PS1_.numbered_sgpr, 34
	.set _Z16sort_keys_kernelI22helper_blocked_blockedaLj192ELj1ELj10EEvPKT0_PS1_.num_named_barrier, 0
	.set _Z16sort_keys_kernelI22helper_blocked_blockedaLj192ELj1ELj10EEvPKT0_PS1_.private_seg_size, 0
	.set _Z16sort_keys_kernelI22helper_blocked_blockedaLj192ELj1ELj10EEvPKT0_PS1_.uses_vcc, 1
	.set _Z16sort_keys_kernelI22helper_blocked_blockedaLj192ELj1ELj10EEvPKT0_PS1_.uses_flat_scratch, 0
	.set _Z16sort_keys_kernelI22helper_blocked_blockedaLj192ELj1ELj10EEvPKT0_PS1_.has_dyn_sized_stack, 0
	.set _Z16sort_keys_kernelI22helper_blocked_blockedaLj192ELj1ELj10EEvPKT0_PS1_.has_recursion, 0
	.set _Z16sort_keys_kernelI22helper_blocked_blockedaLj192ELj1ELj10EEvPKT0_PS1_.has_indirect_call, 0
	.section	.AMDGPU.csdata,"",@progbits
; Kernel info:
; codeLenInByte = 1212
; TotalNumSgprs: 38
; NumVgprs: 18
; ScratchSize: 0
; MemoryBound: 0
; FloatMode: 240
; IeeeMode: 1
; LDSByteSize: 3088 bytes/workgroup (compile time only)
; SGPRBlocks: 4
; VGPRBlocks: 4
; NumSGPRsForWavesPerEU: 38
; NumVGPRsForWavesPerEU: 18
; Occupancy: 10
; WaveLimiterHint : 0
; COMPUTE_PGM_RSRC2:SCRATCH_EN: 0
; COMPUTE_PGM_RSRC2:USER_SGPR: 6
; COMPUTE_PGM_RSRC2:TRAP_HANDLER: 0
; COMPUTE_PGM_RSRC2:TGID_X_EN: 1
; COMPUTE_PGM_RSRC2:TGID_Y_EN: 0
; COMPUTE_PGM_RSRC2:TGID_Z_EN: 0
; COMPUTE_PGM_RSRC2:TIDIG_COMP_CNT: 2
	.section	.text._Z17sort_pairs_kernelI22helper_blocked_blockedaLj192ELj1ELj10EEvPKT0_PS1_,"axG",@progbits,_Z17sort_pairs_kernelI22helper_blocked_blockedaLj192ELj1ELj10EEvPKT0_PS1_,comdat
	.protected	_Z17sort_pairs_kernelI22helper_blocked_blockedaLj192ELj1ELj10EEvPKT0_PS1_ ; -- Begin function _Z17sort_pairs_kernelI22helper_blocked_blockedaLj192ELj1ELj10EEvPKT0_PS1_
	.globl	_Z17sort_pairs_kernelI22helper_blocked_blockedaLj192ELj1ELj10EEvPKT0_PS1_
	.p2align	8
	.type	_Z17sort_pairs_kernelI22helper_blocked_blockedaLj192ELj1ELj10EEvPKT0_PS1_,@function
_Z17sort_pairs_kernelI22helper_blocked_blockedaLj192ELj1ELj10EEvPKT0_PS1_: ; @_Z17sort_pairs_kernelI22helper_blocked_blockedaLj192ELj1ELj10EEvPKT0_PS1_
; %bb.0:
	s_load_dwordx4 s[28:31], s[4:5], 0x0
	s_load_dword s22, s[4:5], 0x1c
	s_mul_i32 s33, s6, 0xc0
	v_mbcnt_lo_u32_b32 v5, -1, 0
	v_mbcnt_hi_u32_b32 v5, -1, v5
	s_waitcnt lgkmcnt(0)
	s_add_u32 s0, s28, s33
	s_addc_u32 s1, s29, 0
	global_load_ubyte v4, v0, s[0:1]
	s_lshr_b32 s23, s22, 16
	s_and_b32 s22, s22, 0xffff
	v_mad_u32_u24 v1, v2, s23, v1
	v_mad_u64_u32 v[1:2], s[22:23], v1, s22, v[0:1]
	v_and_b32_e32 v7, 0xc0, v0
	v_subrev_co_u32_e64 v13, s[6:7], 1, v5
	v_and_b32_e32 v14, 64, v5
	v_lshrrev_b32_e32 v8, 4, v0
	v_and_b32_e32 v10, 15, v5
	v_min_u32_e32 v12, 0x80, v7
	v_cmp_lt_i32_e64 s[18:19], v13, v14
	v_mul_u32_u24_e32 v9, 3, v0
	v_and_b32_e32 v11, 16, v5
	v_cmp_lt_u32_e64 s[4:5], 31, v5
	v_and_b32_e32 v7, 12, v8
	v_and_b32_e32 v15, 3, v5
	v_cmp_eq_u32_e64 s[8:9], 0, v10
	v_cmp_lt_u32_e64 s[10:11], 1, v10
	v_cmp_lt_u32_e64 s[12:13], 3, v10
	;; [unrolled: 1-line block ×3, first 2 shown]
	v_or_b32_e32 v10, 63, v12
	v_cndmask_b32_e64 v5, v13, v5, s[18:19]
	v_lshrrev_b32_e32 v1, 4, v1
	v_mov_b32_e32 v3, 0
	s_mov_b32 s28, 10
	v_lshlrev_b32_e32 v6, 4, v0
	v_cmp_gt_u32_e32 vcc, 3, v0
	v_cmp_lt_u32_e64 s[0:1], 63, v0
	v_cmp_eq_u32_e64 s[2:3], 0, v0
	v_add_u32_e32 v8, v0, v9
	v_cmp_eq_u32_e64 s[16:17], 0, v11
	v_cmp_eq_u32_e64 s[18:19], 0, v15
	v_cmp_lt_u32_e64 s[20:21], 1, v15
	v_add_u32_e32 v9, -4, v7
	v_cmp_eq_u32_e64 s[22:23], v0, v10
	v_lshlrev_b32_e32 v10, 2, v5
	v_and_b32_e32 v11, 0xffffffc, v1
	v_mov_b32_e32 v12, 12
	s_waitcnt vmcnt(0)
	v_add_u16_e32 v13, 1, v4
	v_xor_b32_e32 v14, 0xffffff80, v4
	s_branch .LBB65_2
.LBB65_1:                               ;   in Loop: Header=BB65_2 Depth=1
	s_or_b64 exec, exec, s[24:25]
	s_waitcnt lgkmcnt(0)
	v_add_u32_e32 v2, v17, v2
	ds_bpermute_b32 v2, v10, v2
	s_add_i32 s28, s28, -1
	s_cmp_eq_u32 s28, 0
	s_waitcnt lgkmcnt(0)
	v_cndmask_b32_e64 v2, v2, v17, s[6:7]
	v_cndmask_b32_e64 v2, v2, 0, s[2:3]
	v_add_u32_e32 v4, v2, v4
	v_add_u32_e32 v5, v4, v5
	;; [unrolled: 1-line block ×3, first 2 shown]
	ds_write2_b32 v6, v2, v4 offset0:3 offset1:4
	ds_write2_b32 v6, v5, v1 offset0:5 offset1:6
	s_waitcnt lgkmcnt(0)
	s_barrier
	ds_read_b32 v1, v16 offset:12
	s_waitcnt lgkmcnt(0)
	s_barrier
	v_add_u32_e32 v1, v1, v15
	ds_write_b8 v1, v14
	s_waitcnt lgkmcnt(0)
	s_barrier
	ds_read_u8 v14, v0
	s_waitcnt lgkmcnt(0)
	s_barrier
	ds_write_b8 v1, v13
	s_waitcnt lgkmcnt(0)
	s_barrier
	ds_read_u8 v13, v0
	s_cbranch_scc1 .LBB65_10
.LBB65_2:                               ; =>This Inner Loop Header: Depth=1
	v_and_b32_e32 v1, 1, v14
	v_add_co_u32_e64 v2, s[24:25], -1, v1
	v_addc_co_u32_e64 v4, s[24:25], 0, -1, s[24:25]
	v_cmp_ne_u32_e64 s[24:25], 0, v1
	v_xor_b32_e32 v1, s25, v4
	v_lshlrev_b32_e32 v4, 30, v14
	v_xor_b32_e32 v2, s24, v2
	v_cmp_gt_i64_e64 s[24:25], 0, v[3:4]
	v_not_b32_e32 v4, v4
	v_ashrrev_i32_e32 v4, 31, v4
	v_and_b32_e32 v2, exec_lo, v2
	v_xor_b32_e32 v15, s25, v4
	v_xor_b32_e32 v4, s24, v4
	v_and_b32_e32 v2, v2, v4
	v_lshlrev_b32_e32 v4, 29, v14
	v_cmp_gt_i64_e64 s[24:25], 0, v[3:4]
	v_not_b32_e32 v4, v4
	v_and_b32_e32 v1, exec_hi, v1
	v_ashrrev_i32_e32 v4, 31, v4
	v_and_b32_e32 v1, v1, v15
	v_xor_b32_e32 v15, s25, v4
	v_xor_b32_e32 v4, s24, v4
	v_and_b32_e32 v2, v2, v4
	v_lshlrev_b32_e32 v4, 28, v14
	v_cmp_gt_i64_e64 s[24:25], 0, v[3:4]
	v_not_b32_e32 v4, v4
	v_ashrrev_i32_e32 v4, 31, v4
	v_and_b32_e32 v1, v1, v15
	v_xor_b32_e32 v15, s25, v4
	v_xor_b32_e32 v4, s24, v4
	v_and_b32_e32 v2, v2, v4
	v_lshlrev_b32_e32 v4, 27, v14
	v_cmp_gt_i64_e64 s[24:25], 0, v[3:4]
	v_not_b32_e32 v4, v4
	;; [unrolled: 8-line block ×4, first 2 shown]
	v_ashrrev_i32_e32 v4, 31, v4
	v_and_b32_e32 v1, v1, v15
	v_xor_b32_e32 v15, s25, v4
	v_xor_b32_e32 v4, s24, v4
	v_and_b32_e32 v1, v1, v15
	v_and_b32_e32 v15, v2, v4
	v_lshlrev_b32_e32 v4, 24, v14
	v_cmp_gt_i64_e64 s[24:25], 0, v[3:4]
	v_not_b32_e32 v2, v4
	v_ashrrev_i32_e32 v2, 31, v2
	v_xor_b32_e32 v4, s25, v2
	v_xor_b32_e32 v16, s24, v2
	v_and_b32_e32 v2, v1, v4
	v_and_b32_e32 v1, v15, v16
	v_mbcnt_lo_u32_b32 v4, v1, 0
	v_mbcnt_hi_u32_b32 v15, v2, v4
	v_cmp_ne_u64_e64 s[24:25], 0, v[1:2]
	v_mul_u32_u24_sdwa v5, v14, v12 dst_sel:DWORD dst_unused:UNUSED_PAD src0_sel:BYTE_0 src1_sel:DWORD
	v_cmp_eq_u32_e64 s[26:27], 0, v15
	s_and_b64 s[26:27], s[24:25], s[26:27]
	v_add_u32_e32 v16, v11, v5
	ds_write2_b32 v6, v3, v3 offset0:3 offset1:4
	ds_write2_b32 v6, v3, v3 offset0:5 offset1:6
	s_waitcnt lgkmcnt(0)
	s_barrier
	; wave barrier
	s_and_saveexec_b64 s[24:25], s[26:27]
; %bb.3:                                ;   in Loop: Header=BB65_2 Depth=1
	v_bcnt_u32_b32 v1, v1, 0
	v_bcnt_u32_b32 v1, v2, v1
	ds_write_b32 v16, v1 offset:12
; %bb.4:                                ;   in Loop: Header=BB65_2 Depth=1
	s_or_b64 exec, exec, s[24:25]
	; wave barrier
	s_waitcnt lgkmcnt(0)
	s_barrier
	ds_read2_b32 v[4:5], v6 offset0:3 offset1:4
	ds_read2_b32 v[1:2], v6 offset0:5 offset1:6
	s_waitcnt lgkmcnt(1)
	v_add_u32_e32 v17, v5, v4
	s_waitcnt lgkmcnt(0)
	v_add3_u32 v2, v17, v1, v2
	s_nop 1
	v_mov_b32_dpp v17, v2 row_shr:1 row_mask:0xf bank_mask:0xf
	v_cndmask_b32_e64 v17, v17, 0, s[8:9]
	v_add_u32_e32 v2, v17, v2
	s_nop 1
	v_mov_b32_dpp v17, v2 row_shr:2 row_mask:0xf bank_mask:0xf
	v_cndmask_b32_e64 v17, 0, v17, s[10:11]
	v_add_u32_e32 v2, v2, v17
	;; [unrolled: 4-line block ×4, first 2 shown]
	s_nop 1
	v_mov_b32_dpp v17, v2 row_bcast:15 row_mask:0xf bank_mask:0xf
	v_cndmask_b32_e64 v17, v17, 0, s[16:17]
	v_add_u32_e32 v2, v2, v17
	s_nop 1
	v_mov_b32_dpp v17, v2 row_bcast:31 row_mask:0xf bank_mask:0xf
	v_cndmask_b32_e64 v17, 0, v17, s[4:5]
	v_add_u32_e32 v2, v2, v17
	s_and_saveexec_b64 s[24:25], s[22:23]
; %bb.5:                                ;   in Loop: Header=BB65_2 Depth=1
	ds_write_b32 v7, v2
; %bb.6:                                ;   in Loop: Header=BB65_2 Depth=1
	s_or_b64 exec, exec, s[24:25]
	s_waitcnt lgkmcnt(0)
	s_barrier
	s_and_saveexec_b64 s[24:25], vcc
	s_cbranch_execz .LBB65_8
; %bb.7:                                ;   in Loop: Header=BB65_2 Depth=1
	ds_read_b32 v17, v8
	s_waitcnt lgkmcnt(0)
	s_nop 0
	v_mov_b32_dpp v18, v17 row_shr:1 row_mask:0xf bank_mask:0xf
	v_cndmask_b32_e64 v18, v18, 0, s[18:19]
	v_add_u32_e32 v17, v18, v17
	s_nop 1
	v_mov_b32_dpp v18, v17 row_shr:2 row_mask:0xf bank_mask:0xf
	v_cndmask_b32_e64 v18, 0, v18, s[20:21]
	v_add_u32_e32 v17, v17, v18
	ds_write_b32 v8, v17
.LBB65_8:                               ;   in Loop: Header=BB65_2 Depth=1
	s_or_b64 exec, exec, s[24:25]
	v_mov_b32_e32 v17, 0
	s_waitcnt lgkmcnt(0)
	s_barrier
	s_and_saveexec_b64 s[24:25], s[0:1]
	s_cbranch_execz .LBB65_1
; %bb.9:                                ;   in Loop: Header=BB65_2 Depth=1
	ds_read_b32 v17, v9
	s_branch .LBB65_1
.LBB65_10:
	s_add_u32 s0, s30, s33
	s_waitcnt lgkmcnt(0)
	v_add_u16_e32 v1, v13, v14
	s_addc_u32 s1, s31, 0
	v_add_u16_e32 v2, 0xff80, v1
	v_mov_b32_e32 v1, s1
	v_add_co_u32_e32 v0, vcc, s0, v0
	v_addc_co_u32_e32 v1, vcc, 0, v1, vcc
	global_store_byte v[0:1], v2, off
	s_endpgm
	.section	.rodata,"a",@progbits
	.p2align	6, 0x0
	.amdhsa_kernel _Z17sort_pairs_kernelI22helper_blocked_blockedaLj192ELj1ELj10EEvPKT0_PS1_
		.amdhsa_group_segment_fixed_size 3088
		.amdhsa_private_segment_fixed_size 0
		.amdhsa_kernarg_size 272
		.amdhsa_user_sgpr_count 6
		.amdhsa_user_sgpr_private_segment_buffer 1
		.amdhsa_user_sgpr_dispatch_ptr 0
		.amdhsa_user_sgpr_queue_ptr 0
		.amdhsa_user_sgpr_kernarg_segment_ptr 1
		.amdhsa_user_sgpr_dispatch_id 0
		.amdhsa_user_sgpr_flat_scratch_init 0
		.amdhsa_user_sgpr_private_segment_size 0
		.amdhsa_uses_dynamic_stack 0
		.amdhsa_system_sgpr_private_segment_wavefront_offset 0
		.amdhsa_system_sgpr_workgroup_id_x 1
		.amdhsa_system_sgpr_workgroup_id_y 0
		.amdhsa_system_sgpr_workgroup_id_z 0
		.amdhsa_system_sgpr_workgroup_info 0
		.amdhsa_system_vgpr_workitem_id 2
		.amdhsa_next_free_vgpr 19
		.amdhsa_next_free_sgpr 34
		.amdhsa_reserve_vcc 1
		.amdhsa_reserve_flat_scratch 0
		.amdhsa_float_round_mode_32 0
		.amdhsa_float_round_mode_16_64 0
		.amdhsa_float_denorm_mode_32 3
		.amdhsa_float_denorm_mode_16_64 3
		.amdhsa_dx10_clamp 1
		.amdhsa_ieee_mode 1
		.amdhsa_fp16_overflow 0
		.amdhsa_exception_fp_ieee_invalid_op 0
		.amdhsa_exception_fp_denorm_src 0
		.amdhsa_exception_fp_ieee_div_zero 0
		.amdhsa_exception_fp_ieee_overflow 0
		.amdhsa_exception_fp_ieee_underflow 0
		.amdhsa_exception_fp_ieee_inexact 0
		.amdhsa_exception_int_div_zero 0
	.end_amdhsa_kernel
	.section	.text._Z17sort_pairs_kernelI22helper_blocked_blockedaLj192ELj1ELj10EEvPKT0_PS1_,"axG",@progbits,_Z17sort_pairs_kernelI22helper_blocked_blockedaLj192ELj1ELj10EEvPKT0_PS1_,comdat
.Lfunc_end65:
	.size	_Z17sort_pairs_kernelI22helper_blocked_blockedaLj192ELj1ELj10EEvPKT0_PS1_, .Lfunc_end65-_Z17sort_pairs_kernelI22helper_blocked_blockedaLj192ELj1ELj10EEvPKT0_PS1_
                                        ; -- End function
	.set _Z17sort_pairs_kernelI22helper_blocked_blockedaLj192ELj1ELj10EEvPKT0_PS1_.num_vgpr, 19
	.set _Z17sort_pairs_kernelI22helper_blocked_blockedaLj192ELj1ELj10EEvPKT0_PS1_.num_agpr, 0
	.set _Z17sort_pairs_kernelI22helper_blocked_blockedaLj192ELj1ELj10EEvPKT0_PS1_.numbered_sgpr, 34
	.set _Z17sort_pairs_kernelI22helper_blocked_blockedaLj192ELj1ELj10EEvPKT0_PS1_.num_named_barrier, 0
	.set _Z17sort_pairs_kernelI22helper_blocked_blockedaLj192ELj1ELj10EEvPKT0_PS1_.private_seg_size, 0
	.set _Z17sort_pairs_kernelI22helper_blocked_blockedaLj192ELj1ELj10EEvPKT0_PS1_.uses_vcc, 1
	.set _Z17sort_pairs_kernelI22helper_blocked_blockedaLj192ELj1ELj10EEvPKT0_PS1_.uses_flat_scratch, 0
	.set _Z17sort_pairs_kernelI22helper_blocked_blockedaLj192ELj1ELj10EEvPKT0_PS1_.has_dyn_sized_stack, 0
	.set _Z17sort_pairs_kernelI22helper_blocked_blockedaLj192ELj1ELj10EEvPKT0_PS1_.has_recursion, 0
	.set _Z17sort_pairs_kernelI22helper_blocked_blockedaLj192ELj1ELj10EEvPKT0_PS1_.has_indirect_call, 0
	.section	.AMDGPU.csdata,"",@progbits
; Kernel info:
; codeLenInByte = 1248
; TotalNumSgprs: 38
; NumVgprs: 19
; ScratchSize: 0
; MemoryBound: 0
; FloatMode: 240
; IeeeMode: 1
; LDSByteSize: 3088 bytes/workgroup (compile time only)
; SGPRBlocks: 4
; VGPRBlocks: 4
; NumSGPRsForWavesPerEU: 38
; NumVGPRsForWavesPerEU: 19
; Occupancy: 10
; WaveLimiterHint : 0
; COMPUTE_PGM_RSRC2:SCRATCH_EN: 0
; COMPUTE_PGM_RSRC2:USER_SGPR: 6
; COMPUTE_PGM_RSRC2:TRAP_HANDLER: 0
; COMPUTE_PGM_RSRC2:TGID_X_EN: 1
; COMPUTE_PGM_RSRC2:TGID_Y_EN: 0
; COMPUTE_PGM_RSRC2:TGID_Z_EN: 0
; COMPUTE_PGM_RSRC2:TIDIG_COMP_CNT: 2
	.section	.text._Z16sort_keys_kernelI22helper_blocked_blockedaLj192ELj3ELj10EEvPKT0_PS1_,"axG",@progbits,_Z16sort_keys_kernelI22helper_blocked_blockedaLj192ELj3ELj10EEvPKT0_PS1_,comdat
	.protected	_Z16sort_keys_kernelI22helper_blocked_blockedaLj192ELj3ELj10EEvPKT0_PS1_ ; -- Begin function _Z16sort_keys_kernelI22helper_blocked_blockedaLj192ELj3ELj10EEvPKT0_PS1_
	.globl	_Z16sort_keys_kernelI22helper_blocked_blockedaLj192ELj3ELj10EEvPKT0_PS1_
	.p2align	8
	.type	_Z16sort_keys_kernelI22helper_blocked_blockedaLj192ELj3ELj10EEvPKT0_PS1_,@function
_Z16sort_keys_kernelI22helper_blocked_blockedaLj192ELj3ELj10EEvPKT0_PS1_: ; @_Z16sort_keys_kernelI22helper_blocked_blockedaLj192ELj3ELj10EEvPKT0_PS1_
; %bb.0:
	s_load_dwordx4 s[28:31], s[4:5], 0x0
	s_load_dword s2, s[4:5], 0x1c
	s_mul_i32 s33, s6, 0x240
	v_mbcnt_lo_u32_b32 v6, -1, 0
	v_mbcnt_hi_u32_b32 v12, -1, v6
	s_waitcnt lgkmcnt(0)
	s_add_u32 s0, s28, s33
	s_addc_u32 s1, s29, 0
	global_load_ubyte v13, v0, s[0:1] offset:384
	global_load_ubyte v5, v0, s[0:1] offset:192
	global_load_ubyte v4, v0, s[0:1]
	s_lshr_b32 s0, s2, 16
	s_and_b32 s1, s2, 0xffff
	v_mad_u32_u24 v1, v2, s0, v1
	v_mad_u64_u32 v[1:2], s[0:1], v1, s1, v[0:1]
	v_and_b32_e32 v8, 64, v12
	v_lshrrev_b32_e32 v10, 6, v0
	v_lshrrev_b32_e32 v1, 4, v1
	v_and_b32_e32 v7, 0xffffffc, v1
	v_and_b32_e32 v1, 15, v12
	v_cmp_eq_u32_e32 vcc, 0, v1
	v_cmp_lt_u32_e64 s[0:1], 1, v1
	v_cmp_lt_u32_e64 s[2:3], 3, v1
	;; [unrolled: 1-line block ×3, first 2 shown]
	v_and_b32_e32 v1, 16, v12
	v_cmp_eq_u32_e64 s[6:7], 0, v1
	v_and_b32_e32 v1, 0xc0, v0
	v_min_u32_e32 v1, 0x80, v1
	v_or_b32_e32 v1, 63, v1
	v_cmp_eq_u32_e64 s[10:11], v0, v1
	v_subrev_co_u32_e64 v1, s[16:17], 1, v12
	v_cmp_lt_i32_e64 s[18:19], v1, v8
	v_cndmask_b32_e64 v1, v1, v12, s[18:19]
	v_mul_u32_u24_e32 v2, 0xc0, v10
	v_mul_u32_u24_e32 v11, 3, v12
	v_lshlrev_b32_e32 v6, 4, v0
	v_lshlrev_b32_e32 v8, 2, v1
	v_and_b32_e32 v1, 3, v12
	v_mov_b32_e32 v3, 0
	v_cmp_lt_u32_e64 s[8:9], 31, v12
	v_cmp_gt_u32_e64 s[12:13], 3, v0
	v_cmp_lt_u32_e64 s[14:15], 63, v0
	v_cmp_eq_u32_e64 s[18:19], 0, v0
	v_mad_i32_i24 v9, v0, -13, v6
	v_lshlrev_b32_e32 v10, 2, v10
	v_cmp_eq_u32_e64 s[20:21], 0, v1
	v_cmp_lt_u32_e64 s[22:23], 1, v1
	s_mov_b32 s28, 10
	v_add_u32_e32 v11, v11, v2
	v_add_u32_e32 v12, v12, v2
	s_branch .LBB66_2
.LBB66_1:                               ;   in Loop: Header=BB66_2 Depth=1
	s_or_b64 exec, exec, s[24:25]
	s_waitcnt lgkmcnt(0)
	v_add_u32_e32 v2, v24, v2
	ds_bpermute_b32 v2, v8, v2
	s_add_i32 s28, s28, -1
	s_cmp_eq_u32 s28, 0
	s_waitcnt lgkmcnt(0)
	v_cndmask_b32_e64 v2, v2, v24, s[16:17]
	v_cndmask_b32_e64 v2, v2, 0, s[18:19]
	v_add_u32_e32 v4, v2, v4
	v_add_u32_e32 v5, v4, v5
	;; [unrolled: 1-line block ×3, first 2 shown]
	ds_write2_b32 v6, v2, v4 offset0:3 offset1:4
	ds_write2_b32 v6, v5, v1 offset0:5 offset1:6
	s_waitcnt lgkmcnt(0)
	s_barrier
	ds_read_b32 v1, v17 offset:12
	ds_read_b32 v2, v20 offset:12
	;; [unrolled: 1-line block ×3, first 2 shown]
	s_waitcnt lgkmcnt(0)
	s_barrier
	v_add_u32_e32 v1, v1, v16
	ds_write_b8 v1, v15
	v_add3_u32 v1, v19, v18, v2
	ds_write_b8 v1, v14
	v_add3_u32 v1, v22, v21, v4
	ds_write_b8 v1, v13
	s_waitcnt lgkmcnt(0)
	s_barrier
	ds_read_u8 v1, v9
	ds_read_u16 v2, v9 offset:1
	s_waitcnt lgkmcnt(1)
	v_xor_b32_e32 v4, 0xffffff80, v1
	s_waitcnt lgkmcnt(0)
	v_and_b32_e32 v1, 0xffffff00, v2
	v_xor_b32_e32 v1, 0xffff8000, v1
	v_xor_b32_e32 v2, 0x80, v2
	v_or_b32_sdwa v5, v2, v1 dst_sel:DWORD dst_unused:UNUSED_PAD src0_sel:BYTE_0 src1_sel:DWORD
	v_lshrrev_b16_e32 v13, 8, v1
	s_cbranch_scc1 .LBB66_14
.LBB66_2:                               ; =>This Inner Loop Header: Depth=1
	s_waitcnt vmcnt(0)
	v_xor_b32_e32 v1, 0x80, v4
	v_xor_b32_e32 v2, 0x80, v5
	;; [unrolled: 1-line block ×3, first 2 shown]
	ds_write_b8 v11, v1
	ds_write_b8 v11, v2 offset:1
	ds_write_b8 v11, v4 offset:2
	; wave barrier
	ds_read_u8 v15, v12
	ds_read_u8 v14, v12 offset:64
	ds_read_u8 v13, v12 offset:128
	v_mov_b32_e32 v1, 12
	s_waitcnt lgkmcnt(2)
	v_mul_u32_u24_sdwa v5, v15, v1 dst_sel:DWORD dst_unused:UNUSED_PAD src0_sel:BYTE_0 src1_sel:DWORD
	v_and_b32_e32 v1, 1, v15
	v_add_co_u32_e64 v2, s[24:25], -1, v1
	v_addc_co_u32_e64 v4, s[24:25], 0, -1, s[24:25]
	v_cmp_ne_u32_e64 s[24:25], 0, v1
	v_xor_b32_e32 v1, s25, v4
	v_lshlrev_b32_e32 v4, 30, v15
	v_xor_b32_e32 v2, s24, v2
	v_cmp_gt_i64_e64 s[24:25], 0, v[3:4]
	v_not_b32_e32 v4, v4
	v_ashrrev_i32_e32 v4, 31, v4
	v_and_b32_e32 v2, exec_lo, v2
	v_xor_b32_e32 v16, s25, v4
	v_xor_b32_e32 v4, s24, v4
	v_and_b32_e32 v2, v2, v4
	v_lshlrev_b32_e32 v4, 29, v15
	v_cmp_gt_i64_e64 s[24:25], 0, v[3:4]
	v_not_b32_e32 v4, v4
	v_and_b32_e32 v1, exec_hi, v1
	v_ashrrev_i32_e32 v4, 31, v4
	v_and_b32_e32 v1, v1, v16
	v_xor_b32_e32 v16, s25, v4
	v_xor_b32_e32 v4, s24, v4
	v_and_b32_e32 v2, v2, v4
	v_lshlrev_b32_e32 v4, 28, v15
	v_cmp_gt_i64_e64 s[24:25], 0, v[3:4]
	v_not_b32_e32 v4, v4
	v_ashrrev_i32_e32 v4, 31, v4
	v_and_b32_e32 v1, v1, v16
	v_xor_b32_e32 v16, s25, v4
	v_xor_b32_e32 v4, s24, v4
	v_and_b32_e32 v2, v2, v4
	v_lshlrev_b32_e32 v4, 27, v15
	v_cmp_gt_i64_e64 s[24:25], 0, v[3:4]
	v_not_b32_e32 v4, v4
	;; [unrolled: 8-line block ×4, first 2 shown]
	v_ashrrev_i32_e32 v4, 31, v4
	v_and_b32_e32 v1, v1, v16
	v_xor_b32_e32 v16, s25, v4
	v_xor_b32_e32 v4, s24, v4
	v_and_b32_e32 v1, v1, v16
	v_and_b32_e32 v16, v2, v4
	v_lshlrev_b32_e32 v4, 24, v15
	v_cmp_gt_i64_e64 s[24:25], 0, v[3:4]
	v_not_b32_e32 v2, v4
	v_ashrrev_i32_e32 v2, 31, v2
	v_xor_b32_e32 v4, s25, v2
	v_xor_b32_e32 v17, s24, v2
	v_and_b32_e32 v2, v1, v4
	v_and_b32_e32 v1, v16, v17
	v_mbcnt_lo_u32_b32 v4, v1, 0
	v_mbcnt_hi_u32_b32 v16, v2, v4
	v_cmp_ne_u64_e64 s[24:25], 0, v[1:2]
	v_cmp_eq_u32_e64 s[26:27], 0, v16
	s_and_b64 s[26:27], s[24:25], s[26:27]
	v_add_u32_e32 v17, v7, v5
	; wave barrier
	; wave barrier
	s_waitcnt lgkmcnt(0)
	s_barrier
	ds_write2_b32 v6, v3, v3 offset0:3 offset1:4
	ds_write2_b32 v6, v3, v3 offset0:5 offset1:6
	s_waitcnt lgkmcnt(0)
	s_barrier
	; wave barrier
	s_and_saveexec_b64 s[24:25], s[26:27]
; %bb.3:                                ;   in Loop: Header=BB66_2 Depth=1
	v_bcnt_u32_b32 v1, v1, 0
	v_bcnt_u32_b32 v1, v2, v1
	ds_write_b32 v17, v1 offset:12
; %bb.4:                                ;   in Loop: Header=BB66_2 Depth=1
	s_or_b64 exec, exec, s[24:25]
	v_and_b32_e32 v1, 0xff, v14
	v_mul_u32_u24_e32 v5, 12, v1
	v_mad_u32_u24 v1, v1, 12, v7
	; wave barrier
	ds_read_b32 v18, v1 offset:12
	v_and_b32_e32 v1, 1, v14
	v_add_co_u32_e64 v2, s[24:25], -1, v1
	v_addc_co_u32_e64 v4, s[24:25], 0, -1, s[24:25]
	v_cmp_ne_u32_e64 s[24:25], 0, v1
	v_xor_b32_e32 v1, s25, v4
	v_lshlrev_b32_e32 v4, 30, v14
	v_xor_b32_e32 v2, s24, v2
	v_cmp_gt_i64_e64 s[24:25], 0, v[3:4]
	v_not_b32_e32 v4, v4
	v_ashrrev_i32_e32 v4, 31, v4
	v_and_b32_e32 v2, exec_lo, v2
	v_xor_b32_e32 v19, s25, v4
	v_xor_b32_e32 v4, s24, v4
	v_and_b32_e32 v2, v2, v4
	v_lshlrev_b32_e32 v4, 29, v14
	v_cmp_gt_i64_e64 s[24:25], 0, v[3:4]
	v_not_b32_e32 v4, v4
	v_and_b32_e32 v1, exec_hi, v1
	v_ashrrev_i32_e32 v4, 31, v4
	v_and_b32_e32 v1, v1, v19
	v_xor_b32_e32 v19, s25, v4
	v_xor_b32_e32 v4, s24, v4
	v_and_b32_e32 v2, v2, v4
	v_lshlrev_b32_e32 v4, 28, v14
	v_cmp_gt_i64_e64 s[24:25], 0, v[3:4]
	v_not_b32_e32 v4, v4
	v_ashrrev_i32_e32 v4, 31, v4
	v_and_b32_e32 v1, v1, v19
	v_xor_b32_e32 v19, s25, v4
	v_xor_b32_e32 v4, s24, v4
	v_and_b32_e32 v2, v2, v4
	v_lshlrev_b32_e32 v4, 27, v14
	v_cmp_gt_i64_e64 s[24:25], 0, v[3:4]
	v_not_b32_e32 v4, v4
	;; [unrolled: 8-line block ×4, first 2 shown]
	v_ashrrev_i32_e32 v4, 31, v4
	v_and_b32_e32 v1, v1, v19
	v_xor_b32_e32 v19, s25, v4
	v_xor_b32_e32 v4, s24, v4
	v_and_b32_e32 v1, v1, v19
	v_and_b32_e32 v19, v2, v4
	v_lshlrev_b32_e32 v4, 24, v14
	v_cmp_gt_i64_e64 s[24:25], 0, v[3:4]
	v_not_b32_e32 v2, v4
	v_ashrrev_i32_e32 v2, 31, v2
	v_xor_b32_e32 v4, s25, v2
	v_xor_b32_e32 v20, s24, v2
	v_and_b32_e32 v2, v1, v4
	v_and_b32_e32 v1, v19, v20
	v_mbcnt_lo_u32_b32 v4, v1, 0
	v_mbcnt_hi_u32_b32 v19, v2, v4
	v_cmp_ne_u64_e64 s[24:25], 0, v[1:2]
	v_cmp_eq_u32_e64 s[26:27], 0, v19
	s_and_b64 s[26:27], s[24:25], s[26:27]
	v_add_u32_e32 v20, v7, v5
	; wave barrier
	s_and_saveexec_b64 s[24:25], s[26:27]
	s_cbranch_execz .LBB66_6
; %bb.5:                                ;   in Loop: Header=BB66_2 Depth=1
	v_bcnt_u32_b32 v1, v1, 0
	v_bcnt_u32_b32 v1, v2, v1
	s_waitcnt lgkmcnt(0)
	v_add_u32_e32 v1, v18, v1
	ds_write_b32 v20, v1 offset:12
.LBB66_6:                               ;   in Loop: Header=BB66_2 Depth=1
	s_or_b64 exec, exec, s[24:25]
	v_and_b32_e32 v1, 0xff, v13
	v_mul_u32_u24_e32 v5, 12, v1
	v_mad_u32_u24 v1, v1, 12, v7
	; wave barrier
	ds_read_b32 v21, v1 offset:12
	v_and_b32_e32 v1, 1, v13
	v_add_co_u32_e64 v2, s[24:25], -1, v1
	v_addc_co_u32_e64 v4, s[24:25], 0, -1, s[24:25]
	v_cmp_ne_u32_e64 s[24:25], 0, v1
	v_xor_b32_e32 v1, s25, v4
	v_lshlrev_b32_e32 v4, 30, v13
	v_xor_b32_e32 v2, s24, v2
	v_cmp_gt_i64_e64 s[24:25], 0, v[3:4]
	v_not_b32_e32 v4, v4
	v_ashrrev_i32_e32 v4, 31, v4
	v_and_b32_e32 v2, exec_lo, v2
	v_xor_b32_e32 v22, s25, v4
	v_xor_b32_e32 v4, s24, v4
	v_and_b32_e32 v2, v2, v4
	v_lshlrev_b32_e32 v4, 29, v13
	v_cmp_gt_i64_e64 s[24:25], 0, v[3:4]
	v_not_b32_e32 v4, v4
	v_and_b32_e32 v1, exec_hi, v1
	v_ashrrev_i32_e32 v4, 31, v4
	v_and_b32_e32 v1, v1, v22
	v_xor_b32_e32 v22, s25, v4
	v_xor_b32_e32 v4, s24, v4
	v_and_b32_e32 v2, v2, v4
	v_lshlrev_b32_e32 v4, 28, v13
	v_cmp_gt_i64_e64 s[24:25], 0, v[3:4]
	v_not_b32_e32 v4, v4
	v_ashrrev_i32_e32 v4, 31, v4
	v_and_b32_e32 v1, v1, v22
	v_xor_b32_e32 v22, s25, v4
	v_xor_b32_e32 v4, s24, v4
	v_and_b32_e32 v2, v2, v4
	v_lshlrev_b32_e32 v4, 27, v13
	v_cmp_gt_i64_e64 s[24:25], 0, v[3:4]
	v_not_b32_e32 v4, v4
	;; [unrolled: 8-line block ×4, first 2 shown]
	v_ashrrev_i32_e32 v4, 31, v4
	v_and_b32_e32 v1, v1, v22
	v_xor_b32_e32 v22, s25, v4
	v_xor_b32_e32 v4, s24, v4
	v_and_b32_e32 v1, v1, v22
	v_and_b32_e32 v22, v2, v4
	v_lshlrev_b32_e32 v4, 24, v13
	v_cmp_gt_i64_e64 s[24:25], 0, v[3:4]
	v_not_b32_e32 v2, v4
	v_ashrrev_i32_e32 v2, 31, v2
	v_xor_b32_e32 v4, s25, v2
	v_xor_b32_e32 v23, s24, v2
	v_and_b32_e32 v2, v1, v4
	v_and_b32_e32 v1, v22, v23
	v_mbcnt_lo_u32_b32 v4, v1, 0
	v_mbcnt_hi_u32_b32 v22, v2, v4
	v_cmp_ne_u64_e64 s[24:25], 0, v[1:2]
	v_cmp_eq_u32_e64 s[26:27], 0, v22
	s_and_b64 s[26:27], s[24:25], s[26:27]
	v_add_u32_e32 v23, v7, v5
	; wave barrier
	s_and_saveexec_b64 s[24:25], s[26:27]
	s_cbranch_execz .LBB66_8
; %bb.7:                                ;   in Loop: Header=BB66_2 Depth=1
	v_bcnt_u32_b32 v1, v1, 0
	v_bcnt_u32_b32 v1, v2, v1
	s_waitcnt lgkmcnt(0)
	v_add_u32_e32 v1, v21, v1
	ds_write_b32 v23, v1 offset:12
.LBB66_8:                               ;   in Loop: Header=BB66_2 Depth=1
	s_or_b64 exec, exec, s[24:25]
	; wave barrier
	s_waitcnt lgkmcnt(0)
	s_barrier
	ds_read2_b32 v[4:5], v6 offset0:3 offset1:4
	ds_read2_b32 v[1:2], v6 offset0:5 offset1:6
	s_waitcnt lgkmcnt(1)
	v_add_u32_e32 v24, v5, v4
	s_waitcnt lgkmcnt(0)
	v_add3_u32 v2, v24, v1, v2
	s_nop 1
	v_mov_b32_dpp v24, v2 row_shr:1 row_mask:0xf bank_mask:0xf
	v_cndmask_b32_e64 v24, v24, 0, vcc
	v_add_u32_e32 v2, v24, v2
	s_nop 1
	v_mov_b32_dpp v24, v2 row_shr:2 row_mask:0xf bank_mask:0xf
	v_cndmask_b32_e64 v24, 0, v24, s[0:1]
	v_add_u32_e32 v2, v2, v24
	s_nop 1
	v_mov_b32_dpp v24, v2 row_shr:4 row_mask:0xf bank_mask:0xf
	v_cndmask_b32_e64 v24, 0, v24, s[2:3]
	;; [unrolled: 4-line block ×3, first 2 shown]
	v_add_u32_e32 v2, v2, v24
	s_nop 1
	v_mov_b32_dpp v24, v2 row_bcast:15 row_mask:0xf bank_mask:0xf
	v_cndmask_b32_e64 v24, v24, 0, s[6:7]
	v_add_u32_e32 v2, v2, v24
	s_nop 1
	v_mov_b32_dpp v24, v2 row_bcast:31 row_mask:0xf bank_mask:0xf
	v_cndmask_b32_e64 v24, 0, v24, s[8:9]
	v_add_u32_e32 v2, v2, v24
	s_and_saveexec_b64 s[24:25], s[10:11]
; %bb.9:                                ;   in Loop: Header=BB66_2 Depth=1
	ds_write_b32 v10, v2
; %bb.10:                               ;   in Loop: Header=BB66_2 Depth=1
	s_or_b64 exec, exec, s[24:25]
	s_waitcnt lgkmcnt(0)
	s_barrier
	s_and_saveexec_b64 s[24:25], s[12:13]
	s_cbranch_execz .LBB66_12
; %bb.11:                               ;   in Loop: Header=BB66_2 Depth=1
	v_add_u32_e32 v24, v9, v0
	ds_read_b32 v25, v24
	s_waitcnt lgkmcnt(0)
	s_nop 0
	v_mov_b32_dpp v26, v25 row_shr:1 row_mask:0xf bank_mask:0xf
	v_cndmask_b32_e64 v26, v26, 0, s[20:21]
	v_add_u32_e32 v25, v26, v25
	s_nop 1
	v_mov_b32_dpp v26, v25 row_shr:2 row_mask:0xf bank_mask:0xf
	v_cndmask_b32_e64 v26, 0, v26, s[22:23]
	v_add_u32_e32 v25, v25, v26
	ds_write_b32 v24, v25
.LBB66_12:                              ;   in Loop: Header=BB66_2 Depth=1
	s_or_b64 exec, exec, s[24:25]
	v_mov_b32_e32 v24, 0
	s_waitcnt lgkmcnt(0)
	s_barrier
	s_and_saveexec_b64 s[24:25], s[14:15]
	s_cbranch_execz .LBB66_1
; %bb.13:                               ;   in Loop: Header=BB66_2 Depth=1
	v_add_u32_e32 v24, -4, v10
	ds_read_b32 v24, v24
	s_branch .LBB66_1
.LBB66_14:
	s_add_u32 s0, s30, s33
	s_addc_u32 s1, s31, 0
	v_mov_b32_e32 v1, s1
	v_add_co_u32_e32 v0, vcc, s0, v0
	v_and_b32_e32 v2, 0xffff, v5
	v_addc_co_u32_e32 v1, vcc, 0, v1, vcc
	global_store_byte v[0:1], v4, off
	global_store_byte v[0:1], v2, off offset:192
	v_lshrrev_b16_e32 v2, 8, v2
	global_store_byte v[0:1], v2, off offset:384
	s_endpgm
	.section	.rodata,"a",@progbits
	.p2align	6, 0x0
	.amdhsa_kernel _Z16sort_keys_kernelI22helper_blocked_blockedaLj192ELj3ELj10EEvPKT0_PS1_
		.amdhsa_group_segment_fixed_size 3088
		.amdhsa_private_segment_fixed_size 0
		.amdhsa_kernarg_size 272
		.amdhsa_user_sgpr_count 6
		.amdhsa_user_sgpr_private_segment_buffer 1
		.amdhsa_user_sgpr_dispatch_ptr 0
		.amdhsa_user_sgpr_queue_ptr 0
		.amdhsa_user_sgpr_kernarg_segment_ptr 1
		.amdhsa_user_sgpr_dispatch_id 0
		.amdhsa_user_sgpr_flat_scratch_init 0
		.amdhsa_user_sgpr_private_segment_size 0
		.amdhsa_uses_dynamic_stack 0
		.amdhsa_system_sgpr_private_segment_wavefront_offset 0
		.amdhsa_system_sgpr_workgroup_id_x 1
		.amdhsa_system_sgpr_workgroup_id_y 0
		.amdhsa_system_sgpr_workgroup_id_z 0
		.amdhsa_system_sgpr_workgroup_info 0
		.amdhsa_system_vgpr_workitem_id 2
		.amdhsa_next_free_vgpr 27
		.amdhsa_next_free_sgpr 34
		.amdhsa_reserve_vcc 1
		.amdhsa_reserve_flat_scratch 0
		.amdhsa_float_round_mode_32 0
		.amdhsa_float_round_mode_16_64 0
		.amdhsa_float_denorm_mode_32 3
		.amdhsa_float_denorm_mode_16_64 3
		.amdhsa_dx10_clamp 1
		.amdhsa_ieee_mode 1
		.amdhsa_fp16_overflow 0
		.amdhsa_exception_fp_ieee_invalid_op 0
		.amdhsa_exception_fp_denorm_src 0
		.amdhsa_exception_fp_ieee_div_zero 0
		.amdhsa_exception_fp_ieee_overflow 0
		.amdhsa_exception_fp_ieee_underflow 0
		.amdhsa_exception_fp_ieee_inexact 0
		.amdhsa_exception_int_div_zero 0
	.end_amdhsa_kernel
	.section	.text._Z16sort_keys_kernelI22helper_blocked_blockedaLj192ELj3ELj10EEvPKT0_PS1_,"axG",@progbits,_Z16sort_keys_kernelI22helper_blocked_blockedaLj192ELj3ELj10EEvPKT0_PS1_,comdat
.Lfunc_end66:
	.size	_Z16sort_keys_kernelI22helper_blocked_blockedaLj192ELj3ELj10EEvPKT0_PS1_, .Lfunc_end66-_Z16sort_keys_kernelI22helper_blocked_blockedaLj192ELj3ELj10EEvPKT0_PS1_
                                        ; -- End function
	.set _Z16sort_keys_kernelI22helper_blocked_blockedaLj192ELj3ELj10EEvPKT0_PS1_.num_vgpr, 27
	.set _Z16sort_keys_kernelI22helper_blocked_blockedaLj192ELj3ELj10EEvPKT0_PS1_.num_agpr, 0
	.set _Z16sort_keys_kernelI22helper_blocked_blockedaLj192ELj3ELj10EEvPKT0_PS1_.numbered_sgpr, 34
	.set _Z16sort_keys_kernelI22helper_blocked_blockedaLj192ELj3ELj10EEvPKT0_PS1_.num_named_barrier, 0
	.set _Z16sort_keys_kernelI22helper_blocked_blockedaLj192ELj3ELj10EEvPKT0_PS1_.private_seg_size, 0
	.set _Z16sort_keys_kernelI22helper_blocked_blockedaLj192ELj3ELj10EEvPKT0_PS1_.uses_vcc, 1
	.set _Z16sort_keys_kernelI22helper_blocked_blockedaLj192ELj3ELj10EEvPKT0_PS1_.uses_flat_scratch, 0
	.set _Z16sort_keys_kernelI22helper_blocked_blockedaLj192ELj3ELj10EEvPKT0_PS1_.has_dyn_sized_stack, 0
	.set _Z16sort_keys_kernelI22helper_blocked_blockedaLj192ELj3ELj10EEvPKT0_PS1_.has_recursion, 0
	.set _Z16sort_keys_kernelI22helper_blocked_blockedaLj192ELj3ELj10EEvPKT0_PS1_.has_indirect_call, 0
	.section	.AMDGPU.csdata,"",@progbits
; Kernel info:
; codeLenInByte = 2264
; TotalNumSgprs: 38
; NumVgprs: 27
; ScratchSize: 0
; MemoryBound: 0
; FloatMode: 240
; IeeeMode: 1
; LDSByteSize: 3088 bytes/workgroup (compile time only)
; SGPRBlocks: 4
; VGPRBlocks: 6
; NumSGPRsForWavesPerEU: 38
; NumVGPRsForWavesPerEU: 27
; Occupancy: 9
; WaveLimiterHint : 1
; COMPUTE_PGM_RSRC2:SCRATCH_EN: 0
; COMPUTE_PGM_RSRC2:USER_SGPR: 6
; COMPUTE_PGM_RSRC2:TRAP_HANDLER: 0
; COMPUTE_PGM_RSRC2:TGID_X_EN: 1
; COMPUTE_PGM_RSRC2:TGID_Y_EN: 0
; COMPUTE_PGM_RSRC2:TGID_Z_EN: 0
; COMPUTE_PGM_RSRC2:TIDIG_COMP_CNT: 2
	.section	.text._Z17sort_pairs_kernelI22helper_blocked_blockedaLj192ELj3ELj10EEvPKT0_PS1_,"axG",@progbits,_Z17sort_pairs_kernelI22helper_blocked_blockedaLj192ELj3ELj10EEvPKT0_PS1_,comdat
	.protected	_Z17sort_pairs_kernelI22helper_blocked_blockedaLj192ELj3ELj10EEvPKT0_PS1_ ; -- Begin function _Z17sort_pairs_kernelI22helper_blocked_blockedaLj192ELj3ELj10EEvPKT0_PS1_
	.globl	_Z17sort_pairs_kernelI22helper_blocked_blockedaLj192ELj3ELj10EEvPKT0_PS1_
	.p2align	8
	.type	_Z17sort_pairs_kernelI22helper_blocked_blockedaLj192ELj3ELj10EEvPKT0_PS1_,@function
_Z17sort_pairs_kernelI22helper_blocked_blockedaLj192ELj3ELj10EEvPKT0_PS1_: ; @_Z17sort_pairs_kernelI22helper_blocked_blockedaLj192ELj3ELj10EEvPKT0_PS1_
; %bb.0:
	s_load_dwordx4 s[28:31], s[4:5], 0x0
	s_load_dword s22, s[4:5], 0x1c
	s_mul_i32 s33, s6, 0x240
	v_mbcnt_lo_u32_b32 v6, -1, 0
	v_mbcnt_hi_u32_b32 v10, -1, v6
	s_waitcnt lgkmcnt(0)
	s_add_u32 s0, s28, s33
	s_addc_u32 s1, s29, 0
	global_load_ubyte v4, v0, s[0:1]
	global_load_ubyte v5, v0, s[0:1] offset:192
	global_load_ubyte v14, v0, s[0:1] offset:384
	s_lshr_b32 s23, s22, 16
	s_and_b32 s22, s22, 0xffff
	v_mad_u32_u24 v1, v2, s23, v1
	v_mad_u64_u32 v[1:2], s[22:23], v1, s22, v[0:1]
	v_and_b32_e32 v7, 0xc0, v0
	v_and_b32_e32 v12, 15, v10
	;; [unrolled: 1-line block ×3, first 2 shown]
	v_min_u32_e32 v15, 0x80, v7
	v_subrev_co_u32_e64 v16, s[6:7], 1, v10
	v_and_b32_e32 v17, 64, v10
	v_cmp_eq_u32_e64 s[8:9], 0, v12
	v_cmp_lt_u32_e64 s[10:11], 1, v12
	v_cmp_lt_u32_e64 s[12:13], 3, v12
	;; [unrolled: 1-line block ×3, first 2 shown]
	v_and_b32_e32 v12, 3, v10
	v_cmp_eq_u32_e64 s[16:17], 0, v13
	v_or_b32_e32 v13, 63, v15
	v_cmp_lt_i32_e64 s[18:19], v16, v17
	v_lshrrev_b32_e32 v1, 4, v1
	v_cndmask_b32_e64 v15, v16, v10, s[18:19]
	v_cmp_eq_u32_e64 s[18:19], 0, v12
	v_cmp_lt_u32_e64 s[20:21], 1, v12
	v_cmp_eq_u32_e64 s[22:23], v0, v13
	v_and_b32_e32 v12, 0xffffffc, v1
	v_lshrrev_b32_e32 v8, 6, v0
	v_lshlrev_b32_e32 v6, 4, v0
	v_mul_u32_u24_e32 v11, 0xc0, v8
	v_mul_u32_u24_e32 v9, 3, v10
	v_mov_b32_e32 v3, 0
	s_mov_b32 s28, 10
	s_mov_b32 s29, 0xc0c0104
	v_cmp_gt_u32_e32 vcc, 3, v0
	v_cmp_lt_u32_e64 s[0:1], 63, v0
	v_cmp_eq_u32_e64 s[2:3], 0, v0
	v_cmp_lt_u32_e64 s[4:5], 31, v10
	v_mad_i32_i24 v7, v0, -13, v6
	v_lshlrev_b32_e32 v8, 2, v8
	v_add_u32_e32 v9, v9, v11
	v_add_u32_e32 v10, v10, v11
	v_lshlrev_b32_e32 v11, 2, v15
	s_waitcnt vmcnt(2)
	v_add_u16_e32 v1, 1, v4
	s_waitcnt vmcnt(1)
	v_lshlrev_b16_e32 v2, 8, v5
	s_waitcnt vmcnt(0)
	v_add_u16_e32 v13, 1, v14
	v_or_b32_sdwa v1, v2, v1 dst_sel:DWORD dst_unused:UNUSED_PAD src0_sel:DWORD src1_sel:BYTE_0
	v_and_b32_e32 v2, 0xff, v13
	v_add_u16_e32 v1, 0x100, v1
	v_lshlrev_b32_e32 v2, 16, v2
	v_or_b32_e32 v1, v1, v2
	v_mov_b32_e32 v13, 12
	s_branch .LBB67_2
.LBB67_1:                               ;   in Loop: Header=BB67_2 Depth=1
	s_or_b64 exec, exec, s[24:25]
	s_waitcnt lgkmcnt(0)
	v_add_u32_e32 v2, v28, v2
	ds_bpermute_b32 v2, v11, v2
	s_add_i32 s28, s28, -1
	s_cmp_eq_u32 s28, 0
	s_waitcnt lgkmcnt(0)
	v_cndmask_b32_e64 v2, v2, v28, s[6:7]
	v_cndmask_b32_e64 v2, v2, 0, s[2:3]
	v_add_u32_e32 v4, v2, v4
	v_add_u32_e32 v5, v4, v5
	;; [unrolled: 1-line block ×3, first 2 shown]
	ds_write2_b32 v6, v2, v4 offset0:3 offset1:4
	ds_write2_b32 v6, v5, v1 offset0:5 offset1:6
	s_waitcnt lgkmcnt(0)
	s_barrier
	ds_read_b32 v1, v21 offset:12
	ds_read_b32 v2, v24 offset:12
	;; [unrolled: 1-line block ×3, first 2 shown]
	s_waitcnt lgkmcnt(0)
	s_barrier
	v_add_u32_e32 v1, v1, v20
	v_add3_u32 v2, v23, v22, v2
	v_add3_u32 v4, v26, v25, v4
	ds_write_b8 v1, v16
	ds_write_b8 v2, v15
	;; [unrolled: 1-line block ×3, first 2 shown]
	s_waitcnt lgkmcnt(0)
	s_barrier
	ds_read_u8 v5, v7
	ds_read_u16 v14, v7 offset:1
	s_waitcnt lgkmcnt(0)
	s_barrier
	ds_write_b8 v1, v17
	ds_write_b8 v2, v18
	;; [unrolled: 1-line block ×3, first 2 shown]
	s_waitcnt lgkmcnt(0)
	s_barrier
	ds_read_u16 v2, v7 offset:1
	ds_read_u8 v15, v7
	v_xor_b32_e32 v4, 0xffffff80, v5
	s_waitcnt lgkmcnt(1)
	v_lshlrev_b16_e32 v1, 8, v2
	v_lshrrev_b16_e32 v5, 8, v2
	v_lshlrev_b32_e32 v5, 16, v5
	s_waitcnt lgkmcnt(0)
	v_perm_b32 v1, v15, v1, s29
	v_or_b32_e32 v1, v1, v5
	v_and_b32_e32 v5, 0xffffff00, v14
	v_xor_b32_e32 v16, 0xffff8000, v5
	v_xor_b32_e32 v5, 0x80, v14
	v_or_b32_sdwa v5, v5, v16 dst_sel:DWORD dst_unused:UNUSED_PAD src0_sel:BYTE_0 src1_sel:DWORD
	v_lshrrev_b16_e32 v14, 8, v16
	s_cbranch_scc1 .LBB67_14
.LBB67_2:                               ; =>This Inner Loop Header: Depth=1
	v_xor_b32_e32 v2, 0x80, v4
	v_xor_b32_e32 v4, 0x80, v5
	v_xor_b32_e32 v5, 0x80, v14
	ds_write_b8 v9, v2
	ds_write_b8 v9, v4 offset:1
	ds_write_b8 v9, v5 offset:2
	; wave barrier
	ds_read_u8 v16, v10
	ds_read_u8 v15, v10 offset:64
	ds_read_u8 v14, v10 offset:128
	v_lshrrev_b32_e32 v2, 8, v1
	; wave barrier
	ds_write_b8 v9, v1
	ds_write_b8 v9, v2 offset:1
	ds_write_b8_d16_hi v9, v1 offset:2
	s_waitcnt lgkmcnt(5)
	v_and_b32_e32 v1, 1, v16
	v_add_co_u32_e64 v2, s[24:25], -1, v1
	v_addc_co_u32_e64 v4, s[24:25], 0, -1, s[24:25]
	v_cmp_ne_u32_e64 s[24:25], 0, v1
	v_xor_b32_e32 v1, s25, v4
	v_lshlrev_b32_e32 v4, 30, v16
	v_xor_b32_e32 v2, s24, v2
	v_cmp_gt_i64_e64 s[24:25], 0, v[3:4]
	v_not_b32_e32 v4, v4
	v_ashrrev_i32_e32 v4, 31, v4
	v_and_b32_e32 v2, exec_lo, v2
	v_xor_b32_e32 v20, s25, v4
	v_xor_b32_e32 v4, s24, v4
	v_and_b32_e32 v2, v2, v4
	v_lshlrev_b32_e32 v4, 29, v16
	v_cmp_gt_i64_e64 s[24:25], 0, v[3:4]
	v_not_b32_e32 v4, v4
	v_and_b32_e32 v1, exec_hi, v1
	v_ashrrev_i32_e32 v4, 31, v4
	v_and_b32_e32 v1, v1, v20
	v_xor_b32_e32 v20, s25, v4
	v_xor_b32_e32 v4, s24, v4
	v_and_b32_e32 v2, v2, v4
	v_lshlrev_b32_e32 v4, 28, v16
	v_cmp_gt_i64_e64 s[24:25], 0, v[3:4]
	v_not_b32_e32 v4, v4
	v_ashrrev_i32_e32 v4, 31, v4
	v_and_b32_e32 v1, v1, v20
	v_xor_b32_e32 v20, s25, v4
	v_xor_b32_e32 v4, s24, v4
	v_and_b32_e32 v2, v2, v4
	v_lshlrev_b32_e32 v4, 27, v16
	v_cmp_gt_i64_e64 s[24:25], 0, v[3:4]
	v_not_b32_e32 v4, v4
	;; [unrolled: 8-line block ×4, first 2 shown]
	v_ashrrev_i32_e32 v4, 31, v4
	v_and_b32_e32 v1, v1, v20
	v_xor_b32_e32 v20, s25, v4
	v_xor_b32_e32 v4, s24, v4
	v_and_b32_e32 v1, v1, v20
	v_and_b32_e32 v20, v2, v4
	v_lshlrev_b32_e32 v4, 24, v16
	v_cmp_gt_i64_e64 s[24:25], 0, v[3:4]
	v_not_b32_e32 v2, v4
	v_ashrrev_i32_e32 v2, 31, v2
	; wave barrier
	ds_read_u8 v17, v10
	ds_read_u8 v18, v10 offset:64
	ds_read_u8 v19, v10 offset:128
	v_xor_b32_e32 v4, s25, v2
	v_xor_b32_e32 v21, s24, v2
	v_and_b32_e32 v2, v1, v4
	v_and_b32_e32 v1, v20, v21
	v_mbcnt_lo_u32_b32 v4, v1, 0
	v_mbcnt_hi_u32_b32 v20, v2, v4
	v_cmp_ne_u64_e64 s[24:25], 0, v[1:2]
	v_mul_u32_u24_sdwa v5, v16, v13 dst_sel:DWORD dst_unused:UNUSED_PAD src0_sel:BYTE_0 src1_sel:DWORD
	v_cmp_eq_u32_e64 s[26:27], 0, v20
	s_and_b64 s[26:27], s[24:25], s[26:27]
	v_add_u32_e32 v21, v12, v5
	s_waitcnt lgkmcnt(0)
	s_barrier
	ds_write2_b32 v6, v3, v3 offset0:3 offset1:4
	ds_write2_b32 v6, v3, v3 offset0:5 offset1:6
	s_waitcnt lgkmcnt(0)
	s_barrier
	; wave barrier
	s_and_saveexec_b64 s[24:25], s[26:27]
; %bb.3:                                ;   in Loop: Header=BB67_2 Depth=1
	v_bcnt_u32_b32 v1, v1, 0
	v_bcnt_u32_b32 v1, v2, v1
	ds_write_b32 v21, v1 offset:12
; %bb.4:                                ;   in Loop: Header=BB67_2 Depth=1
	s_or_b64 exec, exec, s[24:25]
	v_and_b32_e32 v1, 0xff, v15
	v_mul_u32_u24_e32 v5, 12, v1
	v_mad_u32_u24 v1, v1, 12, v12
	; wave barrier
	ds_read_b32 v22, v1 offset:12
	v_and_b32_e32 v1, 1, v15
	v_add_co_u32_e64 v2, s[24:25], -1, v1
	v_addc_co_u32_e64 v4, s[24:25], 0, -1, s[24:25]
	v_cmp_ne_u32_e64 s[24:25], 0, v1
	v_xor_b32_e32 v1, s25, v4
	v_lshlrev_b32_e32 v4, 30, v15
	v_xor_b32_e32 v2, s24, v2
	v_cmp_gt_i64_e64 s[24:25], 0, v[3:4]
	v_not_b32_e32 v4, v4
	v_ashrrev_i32_e32 v4, 31, v4
	v_and_b32_e32 v2, exec_lo, v2
	v_xor_b32_e32 v23, s25, v4
	v_xor_b32_e32 v4, s24, v4
	v_and_b32_e32 v2, v2, v4
	v_lshlrev_b32_e32 v4, 29, v15
	v_cmp_gt_i64_e64 s[24:25], 0, v[3:4]
	v_not_b32_e32 v4, v4
	v_and_b32_e32 v1, exec_hi, v1
	v_ashrrev_i32_e32 v4, 31, v4
	v_and_b32_e32 v1, v1, v23
	v_xor_b32_e32 v23, s25, v4
	v_xor_b32_e32 v4, s24, v4
	v_and_b32_e32 v2, v2, v4
	v_lshlrev_b32_e32 v4, 28, v15
	v_cmp_gt_i64_e64 s[24:25], 0, v[3:4]
	v_not_b32_e32 v4, v4
	v_ashrrev_i32_e32 v4, 31, v4
	v_and_b32_e32 v1, v1, v23
	v_xor_b32_e32 v23, s25, v4
	v_xor_b32_e32 v4, s24, v4
	v_and_b32_e32 v2, v2, v4
	v_lshlrev_b32_e32 v4, 27, v15
	v_cmp_gt_i64_e64 s[24:25], 0, v[3:4]
	v_not_b32_e32 v4, v4
	;; [unrolled: 8-line block ×4, first 2 shown]
	v_ashrrev_i32_e32 v4, 31, v4
	v_and_b32_e32 v1, v1, v23
	v_xor_b32_e32 v23, s25, v4
	v_xor_b32_e32 v4, s24, v4
	v_and_b32_e32 v1, v1, v23
	v_and_b32_e32 v23, v2, v4
	v_lshlrev_b32_e32 v4, 24, v15
	v_cmp_gt_i64_e64 s[24:25], 0, v[3:4]
	v_not_b32_e32 v2, v4
	v_ashrrev_i32_e32 v2, 31, v2
	v_xor_b32_e32 v4, s25, v2
	v_xor_b32_e32 v24, s24, v2
	v_and_b32_e32 v2, v1, v4
	v_and_b32_e32 v1, v23, v24
	v_mbcnt_lo_u32_b32 v4, v1, 0
	v_mbcnt_hi_u32_b32 v23, v2, v4
	v_cmp_ne_u64_e64 s[24:25], 0, v[1:2]
	v_cmp_eq_u32_e64 s[26:27], 0, v23
	s_and_b64 s[26:27], s[24:25], s[26:27]
	v_add_u32_e32 v24, v12, v5
	; wave barrier
	s_and_saveexec_b64 s[24:25], s[26:27]
	s_cbranch_execz .LBB67_6
; %bb.5:                                ;   in Loop: Header=BB67_2 Depth=1
	v_bcnt_u32_b32 v1, v1, 0
	v_bcnt_u32_b32 v1, v2, v1
	s_waitcnt lgkmcnt(0)
	v_add_u32_e32 v1, v22, v1
	ds_write_b32 v24, v1 offset:12
.LBB67_6:                               ;   in Loop: Header=BB67_2 Depth=1
	s_or_b64 exec, exec, s[24:25]
	v_and_b32_e32 v1, 0xff, v14
	v_mul_u32_u24_e32 v5, 12, v1
	v_mad_u32_u24 v1, v1, 12, v12
	; wave barrier
	ds_read_b32 v25, v1 offset:12
	v_and_b32_e32 v1, 1, v14
	v_add_co_u32_e64 v2, s[24:25], -1, v1
	v_addc_co_u32_e64 v4, s[24:25], 0, -1, s[24:25]
	v_cmp_ne_u32_e64 s[24:25], 0, v1
	v_xor_b32_e32 v1, s25, v4
	v_lshlrev_b32_e32 v4, 30, v14
	v_xor_b32_e32 v2, s24, v2
	v_cmp_gt_i64_e64 s[24:25], 0, v[3:4]
	v_not_b32_e32 v4, v4
	v_ashrrev_i32_e32 v4, 31, v4
	v_and_b32_e32 v2, exec_lo, v2
	v_xor_b32_e32 v26, s25, v4
	v_xor_b32_e32 v4, s24, v4
	v_and_b32_e32 v2, v2, v4
	v_lshlrev_b32_e32 v4, 29, v14
	v_cmp_gt_i64_e64 s[24:25], 0, v[3:4]
	v_not_b32_e32 v4, v4
	v_and_b32_e32 v1, exec_hi, v1
	v_ashrrev_i32_e32 v4, 31, v4
	v_and_b32_e32 v1, v1, v26
	v_xor_b32_e32 v26, s25, v4
	v_xor_b32_e32 v4, s24, v4
	v_and_b32_e32 v2, v2, v4
	v_lshlrev_b32_e32 v4, 28, v14
	v_cmp_gt_i64_e64 s[24:25], 0, v[3:4]
	v_not_b32_e32 v4, v4
	v_ashrrev_i32_e32 v4, 31, v4
	v_and_b32_e32 v1, v1, v26
	v_xor_b32_e32 v26, s25, v4
	v_xor_b32_e32 v4, s24, v4
	v_and_b32_e32 v2, v2, v4
	v_lshlrev_b32_e32 v4, 27, v14
	v_cmp_gt_i64_e64 s[24:25], 0, v[3:4]
	v_not_b32_e32 v4, v4
	;; [unrolled: 8-line block ×4, first 2 shown]
	v_ashrrev_i32_e32 v4, 31, v4
	v_and_b32_e32 v1, v1, v26
	v_xor_b32_e32 v26, s25, v4
	v_xor_b32_e32 v4, s24, v4
	v_and_b32_e32 v1, v1, v26
	v_and_b32_e32 v26, v2, v4
	v_lshlrev_b32_e32 v4, 24, v14
	v_cmp_gt_i64_e64 s[24:25], 0, v[3:4]
	v_not_b32_e32 v2, v4
	v_ashrrev_i32_e32 v2, 31, v2
	v_xor_b32_e32 v4, s25, v2
	v_xor_b32_e32 v27, s24, v2
	v_and_b32_e32 v2, v1, v4
	v_and_b32_e32 v1, v26, v27
	v_mbcnt_lo_u32_b32 v4, v1, 0
	v_mbcnt_hi_u32_b32 v26, v2, v4
	v_cmp_ne_u64_e64 s[24:25], 0, v[1:2]
	v_cmp_eq_u32_e64 s[26:27], 0, v26
	s_and_b64 s[26:27], s[24:25], s[26:27]
	v_add_u32_e32 v27, v12, v5
	; wave barrier
	s_and_saveexec_b64 s[24:25], s[26:27]
	s_cbranch_execz .LBB67_8
; %bb.7:                                ;   in Loop: Header=BB67_2 Depth=1
	v_bcnt_u32_b32 v1, v1, 0
	v_bcnt_u32_b32 v1, v2, v1
	s_waitcnt lgkmcnt(0)
	v_add_u32_e32 v1, v25, v1
	ds_write_b32 v27, v1 offset:12
.LBB67_8:                               ;   in Loop: Header=BB67_2 Depth=1
	s_or_b64 exec, exec, s[24:25]
	; wave barrier
	s_waitcnt lgkmcnt(0)
	s_barrier
	ds_read2_b32 v[4:5], v6 offset0:3 offset1:4
	ds_read2_b32 v[1:2], v6 offset0:5 offset1:6
	s_waitcnt lgkmcnt(1)
	v_add_u32_e32 v28, v5, v4
	s_waitcnt lgkmcnt(0)
	v_add3_u32 v2, v28, v1, v2
	s_nop 1
	v_mov_b32_dpp v28, v2 row_shr:1 row_mask:0xf bank_mask:0xf
	v_cndmask_b32_e64 v28, v28, 0, s[8:9]
	v_add_u32_e32 v2, v28, v2
	s_nop 1
	v_mov_b32_dpp v28, v2 row_shr:2 row_mask:0xf bank_mask:0xf
	v_cndmask_b32_e64 v28, 0, v28, s[10:11]
	v_add_u32_e32 v2, v2, v28
	;; [unrolled: 4-line block ×4, first 2 shown]
	s_nop 1
	v_mov_b32_dpp v28, v2 row_bcast:15 row_mask:0xf bank_mask:0xf
	v_cndmask_b32_e64 v28, v28, 0, s[16:17]
	v_add_u32_e32 v2, v2, v28
	s_nop 1
	v_mov_b32_dpp v28, v2 row_bcast:31 row_mask:0xf bank_mask:0xf
	v_cndmask_b32_e64 v28, 0, v28, s[4:5]
	v_add_u32_e32 v2, v2, v28
	s_and_saveexec_b64 s[24:25], s[22:23]
; %bb.9:                                ;   in Loop: Header=BB67_2 Depth=1
	ds_write_b32 v8, v2
; %bb.10:                               ;   in Loop: Header=BB67_2 Depth=1
	s_or_b64 exec, exec, s[24:25]
	s_waitcnt lgkmcnt(0)
	s_barrier
	s_and_saveexec_b64 s[24:25], vcc
	s_cbranch_execz .LBB67_12
; %bb.11:                               ;   in Loop: Header=BB67_2 Depth=1
	v_add_u32_e32 v28, v7, v0
	ds_read_b32 v29, v28
	s_waitcnt lgkmcnt(0)
	s_nop 0
	v_mov_b32_dpp v30, v29 row_shr:1 row_mask:0xf bank_mask:0xf
	v_cndmask_b32_e64 v30, v30, 0, s[18:19]
	v_add_u32_e32 v29, v30, v29
	s_nop 1
	v_mov_b32_dpp v30, v29 row_shr:2 row_mask:0xf bank_mask:0xf
	v_cndmask_b32_e64 v30, 0, v30, s[20:21]
	v_add_u32_e32 v29, v29, v30
	ds_write_b32 v28, v29
.LBB67_12:                              ;   in Loop: Header=BB67_2 Depth=1
	s_or_b64 exec, exec, s[24:25]
	v_mov_b32_e32 v28, 0
	s_waitcnt lgkmcnt(0)
	s_barrier
	s_and_saveexec_b64 s[24:25], s[0:1]
	s_cbranch_execz .LBB67_1
; %bb.13:                               ;   in Loop: Header=BB67_2 Depth=1
	v_add_u32_e32 v28, -4, v8
	ds_read_b32 v28, v28
	s_branch .LBB67_1
.LBB67_14:
	s_add_u32 s0, s30, s33
	s_addc_u32 s1, s31, 0
	v_mov_b32_e32 v1, s1
	v_add_co_u32_e32 v0, vcc, s0, v0
	v_add_u16_e32 v3, v4, v15
	v_addc_co_u32_e32 v1, vcc, 0, v1, vcc
	v_add_u16_sdwa v4, v14, v2 dst_sel:DWORD dst_unused:UNUSED_PAD src0_sel:DWORD src1_sel:BYTE_1
	v_add_u16_e32 v2, v5, v2
	global_store_byte v[0:1], v3, off
	global_store_byte v[0:1], v2, off offset:192
	global_store_byte v[0:1], v4, off offset:384
	s_endpgm
	.section	.rodata,"a",@progbits
	.p2align	6, 0x0
	.amdhsa_kernel _Z17sort_pairs_kernelI22helper_blocked_blockedaLj192ELj3ELj10EEvPKT0_PS1_
		.amdhsa_group_segment_fixed_size 3088
		.amdhsa_private_segment_fixed_size 0
		.amdhsa_kernarg_size 272
		.amdhsa_user_sgpr_count 6
		.amdhsa_user_sgpr_private_segment_buffer 1
		.amdhsa_user_sgpr_dispatch_ptr 0
		.amdhsa_user_sgpr_queue_ptr 0
		.amdhsa_user_sgpr_kernarg_segment_ptr 1
		.amdhsa_user_sgpr_dispatch_id 0
		.amdhsa_user_sgpr_flat_scratch_init 0
		.amdhsa_user_sgpr_private_segment_size 0
		.amdhsa_uses_dynamic_stack 0
		.amdhsa_system_sgpr_private_segment_wavefront_offset 0
		.amdhsa_system_sgpr_workgroup_id_x 1
		.amdhsa_system_sgpr_workgroup_id_y 0
		.amdhsa_system_sgpr_workgroup_id_z 0
		.amdhsa_system_sgpr_workgroup_info 0
		.amdhsa_system_vgpr_workitem_id 2
		.amdhsa_next_free_vgpr 31
		.amdhsa_next_free_sgpr 34
		.amdhsa_reserve_vcc 1
		.amdhsa_reserve_flat_scratch 0
		.amdhsa_float_round_mode_32 0
		.amdhsa_float_round_mode_16_64 0
		.amdhsa_float_denorm_mode_32 3
		.amdhsa_float_denorm_mode_16_64 3
		.amdhsa_dx10_clamp 1
		.amdhsa_ieee_mode 1
		.amdhsa_fp16_overflow 0
		.amdhsa_exception_fp_ieee_invalid_op 0
		.amdhsa_exception_fp_denorm_src 0
		.amdhsa_exception_fp_ieee_div_zero 0
		.amdhsa_exception_fp_ieee_overflow 0
		.amdhsa_exception_fp_ieee_underflow 0
		.amdhsa_exception_fp_ieee_inexact 0
		.amdhsa_exception_int_div_zero 0
	.end_amdhsa_kernel
	.section	.text._Z17sort_pairs_kernelI22helper_blocked_blockedaLj192ELj3ELj10EEvPKT0_PS1_,"axG",@progbits,_Z17sort_pairs_kernelI22helper_blocked_blockedaLj192ELj3ELj10EEvPKT0_PS1_,comdat
.Lfunc_end67:
	.size	_Z17sort_pairs_kernelI22helper_blocked_blockedaLj192ELj3ELj10EEvPKT0_PS1_, .Lfunc_end67-_Z17sort_pairs_kernelI22helper_blocked_blockedaLj192ELj3ELj10EEvPKT0_PS1_
                                        ; -- End function
	.set _Z17sort_pairs_kernelI22helper_blocked_blockedaLj192ELj3ELj10EEvPKT0_PS1_.num_vgpr, 31
	.set _Z17sort_pairs_kernelI22helper_blocked_blockedaLj192ELj3ELj10EEvPKT0_PS1_.num_agpr, 0
	.set _Z17sort_pairs_kernelI22helper_blocked_blockedaLj192ELj3ELj10EEvPKT0_PS1_.numbered_sgpr, 34
	.set _Z17sort_pairs_kernelI22helper_blocked_blockedaLj192ELj3ELj10EEvPKT0_PS1_.num_named_barrier, 0
	.set _Z17sort_pairs_kernelI22helper_blocked_blockedaLj192ELj3ELj10EEvPKT0_PS1_.private_seg_size, 0
	.set _Z17sort_pairs_kernelI22helper_blocked_blockedaLj192ELj3ELj10EEvPKT0_PS1_.uses_vcc, 1
	.set _Z17sort_pairs_kernelI22helper_blocked_blockedaLj192ELj3ELj10EEvPKT0_PS1_.uses_flat_scratch, 0
	.set _Z17sort_pairs_kernelI22helper_blocked_blockedaLj192ELj3ELj10EEvPKT0_PS1_.has_dyn_sized_stack, 0
	.set _Z17sort_pairs_kernelI22helper_blocked_blockedaLj192ELj3ELj10EEvPKT0_PS1_.has_recursion, 0
	.set _Z17sort_pairs_kernelI22helper_blocked_blockedaLj192ELj3ELj10EEvPKT0_PS1_.has_indirect_call, 0
	.section	.AMDGPU.csdata,"",@progbits
; Kernel info:
; codeLenInByte = 2460
; TotalNumSgprs: 38
; NumVgprs: 31
; ScratchSize: 0
; MemoryBound: 0
; FloatMode: 240
; IeeeMode: 1
; LDSByteSize: 3088 bytes/workgroup (compile time only)
; SGPRBlocks: 4
; VGPRBlocks: 7
; NumSGPRsForWavesPerEU: 38
; NumVGPRsForWavesPerEU: 31
; Occupancy: 8
; WaveLimiterHint : 1
; COMPUTE_PGM_RSRC2:SCRATCH_EN: 0
; COMPUTE_PGM_RSRC2:USER_SGPR: 6
; COMPUTE_PGM_RSRC2:TRAP_HANDLER: 0
; COMPUTE_PGM_RSRC2:TGID_X_EN: 1
; COMPUTE_PGM_RSRC2:TGID_Y_EN: 0
; COMPUTE_PGM_RSRC2:TGID_Z_EN: 0
; COMPUTE_PGM_RSRC2:TIDIG_COMP_CNT: 2
	.section	.text._Z16sort_keys_kernelI22helper_blocked_blockedaLj192ELj4ELj10EEvPKT0_PS1_,"axG",@progbits,_Z16sort_keys_kernelI22helper_blocked_blockedaLj192ELj4ELj10EEvPKT0_PS1_,comdat
	.protected	_Z16sort_keys_kernelI22helper_blocked_blockedaLj192ELj4ELj10EEvPKT0_PS1_ ; -- Begin function _Z16sort_keys_kernelI22helper_blocked_blockedaLj192ELj4ELj10EEvPKT0_PS1_
	.globl	_Z16sort_keys_kernelI22helper_blocked_blockedaLj192ELj4ELj10EEvPKT0_PS1_
	.p2align	8
	.type	_Z16sort_keys_kernelI22helper_blocked_blockedaLj192ELj4ELj10EEvPKT0_PS1_,@function
_Z16sort_keys_kernelI22helper_blocked_blockedaLj192ELj4ELj10EEvPKT0_PS1_: ; @_Z16sort_keys_kernelI22helper_blocked_blockedaLj192ELj4ELj10EEvPKT0_PS1_
; %bb.0:
	s_load_dwordx4 s[36:39], s[4:5], 0x0
	s_load_dword s7, s[4:5], 0x1c
	s_mul_i32 s33, s6, 0x300
	v_mbcnt_lo_u32_b32 v6, -1, 0
	v_mbcnt_hi_u32_b32 v12, -1, v6
	s_waitcnt lgkmcnt(0)
	s_add_u32 s0, s36, s33
	s_addc_u32 s1, s37, 0
	global_load_ubyte v17, v0, s[0:1] offset:576
	global_load_ubyte v4, v0, s[0:1] offset:384
	;; [unrolled: 1-line block ×3, first 2 shown]
	global_load_ubyte v5, v0, s[0:1]
	s_lshr_b32 s6, s7, 16
	s_and_b32 s7, s7, 0xffff
	v_mad_u32_u24 v1, v2, s6, v1
	v_mad_u64_u32 v[1:2], s[6:7], v1, s7, v[0:1]
	v_and_b32_e32 v13, 64, v12
	v_lshrrev_b32_e32 v9, 2, v12
	v_lshrrev_b32_e32 v1, 4, v1
	v_and_b32_e32 v11, 0xffffffc, v1
	v_and_b32_e32 v1, 15, v12
	v_cmp_eq_u32_e64 s[6:7], 0, v1
	v_cmp_lt_u32_e64 s[8:9], 1, v1
	v_cmp_lt_u32_e64 s[10:11], 3, v1
	;; [unrolled: 1-line block ×3, first 2 shown]
	v_and_b32_e32 v1, 16, v12
	v_cmp_eq_u32_e64 s[14:15], 0, v1
	v_and_b32_e32 v1, 0xc0, v0
	v_min_u32_e32 v1, 0x80, v1
	v_or_b32_e32 v1, 63, v1
	v_cmp_eq_u32_e64 s[18:19], v0, v1
	v_subrev_co_u32_e64 v1, s[24:25], 1, v12
	v_cmp_lt_i32_e64 s[26:27], v1, v13
	v_or_b32_e32 v6, v9, v13
	v_add_u32_e32 v9, 48, v9
	v_cndmask_b32_e64 v1, v1, v12, s[26:27]
	v_lshrrev_b32_e32 v2, 4, v0
	v_and_b32_e32 v14, 3, v12
	v_lshlrev_b32_e32 v6, 2, v6
	v_and_or_b32 v9, v9, 63, v13
	v_lshlrev_b32_e32 v10, 4, v0
	v_cmp_lt_u32_e64 s[16:17], 31, v12
	v_lshlrev_b32_e32 v12, 2, v1
	v_mul_i32_i24_e32 v1, -12, v0
	v_and_b32_e32 v13, 12, v2
	v_mov_b32_e32 v3, 0
	v_cmp_eq_u32_e32 vcc, 3, v14
	v_cmp_eq_u32_e64 s[0:1], 2, v14
	v_cmp_eq_u32_e64 s[2:3], 1, v14
	;; [unrolled: 1-line block ×3, first 2 shown]
	v_add_u32_e32 v7, 64, v6
	s_movk_i32 s36, 0x80
	v_or_b32_e32 v8, 0x80, v6
	v_lshlrev_b32_e32 v9, 2, v9
	s_mov_b32 s37, 0xffff
	v_cmp_gt_u32_e64 s[20:21], 3, v0
	v_cmp_lt_u32_e64 s[22:23], 63, v0
	v_cmp_eq_u32_e64 s[26:27], 0, v0
	v_cmp_lt_u32_e64 s[28:29], 1, v14
	v_add_u32_e32 v14, -4, v13
	s_mov_b32 s40, 10
	s_movk_i32 s41, 0xff
	s_mov_b32 s42, 0x3020104
	s_mov_b32 s43, 0xffff0000
	;; [unrolled: 1-line block ×3, first 2 shown]
	s_movk_i32 s45, 0xff00
	v_mov_b32_e32 v15, 12
	v_add_u32_e32 v16, v10, v1
	s_branch .LBB68_2
.LBB68_1:                               ;   in Loop: Header=BB68_2 Depth=1
	s_or_b64 exec, exec, s[30:31]
	s_waitcnt lgkmcnt(0)
	v_add_u32_e32 v2, v32, v2
	ds_bpermute_b32 v2, v12, v2
	s_add_i32 s40, s40, -1
	s_cmp_eq_u32 s40, 0
	s_waitcnt lgkmcnt(0)
	v_cndmask_b32_e64 v2, v2, v32, s[24:25]
	v_cndmask_b32_e64 v2, v2, 0, s[26:27]
	v_add_u32_e32 v4, v2, v4
	v_add_u32_e32 v5, v4, v5
	;; [unrolled: 1-line block ×3, first 2 shown]
	ds_write2_b32 v10, v2, v4 offset0:3 offset1:4
	ds_write2_b32 v10, v5, v1 offset0:5 offset1:6
	s_waitcnt lgkmcnt(0)
	s_barrier
	ds_read_b32 v1, v19 offset:12
	ds_read_b32 v2, v23 offset:12
	;; [unrolled: 1-line block ×4, first 2 shown]
	s_waitcnt lgkmcnt(0)
	v_add_u32_e32 v1, v1, v18
	s_barrier
	ds_write_b8 v1, v17
	v_add3_u32 v1, v22, v21, v2
	ds_write_b8 v1, v20
	v_add3_u32 v1, v26, v25, v4
	ds_write_b8 v1, v24
	v_add3_u32 v1, v30, v29, v5
	ds_write_b8 v1, v28
	s_waitcnt lgkmcnt(0)
	s_barrier
	ds_read_b32 v1, v16
	s_waitcnt lgkmcnt(0)
	v_and_b32_e32 v2, 0xffffff00, v1
	v_xor_b32_e32 v4, 0x80, v1
	v_or_b32_sdwa v2, v4, v2 dst_sel:DWORD dst_unused:UNUSED_PAD src0_sel:BYTE_0 src1_sel:DWORD
	v_add_u16_e32 v5, 0x8000, v2
	v_and_b32_sdwa v2, v1, s45 dst_sel:DWORD dst_unused:UNUSED_PAD src0_sel:WORD_1 src1_sel:DWORD
	v_xor_b32_sdwa v1, v1, s36 dst_sel:DWORD dst_unused:UNUSED_PAD src0_sel:WORD_1 src1_sel:DWORD
	v_or_b32_sdwa v1, v1, v2 dst_sel:DWORD dst_unused:UNUSED_PAD src0_sel:BYTE_0 src1_sel:DWORD
	v_add_u16_e32 v4, 0x8000, v1
	v_lshlrev_b32_e32 v2, 16, v4
	v_or_b32_e32 v1, v5, v2
	v_lshrrev_b32_e32 v18, 8, v1
	v_lshrrev_b32_e32 v17, 24, v2
	s_cbranch_scc1 .LBB68_16
.LBB68_2:                               ; =>This Inner Loop Header: Depth=1
	s_waitcnt vmcnt(0)
	v_xor_b32_e32 v1, 0x80, v5
	v_xor_b32_e32 v2, 0x80, v18
	v_and_b32_e32 v1, 0xff, v1
	ds_bpermute_b32 v5, v6, v1
	v_xor_b32_e32 v4, 0x80, v4
	v_and_b32_e32 v2, 0xff, v2
	ds_bpermute_b32 v18, v6, v2
	v_and_b32_e32 v4, 0xff, v4
	ds_bpermute_b32 v19, v6, v4
	v_xor_b32_e32 v17, 0x80, v17
	v_and_b32_e32 v17, 0xff, v17
	s_waitcnt lgkmcnt(2)
	v_and_b32_e32 v5, 0xff, v5
	ds_bpermute_b32 v20, v6, v17
	v_cndmask_b32_e64 v5, 0, v5, s[4:5]
	s_waitcnt lgkmcnt(2)
	v_and_b32_e32 v18, 0xff, v18
	v_cndmask_b32_e64 v5, v5, v18, s[2:3]
	s_waitcnt lgkmcnt(1)
	v_and_b32_e32 v18, 0xff, v19
	ds_bpermute_b32 v19, v7, v1
	v_cndmask_b32_e64 v5, v5, v18, s[0:1]
	s_waitcnt lgkmcnt(1)
	v_perm_b32 v18, v20, v5, s42
	v_cndmask_b32_e32 v5, v5, v18, vcc
	ds_bpermute_b32 v18, v7, v2
	s_waitcnt lgkmcnt(1)
	v_lshlrev_b16_e32 v19, 8, v19
	v_or_b32_sdwa v19, v5, v19 dst_sel:DWORD dst_unused:UNUSED_PAD src0_sel:BYTE_0 src1_sel:DWORD
	v_and_b32_e32 v19, 0xffff, v19
	v_cndmask_b32_e64 v5, v5, v19, s[4:5]
	ds_bpermute_b32 v19, v7, v4
	s_waitcnt lgkmcnt(1)
	v_lshlrev_b16_e32 v18, 8, v18
	v_or_b32_sdwa v18, v5, v18 dst_sel:DWORD dst_unused:UNUSED_PAD src0_sel:BYTE_0 src1_sel:DWORD
	v_and_b32_e32 v18, 0xffff, v18
	v_and_or_b32 v18, v5, s43, v18
	v_cndmask_b32_e64 v5, v5, v18, s[2:3]
	s_waitcnt lgkmcnt(0)
	v_lshlrev_b16_e32 v18, 8, v19
	ds_bpermute_b32 v19, v7, v17
	v_or_b32_sdwa v18, v5, v18 dst_sel:DWORD dst_unused:UNUSED_PAD src0_sel:BYTE_0 src1_sel:DWORD
	v_and_b32_e32 v18, 0xffff, v18
	v_and_or_b32 v18, v5, s43, v18
	v_cndmask_b32_e64 v5, v5, v18, s[0:1]
	s_waitcnt lgkmcnt(0)
	v_lshlrev_b16_e32 v18, 8, v19
	ds_bpermute_b32 v19, v8, v1
	v_or_b32_sdwa v18, v5, v18 dst_sel:DWORD dst_unused:UNUSED_PAD src0_sel:BYTE_0 src1_sel:DWORD
	v_and_b32_e32 v18, 0xffff, v18
	v_and_or_b32 v18, v5, s43, v18
	v_cndmask_b32_e32 v5, v5, v18, vcc
	ds_bpermute_b32 v18, v8, v2
	s_waitcnt lgkmcnt(1)
	v_perm_b32 v19, v19, v5, s44
	v_lshlrev_b32_e32 v19, 16, v19
	v_and_or_b32 v19, v5, s37, v19
	v_cndmask_b32_e64 v5, v5, v19, s[4:5]
	ds_bpermute_b32 v19, v8, v4
	s_waitcnt lgkmcnt(1)
	v_perm_b32 v18, v18, v5, s44
	v_lshlrev_b32_e32 v18, 16, v18
	v_and_or_b32 v18, v5, s37, v18
	v_cndmask_b32_e64 v5, v5, v18, s[2:3]
	;; [unrolled: 6-line block ×3, first 2 shown]
	ds_bpermute_b32 v1, v9, v1
	s_waitcnt lgkmcnt(1)
	v_perm_b32 v18, v18, v5, s44
	v_lshlrev_b32_e32 v18, 16, v18
	v_and_or_b32 v18, v5, s37, v18
	v_cndmask_b32_e32 v5, v5, v18, vcc
	ds_bpermute_b32 v2, v9, v2
	v_and_b32_sdwa v18, v5, s41 dst_sel:DWORD dst_unused:UNUSED_PAD src0_sel:WORD_1 src1_sel:DWORD
	s_waitcnt lgkmcnt(1)
	v_lshlrev_b16_e32 v1, 8, v1
	v_or_b32_sdwa v1, v18, v1 dst_sel:WORD_1 dst_unused:UNUSED_PAD src0_sel:DWORD src1_sel:DWORD
	v_and_or_b32 v1, v5, s37, v1
	v_cndmask_b32_e64 v1, v5, v1, s[4:5]
	ds_bpermute_b32 v4, v9, v4
	v_and_b32_sdwa v5, v1, s41 dst_sel:DWORD dst_unused:UNUSED_PAD src0_sel:WORD_1 src1_sel:DWORD
	s_waitcnt lgkmcnt(1)
	v_lshlrev_b16_e32 v2, 8, v2
	v_or_b32_sdwa v2, v5, v2 dst_sel:WORD_1 dst_unused:UNUSED_PAD src0_sel:DWORD src1_sel:DWORD
	v_and_or_b32 v2, v1, s37, v2
	v_cndmask_b32_e64 v1, v1, v2, s[2:3]
	;; [unrolled: 7-line block ×3, first 2 shown]
	v_and_b32_sdwa v2, v1, s41 dst_sel:DWORD dst_unused:UNUSED_PAD src0_sel:WORD_1 src1_sel:DWORD
	s_waitcnt lgkmcnt(0)
	v_lshlrev_b16_e32 v4, 8, v5
	v_or_b32_sdwa v2, v2, v4 dst_sel:WORD_1 dst_unused:UNUSED_PAD src0_sel:DWORD src1_sel:DWORD
	v_and_or_b32 v2, v1, s37, v2
	v_cndmask_b32_e32 v17, v1, v2, vcc
	v_and_b32_e32 v1, 1, v17
	v_add_co_u32_e64 v2, s[30:31], -1, v1
	v_addc_co_u32_e64 v4, s[30:31], 0, -1, s[30:31]
	v_cmp_ne_u32_e64 s[30:31], 0, v1
	v_xor_b32_e32 v1, s31, v4
	v_lshlrev_b32_e32 v4, 30, v17
	v_xor_b32_e32 v2, s30, v2
	v_cmp_gt_i64_e64 s[30:31], 0, v[3:4]
	v_not_b32_e32 v4, v4
	v_ashrrev_i32_e32 v4, 31, v4
	v_and_b32_e32 v2, exec_lo, v2
	v_xor_b32_e32 v18, s31, v4
	v_xor_b32_e32 v4, s30, v4
	v_and_b32_e32 v2, v2, v4
	v_lshlrev_b32_e32 v4, 29, v17
	v_cmp_gt_i64_e64 s[30:31], 0, v[3:4]
	v_not_b32_e32 v4, v4
	v_and_b32_e32 v1, exec_hi, v1
	v_ashrrev_i32_e32 v4, 31, v4
	v_and_b32_e32 v1, v1, v18
	v_xor_b32_e32 v18, s31, v4
	v_xor_b32_e32 v4, s30, v4
	v_and_b32_e32 v2, v2, v4
	v_lshlrev_b32_e32 v4, 28, v17
	v_cmp_gt_i64_e64 s[30:31], 0, v[3:4]
	v_not_b32_e32 v4, v4
	v_ashrrev_i32_e32 v4, 31, v4
	v_and_b32_e32 v1, v1, v18
	v_xor_b32_e32 v18, s31, v4
	v_xor_b32_e32 v4, s30, v4
	v_and_b32_e32 v2, v2, v4
	v_lshlrev_b32_e32 v4, 27, v17
	v_cmp_gt_i64_e64 s[30:31], 0, v[3:4]
	v_not_b32_e32 v4, v4
	;; [unrolled: 8-line block ×4, first 2 shown]
	v_ashrrev_i32_e32 v4, 31, v4
	v_and_b32_e32 v1, v1, v18
	v_xor_b32_e32 v18, s31, v4
	v_xor_b32_e32 v4, s30, v4
	v_and_b32_e32 v1, v1, v18
	v_and_b32_e32 v18, v2, v4
	v_lshlrev_b32_e32 v4, 24, v17
	v_cmp_gt_i64_e64 s[30:31], 0, v[3:4]
	v_not_b32_e32 v2, v4
	v_ashrrev_i32_e32 v2, 31, v2
	v_xor_b32_e32 v4, s31, v2
	v_xor_b32_e32 v19, s30, v2
	v_and_b32_e32 v2, v1, v4
	v_and_b32_e32 v1, v18, v19
	v_mbcnt_lo_u32_b32 v4, v1, 0
	v_mbcnt_hi_u32_b32 v18, v2, v4
	v_cmp_ne_u64_e64 s[30:31], 0, v[1:2]
	v_mul_u32_u24_sdwa v5, v17, v15 dst_sel:DWORD dst_unused:UNUSED_PAD src0_sel:BYTE_0 src1_sel:DWORD
	v_cmp_eq_u32_e64 s[34:35], 0, v18
	s_and_b64 s[34:35], s[34:35], s[30:31]
	v_add_u32_e32 v19, v11, v5
	s_barrier
	ds_write2_b32 v10, v3, v3 offset0:3 offset1:4
	ds_write2_b32 v10, v3, v3 offset0:5 offset1:6
	s_waitcnt lgkmcnt(0)
	s_barrier
	; wave barrier
	s_and_saveexec_b64 s[30:31], s[34:35]
; %bb.3:                                ;   in Loop: Header=BB68_2 Depth=1
	v_bcnt_u32_b32 v1, v1, 0
	v_bcnt_u32_b32 v1, v2, v1
	ds_write_b32 v19, v1 offset:12
; %bb.4:                                ;   in Loop: Header=BB68_2 Depth=1
	s_or_b64 exec, exec, s[30:31]
	v_bfe_u32 v1, v17, 8, 8
	v_mul_u32_u24_e32 v5, 12, v1
	v_mad_u32_u24 v1, v1, 12, v11
	; wave barrier
	ds_read_b32 v21, v1 offset:12
	v_bfe_u32 v1, v17, 8, 1
	v_add_co_u32_e64 v2, s[30:31], -1, v1
	v_addc_co_u32_e64 v4, s[30:31], 0, -1, s[30:31]
	v_lshrrev_b32_e32 v20, 8, v17
	v_cmp_ne_u32_e64 s[30:31], 0, v1
	v_xor_b32_e32 v1, s31, v4
	v_lshlrev_b32_e32 v4, 30, v20
	v_xor_b32_e32 v2, s30, v2
	v_cmp_gt_i64_e64 s[30:31], 0, v[3:4]
	v_not_b32_e32 v4, v4
	v_ashrrev_i32_e32 v4, 31, v4
	v_and_b32_e32 v2, exec_lo, v2
	v_xor_b32_e32 v22, s31, v4
	v_xor_b32_e32 v4, s30, v4
	v_and_b32_e32 v2, v2, v4
	v_lshlrev_b32_e32 v4, 29, v20
	v_cmp_gt_i64_e64 s[30:31], 0, v[3:4]
	v_not_b32_e32 v4, v4
	v_and_b32_e32 v1, exec_hi, v1
	v_ashrrev_i32_e32 v4, 31, v4
	v_and_b32_e32 v1, v1, v22
	v_xor_b32_e32 v22, s31, v4
	v_xor_b32_e32 v4, s30, v4
	v_and_b32_e32 v2, v2, v4
	v_lshlrev_b32_e32 v4, 28, v20
	v_cmp_gt_i64_e64 s[30:31], 0, v[3:4]
	v_not_b32_e32 v4, v4
	v_ashrrev_i32_e32 v4, 31, v4
	v_and_b32_e32 v1, v1, v22
	v_xor_b32_e32 v22, s31, v4
	v_xor_b32_e32 v4, s30, v4
	v_and_b32_e32 v2, v2, v4
	v_lshlrev_b32_e32 v4, 27, v20
	v_cmp_gt_i64_e64 s[30:31], 0, v[3:4]
	v_not_b32_e32 v4, v4
	;; [unrolled: 8-line block ×4, first 2 shown]
	v_ashrrev_i32_e32 v4, 31, v4
	v_and_b32_e32 v1, v1, v22
	v_xor_b32_e32 v22, s31, v4
	v_xor_b32_e32 v4, s30, v4
	v_and_b32_e32 v1, v1, v22
	v_and_b32_e32 v22, v2, v4
	v_lshlrev_b32_e32 v4, 24, v20
	v_cmp_gt_i64_e64 s[30:31], 0, v[3:4]
	v_not_b32_e32 v2, v4
	v_ashrrev_i32_e32 v2, 31, v2
	v_xor_b32_e32 v4, s31, v2
	v_xor_b32_e32 v23, s30, v2
	v_and_b32_e32 v2, v1, v4
	v_and_b32_e32 v1, v22, v23
	v_mbcnt_lo_u32_b32 v4, v1, 0
	v_mbcnt_hi_u32_b32 v22, v2, v4
	v_cmp_ne_u64_e64 s[30:31], 0, v[1:2]
	v_cmp_eq_u32_e64 s[34:35], 0, v22
	s_and_b64 s[34:35], s[30:31], s[34:35]
	v_add_u32_e32 v23, v11, v5
	; wave barrier
	s_and_saveexec_b64 s[30:31], s[34:35]
	s_cbranch_execz .LBB68_6
; %bb.5:                                ;   in Loop: Header=BB68_2 Depth=1
	v_bcnt_u32_b32 v1, v1, 0
	v_bcnt_u32_b32 v1, v2, v1
	s_waitcnt lgkmcnt(0)
	v_add_u32_e32 v1, v21, v1
	ds_write_b32 v23, v1 offset:12
.LBB68_6:                               ;   in Loop: Header=BB68_2 Depth=1
	s_or_b64 exec, exec, s[30:31]
	v_bfe_u32 v1, v17, 16, 8
	v_mul_u32_u24_e32 v5, 12, v1
	v_mad_u32_u24 v1, v1, 12, v11
	; wave barrier
	ds_read_b32 v25, v1 offset:12
	v_bfe_u32 v1, v17, 16, 1
	v_add_co_u32_e64 v2, s[30:31], -1, v1
	v_addc_co_u32_e64 v4, s[30:31], 0, -1, s[30:31]
	v_lshrrev_b32_e32 v24, 16, v17
	v_cmp_ne_u32_e64 s[30:31], 0, v1
	v_xor_b32_e32 v1, s31, v4
	v_lshlrev_b32_e32 v4, 30, v24
	v_xor_b32_e32 v2, s30, v2
	v_cmp_gt_i64_e64 s[30:31], 0, v[3:4]
	v_not_b32_e32 v4, v4
	v_ashrrev_i32_e32 v4, 31, v4
	v_and_b32_e32 v2, exec_lo, v2
	v_xor_b32_e32 v26, s31, v4
	v_xor_b32_e32 v4, s30, v4
	v_and_b32_e32 v2, v2, v4
	v_lshlrev_b32_e32 v4, 29, v24
	v_cmp_gt_i64_e64 s[30:31], 0, v[3:4]
	v_not_b32_e32 v4, v4
	v_and_b32_e32 v1, exec_hi, v1
	v_ashrrev_i32_e32 v4, 31, v4
	v_and_b32_e32 v1, v1, v26
	v_xor_b32_e32 v26, s31, v4
	v_xor_b32_e32 v4, s30, v4
	v_and_b32_e32 v2, v2, v4
	v_lshlrev_b32_e32 v4, 28, v24
	v_cmp_gt_i64_e64 s[30:31], 0, v[3:4]
	v_not_b32_e32 v4, v4
	v_ashrrev_i32_e32 v4, 31, v4
	v_and_b32_e32 v1, v1, v26
	v_xor_b32_e32 v26, s31, v4
	v_xor_b32_e32 v4, s30, v4
	v_and_b32_e32 v2, v2, v4
	v_lshlrev_b32_e32 v4, 27, v24
	v_cmp_gt_i64_e64 s[30:31], 0, v[3:4]
	v_not_b32_e32 v4, v4
	;; [unrolled: 8-line block ×4, first 2 shown]
	v_ashrrev_i32_e32 v4, 31, v4
	v_and_b32_e32 v1, v1, v26
	v_xor_b32_e32 v26, s31, v4
	v_xor_b32_e32 v4, s30, v4
	v_and_b32_e32 v1, v1, v26
	v_and_b32_e32 v26, v2, v4
	v_lshlrev_b32_e32 v4, 24, v24
	v_cmp_gt_i64_e64 s[30:31], 0, v[3:4]
	v_not_b32_e32 v2, v4
	v_ashrrev_i32_e32 v2, 31, v2
	v_xor_b32_e32 v4, s31, v2
	v_xor_b32_e32 v27, s30, v2
	v_and_b32_e32 v2, v1, v4
	v_and_b32_e32 v1, v26, v27
	v_mbcnt_lo_u32_b32 v4, v1, 0
	v_mbcnt_hi_u32_b32 v26, v2, v4
	v_cmp_ne_u64_e64 s[30:31], 0, v[1:2]
	v_cmp_eq_u32_e64 s[34:35], 0, v26
	s_and_b64 s[34:35], s[30:31], s[34:35]
	v_add_u32_e32 v27, v11, v5
	; wave barrier
	s_and_saveexec_b64 s[30:31], s[34:35]
	s_cbranch_execz .LBB68_8
; %bb.7:                                ;   in Loop: Header=BB68_2 Depth=1
	v_bcnt_u32_b32 v1, v1, 0
	v_bcnt_u32_b32 v1, v2, v1
	s_waitcnt lgkmcnt(0)
	v_add_u32_e32 v1, v25, v1
	ds_write_b32 v27, v1 offset:12
.LBB68_8:                               ;   in Loop: Header=BB68_2 Depth=1
	s_or_b64 exec, exec, s[30:31]
	v_lshrrev_b32_e32 v28, 24, v17
	v_mad_u32_u24 v1, v28, 12, v11
	; wave barrier
	ds_read_b32 v29, v1 offset:12
	v_bfe_u32 v1, v17, 24, 1
	v_add_co_u32_e64 v2, s[30:31], -1, v1
	v_addc_co_u32_e64 v4, s[30:31], 0, -1, s[30:31]
	v_cmp_ne_u32_e64 s[30:31], 0, v1
	v_xor_b32_e32 v1, s31, v4
	v_lshlrev_b32_e32 v4, 30, v28
	v_xor_b32_e32 v2, s30, v2
	v_cmp_gt_i64_e64 s[30:31], 0, v[3:4]
	v_not_b32_e32 v4, v4
	v_ashrrev_i32_e32 v4, 31, v4
	v_and_b32_e32 v2, exec_lo, v2
	v_xor_b32_e32 v30, s31, v4
	v_xor_b32_e32 v4, s30, v4
	v_and_b32_e32 v2, v2, v4
	v_lshlrev_b32_e32 v4, 29, v28
	v_cmp_gt_i64_e64 s[30:31], 0, v[3:4]
	v_not_b32_e32 v4, v4
	v_and_b32_e32 v1, exec_hi, v1
	v_ashrrev_i32_e32 v4, 31, v4
	v_and_b32_e32 v1, v1, v30
	v_xor_b32_e32 v30, s31, v4
	v_xor_b32_e32 v4, s30, v4
	v_and_b32_e32 v2, v2, v4
	v_lshlrev_b32_e32 v4, 28, v28
	v_cmp_gt_i64_e64 s[30:31], 0, v[3:4]
	v_not_b32_e32 v4, v4
	v_ashrrev_i32_e32 v4, 31, v4
	v_and_b32_e32 v1, v1, v30
	v_xor_b32_e32 v30, s31, v4
	v_xor_b32_e32 v4, s30, v4
	v_and_b32_e32 v2, v2, v4
	v_lshlrev_b32_e32 v4, 27, v28
	v_cmp_gt_i64_e64 s[30:31], 0, v[3:4]
	v_not_b32_e32 v4, v4
	;; [unrolled: 8-line block ×4, first 2 shown]
	v_ashrrev_i32_e32 v4, 31, v4
	v_and_b32_e32 v1, v1, v30
	v_xor_b32_e32 v30, s31, v4
	v_xor_b32_e32 v4, s30, v4
	v_and_b32_e32 v1, v1, v30
	v_and_b32_e32 v30, v2, v4
	;; [unrolled: 1-line block ×3, first 2 shown]
	v_cmp_gt_i64_e64 s[30:31], 0, v[3:4]
	v_not_b32_e32 v2, v4
	v_ashrrev_i32_e32 v2, 31, v2
	v_xor_b32_e32 v4, s31, v2
	v_xor_b32_e32 v31, s30, v2
	v_and_b32_e32 v2, v1, v4
	v_and_b32_e32 v1, v30, v31
	v_mbcnt_lo_u32_b32 v4, v1, 0
	v_mbcnt_hi_u32_b32 v30, v2, v4
	v_cmp_ne_u64_e64 s[30:31], 0, v[1:2]
	v_mul_u32_u24_e32 v5, 12, v28
	v_cmp_eq_u32_e64 s[34:35], 0, v30
	s_and_b64 s[34:35], s[30:31], s[34:35]
	v_add_u32_e32 v31, v11, v5
	; wave barrier
	s_and_saveexec_b64 s[30:31], s[34:35]
	s_cbranch_execz .LBB68_10
; %bb.9:                                ;   in Loop: Header=BB68_2 Depth=1
	v_bcnt_u32_b32 v1, v1, 0
	v_bcnt_u32_b32 v1, v2, v1
	s_waitcnt lgkmcnt(0)
	v_add_u32_e32 v1, v29, v1
	ds_write_b32 v31, v1 offset:12
.LBB68_10:                              ;   in Loop: Header=BB68_2 Depth=1
	s_or_b64 exec, exec, s[30:31]
	; wave barrier
	s_waitcnt lgkmcnt(0)
	s_barrier
	ds_read2_b32 v[4:5], v10 offset0:3 offset1:4
	ds_read2_b32 v[1:2], v10 offset0:5 offset1:6
	s_waitcnt lgkmcnt(1)
	v_add_u32_e32 v32, v5, v4
	s_waitcnt lgkmcnt(0)
	v_add3_u32 v2, v32, v1, v2
	s_nop 1
	v_mov_b32_dpp v32, v2 row_shr:1 row_mask:0xf bank_mask:0xf
	v_cndmask_b32_e64 v32, v32, 0, s[6:7]
	v_add_u32_e32 v2, v32, v2
	s_nop 1
	v_mov_b32_dpp v32, v2 row_shr:2 row_mask:0xf bank_mask:0xf
	v_cndmask_b32_e64 v32, 0, v32, s[8:9]
	v_add_u32_e32 v2, v2, v32
	;; [unrolled: 4-line block ×4, first 2 shown]
	s_nop 1
	v_mov_b32_dpp v32, v2 row_bcast:15 row_mask:0xf bank_mask:0xf
	v_cndmask_b32_e64 v32, v32, 0, s[14:15]
	v_add_u32_e32 v2, v2, v32
	s_nop 1
	v_mov_b32_dpp v32, v2 row_bcast:31 row_mask:0xf bank_mask:0xf
	v_cndmask_b32_e64 v32, 0, v32, s[16:17]
	v_add_u32_e32 v2, v2, v32
	s_and_saveexec_b64 s[30:31], s[18:19]
; %bb.11:                               ;   in Loop: Header=BB68_2 Depth=1
	ds_write_b32 v13, v2
; %bb.12:                               ;   in Loop: Header=BB68_2 Depth=1
	s_or_b64 exec, exec, s[30:31]
	s_waitcnt lgkmcnt(0)
	s_barrier
	s_and_saveexec_b64 s[30:31], s[20:21]
	s_cbranch_execz .LBB68_14
; %bb.13:                               ;   in Loop: Header=BB68_2 Depth=1
	ds_read_b32 v32, v16
	s_waitcnt lgkmcnt(0)
	s_nop 0
	v_mov_b32_dpp v33, v32 row_shr:1 row_mask:0xf bank_mask:0xf
	v_cndmask_b32_e64 v33, v33, 0, s[4:5]
	v_add_u32_e32 v32, v33, v32
	s_nop 1
	v_mov_b32_dpp v33, v32 row_shr:2 row_mask:0xf bank_mask:0xf
	v_cndmask_b32_e64 v33, 0, v33, s[28:29]
	v_add_u32_e32 v32, v32, v33
	ds_write_b32 v16, v32
.LBB68_14:                              ;   in Loop: Header=BB68_2 Depth=1
	s_or_b64 exec, exec, s[30:31]
	v_mov_b32_e32 v32, 0
	s_waitcnt lgkmcnt(0)
	s_barrier
	s_and_saveexec_b64 s[30:31], s[22:23]
	s_cbranch_execz .LBB68_1
; %bb.15:                               ;   in Loop: Header=BB68_2 Depth=1
	ds_read_b32 v32, v14
	s_branch .LBB68_1
.LBB68_16:
	s_add_u32 s0, s38, s33
	s_addc_u32 s1, s39, 0
	v_mov_b32_e32 v3, s1
	v_add_co_u32_e32 v2, vcc, s0, v0
	v_addc_co_u32_e32 v3, vcc, 0, v3, vcc
	v_lshrrev_b32_e32 v0, 8, v1
	global_store_byte v[2:3], v1, off
	global_store_byte v[2:3], v0, off offset:192
	global_store_byte_d16_hi v[2:3], v1, off offset:384
	v_lshrrev_b32_e32 v0, 24, v1
	global_store_byte v[2:3], v0, off offset:576
	s_endpgm
	.section	.rodata,"a",@progbits
	.p2align	6, 0x0
	.amdhsa_kernel _Z16sort_keys_kernelI22helper_blocked_blockedaLj192ELj4ELj10EEvPKT0_PS1_
		.amdhsa_group_segment_fixed_size 3088
		.amdhsa_private_segment_fixed_size 0
		.amdhsa_kernarg_size 272
		.amdhsa_user_sgpr_count 6
		.amdhsa_user_sgpr_private_segment_buffer 1
		.amdhsa_user_sgpr_dispatch_ptr 0
		.amdhsa_user_sgpr_queue_ptr 0
		.amdhsa_user_sgpr_kernarg_segment_ptr 1
		.amdhsa_user_sgpr_dispatch_id 0
		.amdhsa_user_sgpr_flat_scratch_init 0
		.amdhsa_user_sgpr_private_segment_size 0
		.amdhsa_uses_dynamic_stack 0
		.amdhsa_system_sgpr_private_segment_wavefront_offset 0
		.amdhsa_system_sgpr_workgroup_id_x 1
		.amdhsa_system_sgpr_workgroup_id_y 0
		.amdhsa_system_sgpr_workgroup_id_z 0
		.amdhsa_system_sgpr_workgroup_info 0
		.amdhsa_system_vgpr_workitem_id 2
		.amdhsa_next_free_vgpr 34
		.amdhsa_next_free_sgpr 46
		.amdhsa_reserve_vcc 1
		.amdhsa_reserve_flat_scratch 0
		.amdhsa_float_round_mode_32 0
		.amdhsa_float_round_mode_16_64 0
		.amdhsa_float_denorm_mode_32 3
		.amdhsa_float_denorm_mode_16_64 3
		.amdhsa_dx10_clamp 1
		.amdhsa_ieee_mode 1
		.amdhsa_fp16_overflow 0
		.amdhsa_exception_fp_ieee_invalid_op 0
		.amdhsa_exception_fp_denorm_src 0
		.amdhsa_exception_fp_ieee_div_zero 0
		.amdhsa_exception_fp_ieee_overflow 0
		.amdhsa_exception_fp_ieee_underflow 0
		.amdhsa_exception_fp_ieee_inexact 0
		.amdhsa_exception_int_div_zero 0
	.end_amdhsa_kernel
	.section	.text._Z16sort_keys_kernelI22helper_blocked_blockedaLj192ELj4ELj10EEvPKT0_PS1_,"axG",@progbits,_Z16sort_keys_kernelI22helper_blocked_blockedaLj192ELj4ELj10EEvPKT0_PS1_,comdat
.Lfunc_end68:
	.size	_Z16sort_keys_kernelI22helper_blocked_blockedaLj192ELj4ELj10EEvPKT0_PS1_, .Lfunc_end68-_Z16sort_keys_kernelI22helper_blocked_blockedaLj192ELj4ELj10EEvPKT0_PS1_
                                        ; -- End function
	.set _Z16sort_keys_kernelI22helper_blocked_blockedaLj192ELj4ELj10EEvPKT0_PS1_.num_vgpr, 34
	.set _Z16sort_keys_kernelI22helper_blocked_blockedaLj192ELj4ELj10EEvPKT0_PS1_.num_agpr, 0
	.set _Z16sort_keys_kernelI22helper_blocked_blockedaLj192ELj4ELj10EEvPKT0_PS1_.numbered_sgpr, 46
	.set _Z16sort_keys_kernelI22helper_blocked_blockedaLj192ELj4ELj10EEvPKT0_PS1_.num_named_barrier, 0
	.set _Z16sort_keys_kernelI22helper_blocked_blockedaLj192ELj4ELj10EEvPKT0_PS1_.private_seg_size, 0
	.set _Z16sort_keys_kernelI22helper_blocked_blockedaLj192ELj4ELj10EEvPKT0_PS1_.uses_vcc, 1
	.set _Z16sort_keys_kernelI22helper_blocked_blockedaLj192ELj4ELj10EEvPKT0_PS1_.uses_flat_scratch, 0
	.set _Z16sort_keys_kernelI22helper_blocked_blockedaLj192ELj4ELj10EEvPKT0_PS1_.has_dyn_sized_stack, 0
	.set _Z16sort_keys_kernelI22helper_blocked_blockedaLj192ELj4ELj10EEvPKT0_PS1_.has_recursion, 0
	.set _Z16sort_keys_kernelI22helper_blocked_blockedaLj192ELj4ELj10EEvPKT0_PS1_.has_indirect_call, 0
	.section	.AMDGPU.csdata,"",@progbits
; Kernel info:
; codeLenInByte = 3452
; TotalNumSgprs: 50
; NumVgprs: 34
; ScratchSize: 0
; MemoryBound: 0
; FloatMode: 240
; IeeeMode: 1
; LDSByteSize: 3088 bytes/workgroup (compile time only)
; SGPRBlocks: 6
; VGPRBlocks: 8
; NumSGPRsForWavesPerEU: 50
; NumVGPRsForWavesPerEU: 34
; Occupancy: 7
; WaveLimiterHint : 1
; COMPUTE_PGM_RSRC2:SCRATCH_EN: 0
; COMPUTE_PGM_RSRC2:USER_SGPR: 6
; COMPUTE_PGM_RSRC2:TRAP_HANDLER: 0
; COMPUTE_PGM_RSRC2:TGID_X_EN: 1
; COMPUTE_PGM_RSRC2:TGID_Y_EN: 0
; COMPUTE_PGM_RSRC2:TGID_Z_EN: 0
; COMPUTE_PGM_RSRC2:TIDIG_COMP_CNT: 2
	.section	.text._Z17sort_pairs_kernelI22helper_blocked_blockedaLj192ELj4ELj10EEvPKT0_PS1_,"axG",@progbits,_Z17sort_pairs_kernelI22helper_blocked_blockedaLj192ELj4ELj10EEvPKT0_PS1_,comdat
	.protected	_Z17sort_pairs_kernelI22helper_blocked_blockedaLj192ELj4ELj10EEvPKT0_PS1_ ; -- Begin function _Z17sort_pairs_kernelI22helper_blocked_blockedaLj192ELj4ELj10EEvPKT0_PS1_
	.globl	_Z17sort_pairs_kernelI22helper_blocked_blockedaLj192ELj4ELj10EEvPKT0_PS1_
	.p2align	8
	.type	_Z17sort_pairs_kernelI22helper_blocked_blockedaLj192ELj4ELj10EEvPKT0_PS1_,@function
_Z17sort_pairs_kernelI22helper_blocked_blockedaLj192ELj4ELj10EEvPKT0_PS1_: ; @_Z17sort_pairs_kernelI22helper_blocked_blockedaLj192ELj4ELj10EEvPKT0_PS1_
; %bb.0:
	s_load_dwordx4 s[36:39], s[4:5], 0x0
	s_load_dword s30, s[4:5], 0x1c
	s_mul_i32 s33, s6, 0x300
	v_mbcnt_lo_u32_b32 v7, -1, 0
	v_mbcnt_hi_u32_b32 v9, -1, v7
	s_waitcnt lgkmcnt(0)
	s_add_u32 s0, s36, s33
	s_addc_u32 s1, s37, 0
	global_load_ubyte v5, v0, s[0:1]
	global_load_ubyte v17, v0, s[0:1] offset:192
	global_load_ubyte v4, v0, s[0:1] offset:384
	;; [unrolled: 1-line block ×3, first 2 shown]
	s_lshr_b32 s31, s30, 16
	s_and_b32 s30, s30, 0xffff
	v_mad_u32_u24 v1, v2, s31, v1
	v_mad_u64_u32 v[1:2], s[30:31], v1, s30, v[0:1]
	v_and_b32_e32 v8, 0xc0, v0
	v_lshrrev_b32_e32 v10, 4, v0
	v_lshrrev_b32_e32 v11, 2, v9
	v_and_b32_e32 v13, 64, v9
	v_subrev_co_u32_e64 v20, s[8:9], 1, v9
	v_and_b32_e32 v14, 15, v9
	v_and_b32_e32 v15, 16, v9
	v_min_u32_e32 v19, 0x80, v8
	v_and_b32_e32 v8, 12, v10
	v_cmp_lt_i32_e64 s[26:27], v20, v13
	v_or_b32_e32 v10, v11, v13
	v_add_u32_e32 v11, 48, v11
	v_cmp_eq_u32_e64 s[10:11], 0, v14
	v_cmp_lt_u32_e64 s[12:13], 1, v14
	v_cmp_lt_u32_e64 s[14:15], 3, v14
	;; [unrolled: 1-line block ×3, first 2 shown]
	v_cmp_eq_u32_e64 s[18:19], 0, v15
	v_cndmask_b32_e64 v14, v20, v9, s[26:27]
	v_or_b32_e32 v15, 63, v19
	v_and_or_b32 v19, v11, 63, v13
	v_lshrrev_b32_e32 v1, 4, v1
	v_cmp_eq_u32_e64 s[28:29], v0, v15
	v_lshlrev_b32_e32 v11, 2, v14
	v_lshlrev_b32_e32 v14, 2, v19
	v_and_b32_e32 v15, 0xffffffc, v1
	s_movk_i32 s34, 0x100
	v_lshlrev_b32_e32 v7, 4, v0
	v_mul_i32_i24_e32 v16, -12, v0
	v_and_b32_e32 v12, 3, v9
	v_lshlrev_b32_e32 v10, 2, v10
	v_mov_b32_e32 v3, 0
	s_movk_i32 s36, 0xff
	s_movk_i32 s37, 0x80
	s_mov_b32 s40, 0xffff
	s_mov_b32 s41, 10
	;; [unrolled: 1-line block ×7, first 2 shown]
	s_movk_i32 s47, 0xff00
	v_mov_b32_e32 v6, 12
	v_cmp_gt_u32_e64 s[0:1], 3, v0
	v_cmp_lt_u32_e64 s[2:3], 63, v0
	v_cmp_eq_u32_e64 s[4:5], 0, v0
	v_cmp_lt_u32_e64 s[6:7], 31, v9
	v_cmp_eq_u32_e64 s[20:21], 3, v12
	v_cmp_eq_u32_e64 s[22:23], 2, v12
	;; [unrolled: 1-line block ×3, first 2 shown]
	v_cmp_eq_u32_e32 vcc, 0, v12
	v_cmp_lt_u32_e64 s[26:27], 1, v12
	v_add_u32_e32 v9, -4, v8
	v_add_u32_e32 v12, 64, v10
	v_or_b32_e32 v13, 0x80, v10
	v_add_u32_e32 v16, v7, v16
	s_waitcnt vmcnt(3)
	v_add_u16_e32 v1, 1, v5
	s_waitcnt vmcnt(2)
	v_lshlrev_b16_e32 v2, 8, v17
	s_waitcnt vmcnt(1)
	v_add_u16_e32 v19, 1, v4
	s_waitcnt vmcnt(0)
	v_lshlrev_b16_e32 v20, 8, v18
	v_or_b32_sdwa v1, v2, v1 dst_sel:DWORD dst_unused:UNUSED_PAD src0_sel:DWORD src1_sel:BYTE_0
	v_or_b32_sdwa v2, v20, v19 dst_sel:DWORD dst_unused:UNUSED_PAD src0_sel:DWORD src1_sel:BYTE_0
	v_add_u16_e32 v1, 0x100, v1
	v_add_u16_sdwa v2, v2, s34 dst_sel:WORD_1 dst_unused:UNUSED_PAD src0_sel:DWORD src1_sel:DWORD
	v_or_b32_e32 v1, v1, v2
	s_branch .LBB69_2
.LBB69_1:                               ;   in Loop: Header=BB69_2 Depth=1
	s_or_b64 exec, exec, s[30:31]
	v_cndmask_b32_sdwa v18, v3, v18, vcc dst_sel:DWORD dst_unused:UNUSED_PAD src0_sel:DWORD src1_sel:BYTE_0
	v_and_b32_e32 v19, 0xff, v19
	v_cndmask_b32_e64 v18, v18, v19, s[24:25]
	v_and_b32_e32 v19, 0xff, v36
	v_cndmask_b32_e64 v18, v18, v19, s[22:23]
	v_perm_b32 v19, v37, v18, s42
	v_cndmask_b32_e64 v18, v18, v19, s[20:21]
	v_perm_b32 v19, v18, v32, s45
	v_cndmask_b32_e32 v18, v18, v19, vcc
	v_perm_b32 v19, v18, v33, s45
	v_cndmask_b32_e64 v18, v18, v19, s[24:25]
	v_perm_b32 v19, v18, v34, s45
	v_cndmask_b32_e64 v18, v18, v19, s[22:23]
	;; [unrolled: 2-line block ×3, first 2 shown]
	v_perm_b32 v19, v31, v18, s44
	v_lshlrev_b32_e32 v19, 16, v19
	v_and_or_b32 v19, v18, s40, v19
	v_cndmask_b32_e32 v18, v18, v19, vcc
	v_perm_b32 v19, v28, v18, s44
	v_lshlrev_b32_e32 v19, 16, v19
	v_and_or_b32 v19, v18, s40, v19
	v_cndmask_b32_e64 v18, v18, v19, s[24:25]
	v_perm_b32 v19, v29, v18, s44
	v_lshlrev_b32_e32 v19, 16, v19
	v_and_or_b32 v19, v18, s40, v19
	s_waitcnt lgkmcnt(0)
	v_add_u32_e32 v5, v48, v5
	v_cndmask_b32_e64 v18, v18, v19, s[22:23]
	ds_bpermute_b32 v5, v11, v5
	v_perm_b32 v19, v30, v18, s44
	v_lshlrev_b32_e32 v19, 16, v19
	v_and_or_b32 v19, v18, s40, v19
	v_cndmask_b32_e64 v18, v18, v19, s[20:21]
	v_perm_b32 v19, v18, v25, s46
	s_waitcnt lgkmcnt(0)
	v_cndmask_b32_e64 v5, v5, v48, s[8:9]
	v_lshlrev_b32_e32 v19, 16, v19
	v_cndmask_b32_e64 v5, v5, 0, s[4:5]
	v_and_or_b32 v19, v18, s40, v19
	v_add_u32_e32 v1, v5, v1
	v_cndmask_b32_e32 v18, v18, v19, vcc
	v_add_u32_e32 v2, v1, v2
	v_perm_b32 v19, v18, v22, s46
	v_add_u32_e32 v4, v2, v4
	v_lshlrev_b32_e32 v19, 16, v19
	ds_write2_b32 v7, v5, v1 offset0:3 offset1:4
	ds_write2_b32 v7, v2, v4 offset0:5 offset1:6
	s_waitcnt lgkmcnt(0)
	s_barrier
	ds_read_b32 v1, v21 offset:12
	ds_read_b32 v2, v39 offset:12
	;; [unrolled: 1-line block ×4, first 2 shown]
	v_and_or_b32 v19, v18, s40, v19
	v_cndmask_b32_e64 v18, v18, v19, s[24:25]
	v_perm_b32 v19, v18, v23, s46
	v_lshlrev_b32_e32 v19, 16, v19
	v_and_or_b32 v19, v18, s40, v19
	s_waitcnt lgkmcnt(3)
	v_add_u32_e32 v1, v1, v20
	s_waitcnt lgkmcnt(2)
	v_add3_u32 v2, v38, v27, v2
	s_waitcnt lgkmcnt(1)
	v_add3_u32 v4, v42, v41, v4
	;; [unrolled: 2-line block ×3, first 2 shown]
	v_cndmask_b32_e64 v18, v18, v19, s[22:23]
	s_barrier
	ds_write_b8 v1, v17
	ds_write_b8 v2, v26
	;; [unrolled: 1-line block ×4, first 2 shown]
	s_waitcnt lgkmcnt(0)
	s_barrier
	ds_read_b32 v17, v16
	v_perm_b32 v19, v18, v24, s46
	v_lshlrev_b32_e32 v19, 16, v19
	v_and_or_b32 v19, v18, s40, v19
	v_cndmask_b32_e64 v18, v18, v19, s[20:21]
	v_lshrrev_b32_e32 v19, 8, v18
	v_lshrrev_b32_e32 v22, 24, v18
	s_waitcnt lgkmcnt(0)
	s_barrier
	ds_write_b8 v1, v18
	ds_write_b8 v2, v19
	ds_write_b8_d16_hi v4, v18
	ds_write_b8 v5, v22
	v_and_b32_e32 v2, 0xffffff00, v17
	v_xor_b32_e32 v4, 0x80, v17
	v_or_b32_sdwa v2, v4, v2 dst_sel:DWORD dst_unused:UNUSED_PAD src0_sel:BYTE_0 src1_sel:DWORD
	v_add_u16_e32 v5, 0x8000, v2
	v_and_b32_sdwa v2, v17, s47 dst_sel:DWORD dst_unused:UNUSED_PAD src0_sel:WORD_1 src1_sel:DWORD
	v_xor_b32_sdwa v4, v17, s37 dst_sel:DWORD dst_unused:UNUSED_PAD src0_sel:WORD_1 src1_sel:DWORD
	s_waitcnt lgkmcnt(0)
	s_barrier
	ds_read_b32 v1, v16
	v_or_b32_sdwa v2, v4, v2 dst_sel:DWORD dst_unused:UNUSED_PAD src0_sel:BYTE_0 src1_sel:DWORD
	v_add_u16_e32 v4, 0x8000, v2
	v_lshlrev_b32_e32 v2, 16, v4
	v_or_b32_e32 v17, v5, v2
	s_add_i32 s41, s41, -1
	v_lshrrev_b32_e32 v17, 8, v17
	s_cmp_eq_u32 s41, 0
	v_lshrrev_b32_e32 v18, 24, v2
	s_cbranch_scc1 .LBB69_16
.LBB69_2:                               ; =>This Inner Loop Header: Depth=1
	v_xor_b32_e32 v2, 0x80, v5
	v_xor_b32_e32 v5, 0x80, v17
	v_and_b32_e32 v2, 0xff, v2
	ds_bpermute_b32 v17, v10, v2
	v_xor_b32_e32 v4, 0x80, v4
	v_and_b32_e32 v5, 0xff, v5
	ds_bpermute_b32 v19, v10, v5
	v_and_b32_e32 v4, 0xff, v4
	ds_bpermute_b32 v20, v10, v4
	v_xor_b32_e32 v18, 0x80, v18
	v_and_b32_e32 v18, 0xff, v18
	s_waitcnt lgkmcnt(2)
	v_and_b32_e32 v17, 0xff, v17
	ds_bpermute_b32 v21, v10, v18
	v_cndmask_b32_e32 v17, 0, v17, vcc
	s_waitcnt lgkmcnt(2)
	v_and_b32_e32 v19, 0xff, v19
	v_cndmask_b32_e64 v17, v17, v19, s[24:25]
	s_waitcnt lgkmcnt(1)
	v_and_b32_e32 v19, 0xff, v20
	ds_bpermute_b32 v20, v12, v2
	v_cndmask_b32_e64 v17, v17, v19, s[22:23]
	s_waitcnt lgkmcnt(1)
	v_perm_b32 v19, v21, v17, s42
	v_cndmask_b32_e64 v17, v17, v19, s[20:21]
	ds_bpermute_b32 v19, v12, v5
	s_waitcnt lgkmcnt(1)
	v_lshlrev_b16_e32 v20, 8, v20
	v_or_b32_sdwa v20, v17, v20 dst_sel:DWORD dst_unused:UNUSED_PAD src0_sel:BYTE_0 src1_sel:DWORD
	v_and_b32_e32 v20, 0xffff, v20
	v_cndmask_b32_e32 v17, v17, v20, vcc
	ds_bpermute_b32 v20, v12, v4
	s_waitcnt lgkmcnt(1)
	v_lshlrev_b16_e32 v19, 8, v19
	v_or_b32_sdwa v19, v17, v19 dst_sel:DWORD dst_unused:UNUSED_PAD src0_sel:BYTE_0 src1_sel:DWORD
	v_and_b32_e32 v19, 0xffff, v19
	v_and_or_b32 v19, v17, s43, v19
	v_cndmask_b32_e64 v17, v17, v19, s[24:25]
	s_waitcnt lgkmcnt(0)
	v_lshlrev_b16_e32 v19, 8, v20
	ds_bpermute_b32 v20, v12, v18
	v_or_b32_sdwa v19, v17, v19 dst_sel:DWORD dst_unused:UNUSED_PAD src0_sel:BYTE_0 src1_sel:DWORD
	v_and_b32_e32 v19, 0xffff, v19
	v_and_or_b32 v19, v17, s43, v19
	v_cndmask_b32_e64 v17, v17, v19, s[22:23]
	s_waitcnt lgkmcnt(0)
	v_lshlrev_b16_e32 v19, 8, v20
	ds_bpermute_b32 v20, v13, v2
	v_or_b32_sdwa v19, v17, v19 dst_sel:DWORD dst_unused:UNUSED_PAD src0_sel:BYTE_0 src1_sel:DWORD
	v_and_b32_e32 v19, 0xffff, v19
	v_and_or_b32 v19, v17, s43, v19
	v_cndmask_b32_e64 v17, v17, v19, s[20:21]
	ds_bpermute_b32 v19, v13, v5
	s_waitcnt lgkmcnt(1)
	v_perm_b32 v20, v20, v17, s44
	v_lshlrev_b32_e32 v20, 16, v20
	v_and_or_b32 v20, v17, s40, v20
	v_cndmask_b32_e32 v17, v17, v20, vcc
	ds_bpermute_b32 v20, v13, v4
	s_waitcnt lgkmcnt(1)
	v_perm_b32 v19, v19, v17, s44
	v_lshlrev_b32_e32 v19, 16, v19
	v_and_or_b32 v19, v17, s40, v19
	v_cndmask_b32_e64 v17, v17, v19, s[24:25]
	ds_bpermute_b32 v19, v13, v18
	s_waitcnt lgkmcnt(1)
	v_perm_b32 v20, v20, v17, s44
	v_lshlrev_b32_e32 v20, 16, v20
	v_and_or_b32 v20, v17, s40, v20
	v_cndmask_b32_e64 v17, v17, v20, s[22:23]
	;; [unrolled: 6-line block ×3, first 2 shown]
	ds_bpermute_b32 v5, v14, v5
	v_and_b32_sdwa v19, v17, s36 dst_sel:DWORD dst_unused:UNUSED_PAD src0_sel:WORD_1 src1_sel:DWORD
	s_waitcnt lgkmcnt(1)
	v_lshlrev_b16_e32 v2, 8, v2
	v_or_b32_sdwa v2, v19, v2 dst_sel:WORD_1 dst_unused:UNUSED_PAD src0_sel:DWORD src1_sel:DWORD
	v_and_or_b32 v2, v17, s40, v2
	v_cndmask_b32_e32 v2, v17, v2, vcc
	ds_bpermute_b32 v4, v14, v4
	v_and_b32_sdwa v17, v2, s36 dst_sel:DWORD dst_unused:UNUSED_PAD src0_sel:WORD_1 src1_sel:DWORD
	s_waitcnt lgkmcnt(1)
	v_lshlrev_b16_e32 v5, 8, v5
	v_or_b32_sdwa v5, v17, v5 dst_sel:WORD_1 dst_unused:UNUSED_PAD src0_sel:DWORD src1_sel:DWORD
	v_and_or_b32 v5, v2, s40, v5
	v_cndmask_b32_e64 v2, v2, v5, s[24:25]
	ds_bpermute_b32 v17, v14, v18
	v_and_b32_sdwa v5, v2, s36 dst_sel:DWORD dst_unused:UNUSED_PAD src0_sel:WORD_1 src1_sel:DWORD
	s_waitcnt lgkmcnt(1)
	v_lshlrev_b16_e32 v4, 8, v4
	v_or_b32_sdwa v4, v5, v4 dst_sel:WORD_1 dst_unused:UNUSED_PAD src0_sel:DWORD src1_sel:DWORD
	v_and_or_b32 v4, v2, s40, v4
	v_cndmask_b32_e64 v2, v2, v4, s[22:23]
	v_and_b32_sdwa v4, v2, s36 dst_sel:DWORD dst_unused:UNUSED_PAD src0_sel:WORD_1 src1_sel:DWORD
	s_waitcnt lgkmcnt(0)
	v_lshlrev_b16_e32 v5, 8, v17
	v_or_b32_sdwa v4, v4, v5 dst_sel:WORD_1 dst_unused:UNUSED_PAD src0_sel:DWORD src1_sel:DWORD
	v_and_or_b32 v4, v2, s40, v4
	v_cndmask_b32_e64 v17, v2, v4, s[20:21]
	v_and_b32_e32 v5, 0xff, v1
	v_bfe_u32 v20, v1, 8, 8
	v_bfe_u32 v21, v1, 16, 8
	v_lshrrev_b32_e32 v24, 24, v1
	v_and_b32_e32 v1, 1, v17
	v_add_co_u32_e64 v2, s[30:31], -1, v1
	v_addc_co_u32_e64 v4, s[30:31], 0, -1, s[30:31]
	v_cmp_ne_u32_e64 s[30:31], 0, v1
	v_xor_b32_e32 v1, s31, v4
	v_lshlrev_b32_e32 v4, 30, v17
	v_xor_b32_e32 v2, s30, v2
	v_cmp_gt_i64_e64 s[30:31], 0, v[3:4]
	v_not_b32_e32 v4, v4
	v_ashrrev_i32_e32 v4, 31, v4
	v_and_b32_e32 v2, exec_lo, v2
	v_xor_b32_e32 v22, s31, v4
	v_xor_b32_e32 v4, s30, v4
	v_and_b32_e32 v2, v2, v4
	v_lshlrev_b32_e32 v4, 29, v17
	v_cmp_gt_i64_e64 s[30:31], 0, v[3:4]
	v_not_b32_e32 v4, v4
	v_and_b32_e32 v1, exec_hi, v1
	v_ashrrev_i32_e32 v4, 31, v4
	v_and_b32_e32 v1, v1, v22
	v_xor_b32_e32 v22, s31, v4
	v_xor_b32_e32 v4, s30, v4
	v_and_b32_e32 v2, v2, v4
	v_lshlrev_b32_e32 v4, 28, v17
	v_cmp_gt_i64_e64 s[30:31], 0, v[3:4]
	v_not_b32_e32 v4, v4
	v_ashrrev_i32_e32 v4, 31, v4
	v_and_b32_e32 v1, v1, v22
	v_xor_b32_e32 v22, s31, v4
	v_xor_b32_e32 v4, s30, v4
	v_and_b32_e32 v2, v2, v4
	v_lshlrev_b32_e32 v4, 27, v17
	v_cmp_gt_i64_e64 s[30:31], 0, v[3:4]
	v_not_b32_e32 v4, v4
	;; [unrolled: 8-line block ×4, first 2 shown]
	v_ashrrev_i32_e32 v4, 31, v4
	v_and_b32_e32 v1, v1, v22
	v_xor_b32_e32 v22, s31, v4
	v_xor_b32_e32 v4, s30, v4
	v_and_b32_e32 v1, v1, v22
	v_and_b32_e32 v22, v2, v4
	v_lshlrev_b32_e32 v4, 24, v17
	v_cmp_gt_i64_e64 s[30:31], 0, v[3:4]
	v_not_b32_e32 v2, v4
	v_ashrrev_i32_e32 v2, 31, v2
	v_xor_b32_e32 v4, s31, v2
	v_xor_b32_e32 v23, s30, v2
	ds_bpermute_b32 v18, v10, v5
	ds_bpermute_b32 v19, v10, v20
	v_and_b32_e32 v2, v1, v4
	v_and_b32_e32 v1, v22, v23
	ds_bpermute_b32 v32, v12, v5
	ds_bpermute_b32 v31, v13, v5
	;; [unrolled: 1-line block ×14, first 2 shown]
	v_mbcnt_lo_u32_b32 v4, v1, 0
	v_mbcnt_hi_u32_b32 v20, v2, v4
	v_cmp_ne_u64_e64 s[30:31], 0, v[1:2]
	v_cmp_eq_u32_e64 s[34:35], 0, v20
	v_mul_u32_u24_sdwa v4, v17, v6 dst_sel:DWORD dst_unused:UNUSED_PAD src0_sel:BYTE_0 src1_sel:DWORD
	s_and_b64 s[34:35], s[30:31], s[34:35]
	v_add_u32_e32 v21, v15, v4
	s_waitcnt lgkmcnt(0)
	s_barrier
	ds_write2_b32 v7, v3, v3 offset0:3 offset1:4
	ds_write2_b32 v7, v3, v3 offset0:5 offset1:6
	s_waitcnt lgkmcnt(0)
	s_barrier
	; wave barrier
	s_and_saveexec_b64 s[30:31], s[34:35]
; %bb.3:                                ;   in Loop: Header=BB69_2 Depth=1
	v_bcnt_u32_b32 v1, v1, 0
	v_bcnt_u32_b32 v1, v2, v1
	ds_write_b32 v21, v1 offset:12
; %bb.4:                                ;   in Loop: Header=BB69_2 Depth=1
	s_or_b64 exec, exec, s[30:31]
	v_bfe_u32 v1, v17, 8, 8
	v_mul_u32_u24_e32 v5, 12, v1
	v_mad_u32_u24 v1, v1, 12, v15
	; wave barrier
	ds_read_b32 v27, v1 offset:12
	v_bfe_u32 v1, v17, 8, 1
	v_add_co_u32_e64 v2, s[30:31], -1, v1
	v_addc_co_u32_e64 v4, s[30:31], 0, -1, s[30:31]
	v_lshrrev_b32_e32 v26, 8, v17
	v_cmp_ne_u32_e64 s[30:31], 0, v1
	v_xor_b32_e32 v1, s31, v4
	v_lshlrev_b32_e32 v4, 30, v26
	v_xor_b32_e32 v2, s30, v2
	v_cmp_gt_i64_e64 s[30:31], 0, v[3:4]
	v_not_b32_e32 v4, v4
	v_ashrrev_i32_e32 v4, 31, v4
	v_and_b32_e32 v2, exec_lo, v2
	v_xor_b32_e32 v38, s31, v4
	v_xor_b32_e32 v4, s30, v4
	v_and_b32_e32 v2, v2, v4
	v_lshlrev_b32_e32 v4, 29, v26
	v_cmp_gt_i64_e64 s[30:31], 0, v[3:4]
	v_not_b32_e32 v4, v4
	v_and_b32_e32 v1, exec_hi, v1
	v_ashrrev_i32_e32 v4, 31, v4
	v_and_b32_e32 v1, v1, v38
	v_xor_b32_e32 v38, s31, v4
	v_xor_b32_e32 v4, s30, v4
	v_and_b32_e32 v2, v2, v4
	v_lshlrev_b32_e32 v4, 28, v26
	v_cmp_gt_i64_e64 s[30:31], 0, v[3:4]
	v_not_b32_e32 v4, v4
	v_ashrrev_i32_e32 v4, 31, v4
	v_and_b32_e32 v1, v1, v38
	v_xor_b32_e32 v38, s31, v4
	v_xor_b32_e32 v4, s30, v4
	v_and_b32_e32 v2, v2, v4
	v_lshlrev_b32_e32 v4, 27, v26
	v_cmp_gt_i64_e64 s[30:31], 0, v[3:4]
	v_not_b32_e32 v4, v4
	;; [unrolled: 8-line block ×4, first 2 shown]
	v_ashrrev_i32_e32 v4, 31, v4
	v_and_b32_e32 v1, v1, v38
	v_xor_b32_e32 v38, s31, v4
	v_xor_b32_e32 v4, s30, v4
	v_and_b32_e32 v1, v1, v38
	v_and_b32_e32 v38, v2, v4
	v_lshlrev_b32_e32 v4, 24, v26
	v_cmp_gt_i64_e64 s[30:31], 0, v[3:4]
	v_not_b32_e32 v2, v4
	v_ashrrev_i32_e32 v2, 31, v2
	v_xor_b32_e32 v4, s31, v2
	v_xor_b32_e32 v39, s30, v2
	v_and_b32_e32 v2, v1, v4
	v_and_b32_e32 v1, v38, v39
	v_mbcnt_lo_u32_b32 v4, v1, 0
	v_mbcnt_hi_u32_b32 v38, v2, v4
	v_cmp_ne_u64_e64 s[30:31], 0, v[1:2]
	v_cmp_eq_u32_e64 s[34:35], 0, v38
	s_and_b64 s[34:35], s[30:31], s[34:35]
	v_add_u32_e32 v39, v15, v5
	; wave barrier
	s_and_saveexec_b64 s[30:31], s[34:35]
	s_cbranch_execz .LBB69_6
; %bb.5:                                ;   in Loop: Header=BB69_2 Depth=1
	v_bcnt_u32_b32 v1, v1, 0
	v_bcnt_u32_b32 v1, v2, v1
	s_waitcnt lgkmcnt(0)
	v_add_u32_e32 v1, v27, v1
	ds_write_b32 v39, v1 offset:12
.LBB69_6:                               ;   in Loop: Header=BB69_2 Depth=1
	s_or_b64 exec, exec, s[30:31]
	v_bfe_u32 v1, v17, 16, 8
	v_mul_u32_u24_e32 v5, 12, v1
	v_mad_u32_u24 v1, v1, 12, v15
	; wave barrier
	ds_read_b32 v41, v1 offset:12
	v_bfe_u32 v1, v17, 16, 1
	v_add_co_u32_e64 v2, s[30:31], -1, v1
	v_addc_co_u32_e64 v4, s[30:31], 0, -1, s[30:31]
	v_lshrrev_b32_e32 v40, 16, v17
	v_cmp_ne_u32_e64 s[30:31], 0, v1
	v_xor_b32_e32 v1, s31, v4
	v_lshlrev_b32_e32 v4, 30, v40
	v_xor_b32_e32 v2, s30, v2
	v_cmp_gt_i64_e64 s[30:31], 0, v[3:4]
	v_not_b32_e32 v4, v4
	v_ashrrev_i32_e32 v4, 31, v4
	v_and_b32_e32 v2, exec_lo, v2
	v_xor_b32_e32 v42, s31, v4
	v_xor_b32_e32 v4, s30, v4
	v_and_b32_e32 v2, v2, v4
	v_lshlrev_b32_e32 v4, 29, v40
	v_cmp_gt_i64_e64 s[30:31], 0, v[3:4]
	v_not_b32_e32 v4, v4
	v_and_b32_e32 v1, exec_hi, v1
	v_ashrrev_i32_e32 v4, 31, v4
	v_and_b32_e32 v1, v1, v42
	v_xor_b32_e32 v42, s31, v4
	v_xor_b32_e32 v4, s30, v4
	v_and_b32_e32 v2, v2, v4
	v_lshlrev_b32_e32 v4, 28, v40
	v_cmp_gt_i64_e64 s[30:31], 0, v[3:4]
	v_not_b32_e32 v4, v4
	v_ashrrev_i32_e32 v4, 31, v4
	v_and_b32_e32 v1, v1, v42
	v_xor_b32_e32 v42, s31, v4
	v_xor_b32_e32 v4, s30, v4
	v_and_b32_e32 v2, v2, v4
	v_lshlrev_b32_e32 v4, 27, v40
	v_cmp_gt_i64_e64 s[30:31], 0, v[3:4]
	v_not_b32_e32 v4, v4
	;; [unrolled: 8-line block ×4, first 2 shown]
	v_ashrrev_i32_e32 v4, 31, v4
	v_and_b32_e32 v1, v1, v42
	v_xor_b32_e32 v42, s31, v4
	v_xor_b32_e32 v4, s30, v4
	v_and_b32_e32 v1, v1, v42
	v_and_b32_e32 v42, v2, v4
	v_lshlrev_b32_e32 v4, 24, v40
	v_cmp_gt_i64_e64 s[30:31], 0, v[3:4]
	v_not_b32_e32 v2, v4
	v_ashrrev_i32_e32 v2, 31, v2
	v_xor_b32_e32 v4, s31, v2
	v_xor_b32_e32 v43, s30, v2
	v_and_b32_e32 v2, v1, v4
	v_and_b32_e32 v1, v42, v43
	v_mbcnt_lo_u32_b32 v4, v1, 0
	v_mbcnt_hi_u32_b32 v42, v2, v4
	v_cmp_ne_u64_e64 s[30:31], 0, v[1:2]
	v_cmp_eq_u32_e64 s[34:35], 0, v42
	s_and_b64 s[34:35], s[30:31], s[34:35]
	v_add_u32_e32 v43, v15, v5
	; wave barrier
	s_and_saveexec_b64 s[30:31], s[34:35]
	s_cbranch_execz .LBB69_8
; %bb.7:                                ;   in Loop: Header=BB69_2 Depth=1
	v_bcnt_u32_b32 v1, v1, 0
	v_bcnt_u32_b32 v1, v2, v1
	s_waitcnt lgkmcnt(0)
	v_add_u32_e32 v1, v41, v1
	ds_write_b32 v43, v1 offset:12
.LBB69_8:                               ;   in Loop: Header=BB69_2 Depth=1
	s_or_b64 exec, exec, s[30:31]
	v_lshrrev_b32_e32 v44, 24, v17
	v_mad_u32_u24 v1, v44, 12, v15
	; wave barrier
	ds_read_b32 v45, v1 offset:12
	v_bfe_u32 v1, v17, 24, 1
	v_add_co_u32_e64 v2, s[30:31], -1, v1
	v_addc_co_u32_e64 v4, s[30:31], 0, -1, s[30:31]
	v_cmp_ne_u32_e64 s[30:31], 0, v1
	v_xor_b32_e32 v1, s31, v4
	v_lshlrev_b32_e32 v4, 30, v44
	v_xor_b32_e32 v2, s30, v2
	v_cmp_gt_i64_e64 s[30:31], 0, v[3:4]
	v_not_b32_e32 v4, v4
	v_ashrrev_i32_e32 v4, 31, v4
	v_and_b32_e32 v2, exec_lo, v2
	v_xor_b32_e32 v46, s31, v4
	v_xor_b32_e32 v4, s30, v4
	v_and_b32_e32 v2, v2, v4
	v_lshlrev_b32_e32 v4, 29, v44
	v_cmp_gt_i64_e64 s[30:31], 0, v[3:4]
	v_not_b32_e32 v4, v4
	v_and_b32_e32 v1, exec_hi, v1
	v_ashrrev_i32_e32 v4, 31, v4
	v_and_b32_e32 v1, v1, v46
	v_xor_b32_e32 v46, s31, v4
	v_xor_b32_e32 v4, s30, v4
	v_and_b32_e32 v2, v2, v4
	v_lshlrev_b32_e32 v4, 28, v44
	v_cmp_gt_i64_e64 s[30:31], 0, v[3:4]
	v_not_b32_e32 v4, v4
	v_ashrrev_i32_e32 v4, 31, v4
	v_and_b32_e32 v1, v1, v46
	v_xor_b32_e32 v46, s31, v4
	v_xor_b32_e32 v4, s30, v4
	v_and_b32_e32 v2, v2, v4
	v_lshlrev_b32_e32 v4, 27, v44
	v_cmp_gt_i64_e64 s[30:31], 0, v[3:4]
	v_not_b32_e32 v4, v4
	;; [unrolled: 8-line block ×4, first 2 shown]
	v_ashrrev_i32_e32 v4, 31, v4
	v_and_b32_e32 v1, v1, v46
	v_xor_b32_e32 v46, s31, v4
	v_xor_b32_e32 v4, s30, v4
	v_and_b32_e32 v1, v1, v46
	v_and_b32_e32 v46, v2, v4
	;; [unrolled: 1-line block ×3, first 2 shown]
	v_cmp_gt_i64_e64 s[30:31], 0, v[3:4]
	v_not_b32_e32 v2, v4
	v_ashrrev_i32_e32 v2, 31, v2
	v_xor_b32_e32 v4, s31, v2
	v_xor_b32_e32 v47, s30, v2
	v_and_b32_e32 v2, v1, v4
	v_and_b32_e32 v1, v46, v47
	v_mbcnt_lo_u32_b32 v4, v1, 0
	v_mbcnt_hi_u32_b32 v46, v2, v4
	v_cmp_ne_u64_e64 s[30:31], 0, v[1:2]
	v_mul_u32_u24_e32 v5, 12, v44
	v_cmp_eq_u32_e64 s[34:35], 0, v46
	s_and_b64 s[34:35], s[30:31], s[34:35]
	v_add_u32_e32 v47, v15, v5
	; wave barrier
	s_and_saveexec_b64 s[30:31], s[34:35]
	s_cbranch_execz .LBB69_10
; %bb.9:                                ;   in Loop: Header=BB69_2 Depth=1
	v_bcnt_u32_b32 v1, v1, 0
	v_bcnt_u32_b32 v1, v2, v1
	s_waitcnt lgkmcnt(0)
	v_add_u32_e32 v1, v45, v1
	ds_write_b32 v47, v1 offset:12
.LBB69_10:                              ;   in Loop: Header=BB69_2 Depth=1
	s_or_b64 exec, exec, s[30:31]
	; wave barrier
	s_waitcnt lgkmcnt(0)
	s_barrier
	ds_read2_b32 v[1:2], v7 offset0:3 offset1:4
	ds_read2_b32 v[4:5], v7 offset0:5 offset1:6
	s_waitcnt lgkmcnt(1)
	v_add_u32_e32 v48, v2, v1
	s_waitcnt lgkmcnt(0)
	v_add3_u32 v5, v48, v4, v5
	s_nop 1
	v_mov_b32_dpp v48, v5 row_shr:1 row_mask:0xf bank_mask:0xf
	v_cndmask_b32_e64 v48, v48, 0, s[10:11]
	v_add_u32_e32 v5, v48, v5
	s_nop 1
	v_mov_b32_dpp v48, v5 row_shr:2 row_mask:0xf bank_mask:0xf
	v_cndmask_b32_e64 v48, 0, v48, s[12:13]
	v_add_u32_e32 v5, v5, v48
	;; [unrolled: 4-line block ×4, first 2 shown]
	s_nop 1
	v_mov_b32_dpp v48, v5 row_bcast:15 row_mask:0xf bank_mask:0xf
	v_cndmask_b32_e64 v48, v48, 0, s[18:19]
	v_add_u32_e32 v5, v5, v48
	s_nop 1
	v_mov_b32_dpp v48, v5 row_bcast:31 row_mask:0xf bank_mask:0xf
	v_cndmask_b32_e64 v48, 0, v48, s[6:7]
	v_add_u32_e32 v5, v5, v48
	s_and_saveexec_b64 s[30:31], s[28:29]
; %bb.11:                               ;   in Loop: Header=BB69_2 Depth=1
	ds_write_b32 v8, v5
; %bb.12:                               ;   in Loop: Header=BB69_2 Depth=1
	s_or_b64 exec, exec, s[30:31]
	s_waitcnt lgkmcnt(0)
	s_barrier
	s_and_saveexec_b64 s[30:31], s[0:1]
	s_cbranch_execz .LBB69_14
; %bb.13:                               ;   in Loop: Header=BB69_2 Depth=1
	ds_read_b32 v48, v16
	s_waitcnt lgkmcnt(0)
	s_nop 0
	v_mov_b32_dpp v49, v48 row_shr:1 row_mask:0xf bank_mask:0xf
	v_cndmask_b32_e64 v49, v49, 0, vcc
	v_add_u32_e32 v48, v49, v48
	s_nop 1
	v_mov_b32_dpp v49, v48 row_shr:2 row_mask:0xf bank_mask:0xf
	v_cndmask_b32_e64 v49, 0, v49, s[26:27]
	v_add_u32_e32 v48, v48, v49
	ds_write_b32 v16, v48
.LBB69_14:                              ;   in Loop: Header=BB69_2 Depth=1
	s_or_b64 exec, exec, s[30:31]
	v_mov_b32_e32 v48, 0
	s_waitcnt lgkmcnt(0)
	s_barrier
	s_and_saveexec_b64 s[30:31], s[2:3]
	s_cbranch_execz .LBB69_1
; %bb.15:                               ;   in Loop: Header=BB69_2 Depth=1
	ds_read_b32 v48, v9
	s_branch .LBB69_1
.LBB69_16:
	s_add_u32 s0, s38, s33
	s_addc_u32 s1, s39, 0
	s_waitcnt lgkmcnt(0)
	v_add_u16_e32 v2, v5, v1
	v_lshrrev_b32_e32 v3, 8, v1
	v_add_u16_sdwa v4, v4, v1 dst_sel:DWORD dst_unused:UNUSED_PAD src0_sel:DWORD src1_sel:WORD_1
	v_add_u16_sdwa v5, v18, v1 dst_sel:DWORD dst_unused:UNUSED_PAD src0_sel:DWORD src1_sel:BYTE_3
	v_mov_b32_e32 v1, s1
	v_add_co_u32_e32 v0, vcc, s0, v0
	v_addc_co_u32_e32 v1, vcc, 0, v1, vcc
	v_add_u16_e32 v3, v17, v3
	global_store_byte v[0:1], v2, off
	global_store_byte v[0:1], v3, off offset:192
	global_store_byte v[0:1], v4, off offset:384
	;; [unrolled: 1-line block ×3, first 2 shown]
	s_endpgm
	.section	.rodata,"a",@progbits
	.p2align	6, 0x0
	.amdhsa_kernel _Z17sort_pairs_kernelI22helper_blocked_blockedaLj192ELj4ELj10EEvPKT0_PS1_
		.amdhsa_group_segment_fixed_size 3088
		.amdhsa_private_segment_fixed_size 0
		.amdhsa_kernarg_size 272
		.amdhsa_user_sgpr_count 6
		.amdhsa_user_sgpr_private_segment_buffer 1
		.amdhsa_user_sgpr_dispatch_ptr 0
		.amdhsa_user_sgpr_queue_ptr 0
		.amdhsa_user_sgpr_kernarg_segment_ptr 1
		.amdhsa_user_sgpr_dispatch_id 0
		.amdhsa_user_sgpr_flat_scratch_init 0
		.amdhsa_user_sgpr_private_segment_size 0
		.amdhsa_uses_dynamic_stack 0
		.amdhsa_system_sgpr_private_segment_wavefront_offset 0
		.amdhsa_system_sgpr_workgroup_id_x 1
		.amdhsa_system_sgpr_workgroup_id_y 0
		.amdhsa_system_sgpr_workgroup_id_z 0
		.amdhsa_system_sgpr_workgroup_info 0
		.amdhsa_system_vgpr_workitem_id 2
		.amdhsa_next_free_vgpr 50
		.amdhsa_next_free_sgpr 48
		.amdhsa_reserve_vcc 1
		.amdhsa_reserve_flat_scratch 0
		.amdhsa_float_round_mode_32 0
		.amdhsa_float_round_mode_16_64 0
		.amdhsa_float_denorm_mode_32 3
		.amdhsa_float_denorm_mode_16_64 3
		.amdhsa_dx10_clamp 1
		.amdhsa_ieee_mode 1
		.amdhsa_fp16_overflow 0
		.amdhsa_exception_fp_ieee_invalid_op 0
		.amdhsa_exception_fp_denorm_src 0
		.amdhsa_exception_fp_ieee_div_zero 0
		.amdhsa_exception_fp_ieee_overflow 0
		.amdhsa_exception_fp_ieee_underflow 0
		.amdhsa_exception_fp_ieee_inexact 0
		.amdhsa_exception_int_div_zero 0
	.end_amdhsa_kernel
	.section	.text._Z17sort_pairs_kernelI22helper_blocked_blockedaLj192ELj4ELj10EEvPKT0_PS1_,"axG",@progbits,_Z17sort_pairs_kernelI22helper_blocked_blockedaLj192ELj4ELj10EEvPKT0_PS1_,comdat
.Lfunc_end69:
	.size	_Z17sort_pairs_kernelI22helper_blocked_blockedaLj192ELj4ELj10EEvPKT0_PS1_, .Lfunc_end69-_Z17sort_pairs_kernelI22helper_blocked_blockedaLj192ELj4ELj10EEvPKT0_PS1_
                                        ; -- End function
	.set _Z17sort_pairs_kernelI22helper_blocked_blockedaLj192ELj4ELj10EEvPKT0_PS1_.num_vgpr, 50
	.set _Z17sort_pairs_kernelI22helper_blocked_blockedaLj192ELj4ELj10EEvPKT0_PS1_.num_agpr, 0
	.set _Z17sort_pairs_kernelI22helper_blocked_blockedaLj192ELj4ELj10EEvPKT0_PS1_.numbered_sgpr, 48
	.set _Z17sort_pairs_kernelI22helper_blocked_blockedaLj192ELj4ELj10EEvPKT0_PS1_.num_named_barrier, 0
	.set _Z17sort_pairs_kernelI22helper_blocked_blockedaLj192ELj4ELj10EEvPKT0_PS1_.private_seg_size, 0
	.set _Z17sort_pairs_kernelI22helper_blocked_blockedaLj192ELj4ELj10EEvPKT0_PS1_.uses_vcc, 1
	.set _Z17sort_pairs_kernelI22helper_blocked_blockedaLj192ELj4ELj10EEvPKT0_PS1_.uses_flat_scratch, 0
	.set _Z17sort_pairs_kernelI22helper_blocked_blockedaLj192ELj4ELj10EEvPKT0_PS1_.has_dyn_sized_stack, 0
	.set _Z17sort_pairs_kernelI22helper_blocked_blockedaLj192ELj4ELj10EEvPKT0_PS1_.has_recursion, 0
	.set _Z17sort_pairs_kernelI22helper_blocked_blockedaLj192ELj4ELj10EEvPKT0_PS1_.has_indirect_call, 0
	.section	.AMDGPU.csdata,"",@progbits
; Kernel info:
; codeLenInByte = 4124
; TotalNumSgprs: 52
; NumVgprs: 50
; ScratchSize: 0
; MemoryBound: 0
; FloatMode: 240
; IeeeMode: 1
; LDSByteSize: 3088 bytes/workgroup (compile time only)
; SGPRBlocks: 6
; VGPRBlocks: 12
; NumSGPRsForWavesPerEU: 52
; NumVGPRsForWavesPerEU: 50
; Occupancy: 4
; WaveLimiterHint : 1
; COMPUTE_PGM_RSRC2:SCRATCH_EN: 0
; COMPUTE_PGM_RSRC2:USER_SGPR: 6
; COMPUTE_PGM_RSRC2:TRAP_HANDLER: 0
; COMPUTE_PGM_RSRC2:TGID_X_EN: 1
; COMPUTE_PGM_RSRC2:TGID_Y_EN: 0
; COMPUTE_PGM_RSRC2:TGID_Z_EN: 0
; COMPUTE_PGM_RSRC2:TIDIG_COMP_CNT: 2
	.section	.text._Z16sort_keys_kernelI22helper_blocked_blockedaLj192ELj8ELj10EEvPKT0_PS1_,"axG",@progbits,_Z16sort_keys_kernelI22helper_blocked_blockedaLj192ELj8ELj10EEvPKT0_PS1_,comdat
	.protected	_Z16sort_keys_kernelI22helper_blocked_blockedaLj192ELj8ELj10EEvPKT0_PS1_ ; -- Begin function _Z16sort_keys_kernelI22helper_blocked_blockedaLj192ELj8ELj10EEvPKT0_PS1_
	.globl	_Z16sort_keys_kernelI22helper_blocked_blockedaLj192ELj8ELj10EEvPKT0_PS1_
	.p2align	8
	.type	_Z16sort_keys_kernelI22helper_blocked_blockedaLj192ELj8ELj10EEvPKT0_PS1_,@function
_Z16sort_keys_kernelI22helper_blocked_blockedaLj192ELj8ELj10EEvPKT0_PS1_: ; @_Z16sort_keys_kernelI22helper_blocked_blockedaLj192ELj8ELj10EEvPKT0_PS1_
; %bb.0:
	s_load_dwordx4 s[28:31], s[4:5], 0x0
	s_load_dword s24, s[4:5], 0x1c
	s_mul_i32 s33, s6, 0x600
	v_mbcnt_lo_u32_b32 v6, -1, 0
	v_mbcnt_hi_u32_b32 v10, -1, v6
	s_waitcnt lgkmcnt(0)
	s_add_u32 s0, s28, s33
	s_addc_u32 s1, s29, 0
	global_load_ubyte v4, v0, s[0:1] offset:192
	global_load_ubyte v5, v0, s[0:1] offset:384
	global_load_ubyte v14, v0, s[0:1] offset:576
	global_load_ubyte v15, v0, s[0:1] offset:1152
	global_load_ubyte v16, v0, s[0:1] offset:768
	global_load_ubyte v17, v0, s[0:1]
	global_load_ubyte v18, v0, s[0:1] offset:960
	global_load_ubyte v19, v0, s[0:1] offset:1344
	v_subrev_co_u32_e64 v21, s[4:5], 1, v10
	v_and_b32_e32 v22, 64, v10
	v_and_b32_e32 v9, 0xc0, v0
	v_lshrrev_b32_e32 v11, 4, v0
	v_lshlrev_b32_e32 v12, 2, v0
	v_cmp_lt_i32_e64 s[22:23], v21, v22
	v_add_lshl_u32 v7, v10, v9, 3
	v_min_u32_e32 v25, 0x80, v9
	v_and_b32_e32 v9, 12, v11
	v_sub_u32_e32 v11, 0, v12
	v_cndmask_b32_e64 v12, v21, v10, s[22:23]
	s_lshr_b32 s22, s24, 16
	s_and_b32 s23, s24, 0xffff
	v_mad_u32_u24 v1, v2, s22, v1
	v_mad_u64_u32 v[1:2], s[22:23], v1, s23, v[0:1]
	v_and_b32_e32 v13, 15, v10
	s_mov_b32 s25, 0xc0c0004
	v_lshlrev_b32_e32 v8, 3, v0
	v_lshlrev_b32_e32 v6, 4, v0
	v_cmp_eq_u32_e64 s[8:9], 0, v13
	v_cmp_lt_u32_e64 s[10:11], 1, v13
	v_cmp_lt_u32_e64 s[12:13], 3, v13
	v_cmp_lt_u32_e64 s[14:15], 7, v13
	v_or_b32_e32 v13, 63, v25
	v_lshrrev_b32_e32 v1, 4, v1
	v_and_b32_e32 v20, 16, v10
	v_and_b32_e32 v23, 3, v10
	;; [unrolled: 1-line block ×3, first 2 shown]
	v_sub_u32_e32 v8, v6, v8
	v_cmp_eq_u32_e64 s[22:23], v0, v13
	v_and_b32_e32 v13, 0xffffffc, v1
	v_mov_b32_e32 v3, 0
	s_movk_i32 s28, 0x80
	s_mov_b32 s29, 10
	s_movk_i32 s34, 0xff00
	s_movk_i32 s35, 0x8000
	v_cmp_gt_u32_e32 vcc, 3, v0
	v_cmp_lt_u32_e64 s[0:1], 63, v0
	v_cmp_eq_u32_e64 s[2:3], 0, v0
	v_cmp_lt_u32_e64 s[6:7], 31, v10
	v_cmp_eq_u32_e64 s[16:17], 0, v20
	v_cmp_eq_u32_e64 s[18:19], 0, v23
	v_cmp_lt_u32_e64 s[20:21], 1, v23
	v_add_u32_e32 v10, v10, v24
	v_add_u32_e32 v11, v8, v11
	v_lshlrev_b32_e32 v12, 2, v12
	s_waitcnt vmcnt(5)
	v_perm_b32 v2, v5, v14, s25
	s_waitcnt vmcnt(2)
	v_perm_b32 v1, v17, v4, s25
	s_waitcnt vmcnt(1)
	v_perm_b32 v4, v16, v18, s25
	s_waitcnt vmcnt(0)
	v_perm_b32 v5, v15, v19, s25
	v_lshl_or_b32 v2, v2, 16, v1
	v_lshl_or_b32 v1, v5, 16, v4
	s_branch .LBB70_2
.LBB70_1:                               ;   in Loop: Header=BB70_2 Depth=1
	s_or_b64 exec, exec, s[24:25]
	s_waitcnt lgkmcnt(0)
	v_add_u32_e32 v2, v45, v2
	ds_bpermute_b32 v2, v12, v2
	s_add_i32 s29, s29, -1
	s_cmp_eq_u32 s29, 0
	s_waitcnt lgkmcnt(0)
	v_cndmask_b32_e64 v2, v2, v45, s[4:5]
	v_cndmask_b32_e64 v2, v2, 0, s[2:3]
	v_add_u32_e32 v4, v2, v4
	v_add_u32_e32 v5, v4, v5
	;; [unrolled: 1-line block ×3, first 2 shown]
	ds_write2_b32 v6, v2, v4 offset0:3 offset1:4
	ds_write2_b32 v6, v5, v1 offset0:5 offset1:6
	s_waitcnt lgkmcnt(0)
	s_barrier
	ds_read_b32 v1, v23 offset:12
	ds_read_b32 v2, v26 offset:12
	;; [unrolled: 1-line block ×8, first 2 shown]
	s_waitcnt lgkmcnt(7)
	v_add_u32_e32 v1, v1, v22
	s_waitcnt lgkmcnt(0)
	s_barrier
	ds_write_b8 v1, v21
	v_add3_u32 v1, v25, v24, v2
	ds_write_b8 v1, v20
	v_add3_u32 v1, v28, v27, v4
	;; [unrolled: 2-line block ×7, first 2 shown]
	ds_write_b8 v1, v14
	s_waitcnt lgkmcnt(0)
	s_barrier
	ds_read_b64 v[4:5], v8
	s_waitcnt lgkmcnt(0)
	v_and_b32_e32 v1, 0xffffff00, v4
	v_xor_b32_e32 v2, 0x80, v4
	v_or_b32_sdwa v1, v2, v1 dst_sel:DWORD dst_unused:UNUSED_PAD src0_sel:BYTE_0 src1_sel:DWORD
	v_and_b32_sdwa v2, v4, s34 dst_sel:DWORD dst_unused:UNUSED_PAD src0_sel:WORD_1 src1_sel:DWORD
	v_xor_b32_sdwa v4, v4, s28 dst_sel:DWORD dst_unused:UNUSED_PAD src0_sel:WORD_1 src1_sel:DWORD
	v_or_b32_sdwa v2, v4, v2 dst_sel:DWORD dst_unused:UNUSED_PAD src0_sel:BYTE_0 src1_sel:DWORD
	v_add_u16_e32 v1, 0x8000, v1
	v_add_u16_sdwa v2, v2, s35 dst_sel:WORD_1 dst_unused:UNUSED_PAD src0_sel:DWORD src1_sel:DWORD
	v_or_b32_e32 v2, v1, v2
	v_and_b32_e32 v1, 0xffffff00, v5
	v_xor_b32_e32 v4, 0x80, v5
	v_or_b32_sdwa v1, v4, v1 dst_sel:DWORD dst_unused:UNUSED_PAD src0_sel:BYTE_0 src1_sel:DWORD
	v_and_b32_sdwa v4, v5, s34 dst_sel:DWORD dst_unused:UNUSED_PAD src0_sel:WORD_1 src1_sel:DWORD
	v_xor_b32_sdwa v5, v5, s28 dst_sel:DWORD dst_unused:UNUSED_PAD src0_sel:WORD_1 src1_sel:DWORD
	v_or_b32_sdwa v4, v5, v4 dst_sel:DWORD dst_unused:UNUSED_PAD src0_sel:BYTE_0 src1_sel:DWORD
	v_add_u16_e32 v1, 0x8000, v1
	v_add_u16_sdwa v4, v4, s35 dst_sel:WORD_1 dst_unused:UNUSED_PAD src0_sel:DWORD src1_sel:DWORD
	v_or_b32_e32 v1, v1, v4
	s_cbranch_scc1 .LBB70_24
.LBB70_2:                               ; =>This Inner Loop Header: Depth=1
	v_and_b32_e32 v4, 0xffffff00, v2
	v_xor_b32_e32 v5, 0x80, v2
	v_or_b32_sdwa v4, v5, v4 dst_sel:DWORD dst_unused:UNUSED_PAD src0_sel:BYTE_0 src1_sel:DWORD
	v_and_b32_sdwa v5, v2, s34 dst_sel:DWORD dst_unused:UNUSED_PAD src0_sel:WORD_1 src1_sel:DWORD
	v_xor_b32_sdwa v2, v2, s28 dst_sel:DWORD dst_unused:UNUSED_PAD src0_sel:WORD_1 src1_sel:DWORD
	v_or_b32_sdwa v2, v2, v5 dst_sel:DWORD dst_unused:UNUSED_PAD src0_sel:BYTE_0 src1_sel:DWORD
	v_add_u16_e32 v4, 0x8000, v4
	v_add_u16_sdwa v2, v2, s35 dst_sel:WORD_1 dst_unused:UNUSED_PAD src0_sel:DWORD src1_sel:DWORD
	v_or_b32_e32 v4, v4, v2
	v_and_b32_e32 v2, 0xffffff00, v1
	v_xor_b32_e32 v5, 0x80, v1
	v_or_b32_sdwa v2, v5, v2 dst_sel:DWORD dst_unused:UNUSED_PAD src0_sel:BYTE_0 src1_sel:DWORD
	v_and_b32_sdwa v5, v1, s34 dst_sel:DWORD dst_unused:UNUSED_PAD src0_sel:WORD_1 src1_sel:DWORD
	v_xor_b32_sdwa v1, v1, s28 dst_sel:DWORD dst_unused:UNUSED_PAD src0_sel:WORD_1 src1_sel:DWORD
	v_or_b32_sdwa v1, v1, v5 dst_sel:DWORD dst_unused:UNUSED_PAD src0_sel:BYTE_0 src1_sel:DWORD
	v_add_u16_e32 v2, 0x8000, v2
	v_add_u16_sdwa v1, v1, s35 dst_sel:WORD_1 dst_unused:UNUSED_PAD src0_sel:DWORD src1_sel:DWORD
	v_or_b32_e32 v5, v2, v1
	v_mov_b32_e32 v1, 12
	ds_write_b64 v7, v[4:5]
	; wave barrier
	ds_read_u8 v21, v10
	ds_read_u8 v20, v10 offset:64
	ds_read_u8 v19, v10 offset:128
	;; [unrolled: 1-line block ×7, first 2 shown]
	s_waitcnt lgkmcnt(7)
	v_mul_u32_u24_sdwa v5, v21, v1 dst_sel:DWORD dst_unused:UNUSED_PAD src0_sel:BYTE_0 src1_sel:DWORD
	v_and_b32_e32 v1, 1, v21
	v_add_co_u32_e64 v2, s[24:25], -1, v1
	v_addc_co_u32_e64 v4, s[24:25], 0, -1, s[24:25]
	v_cmp_ne_u32_e64 s[24:25], 0, v1
	v_xor_b32_e32 v1, s25, v4
	v_lshlrev_b32_e32 v4, 30, v21
	v_xor_b32_e32 v2, s24, v2
	v_cmp_gt_i64_e64 s[24:25], 0, v[3:4]
	v_not_b32_e32 v4, v4
	v_ashrrev_i32_e32 v4, 31, v4
	v_and_b32_e32 v2, exec_lo, v2
	v_xor_b32_e32 v22, s25, v4
	v_xor_b32_e32 v4, s24, v4
	v_and_b32_e32 v2, v2, v4
	v_lshlrev_b32_e32 v4, 29, v21
	v_cmp_gt_i64_e64 s[24:25], 0, v[3:4]
	v_not_b32_e32 v4, v4
	v_and_b32_e32 v1, exec_hi, v1
	v_ashrrev_i32_e32 v4, 31, v4
	v_and_b32_e32 v1, v1, v22
	v_xor_b32_e32 v22, s25, v4
	v_xor_b32_e32 v4, s24, v4
	v_and_b32_e32 v2, v2, v4
	v_lshlrev_b32_e32 v4, 28, v21
	v_cmp_gt_i64_e64 s[24:25], 0, v[3:4]
	v_not_b32_e32 v4, v4
	v_ashrrev_i32_e32 v4, 31, v4
	v_and_b32_e32 v1, v1, v22
	v_xor_b32_e32 v22, s25, v4
	v_xor_b32_e32 v4, s24, v4
	v_and_b32_e32 v2, v2, v4
	v_lshlrev_b32_e32 v4, 27, v21
	v_cmp_gt_i64_e64 s[24:25], 0, v[3:4]
	v_not_b32_e32 v4, v4
	;; [unrolled: 8-line block ×4, first 2 shown]
	v_ashrrev_i32_e32 v4, 31, v4
	v_and_b32_e32 v1, v1, v22
	v_xor_b32_e32 v22, s25, v4
	v_xor_b32_e32 v4, s24, v4
	v_and_b32_e32 v1, v1, v22
	v_and_b32_e32 v22, v2, v4
	v_lshlrev_b32_e32 v4, 24, v21
	v_cmp_gt_i64_e64 s[24:25], 0, v[3:4]
	v_not_b32_e32 v2, v4
	v_ashrrev_i32_e32 v2, 31, v2
	v_xor_b32_e32 v4, s25, v2
	v_xor_b32_e32 v23, s24, v2
	v_and_b32_e32 v2, v1, v4
	v_and_b32_e32 v1, v22, v23
	v_mbcnt_lo_u32_b32 v4, v1, 0
	v_mbcnt_hi_u32_b32 v22, v2, v4
	v_cmp_ne_u64_e64 s[24:25], 0, v[1:2]
	v_cmp_eq_u32_e64 s[26:27], 0, v22
	s_and_b64 s[26:27], s[24:25], s[26:27]
	v_add_u32_e32 v23, v13, v5
	; wave barrier
	; wave barrier
	s_waitcnt lgkmcnt(0)
	s_barrier
	ds_write2_b32 v6, v3, v3 offset0:3 offset1:4
	ds_write2_b32 v6, v3, v3 offset0:5 offset1:6
	s_waitcnt lgkmcnt(0)
	s_barrier
	; wave barrier
	s_and_saveexec_b64 s[24:25], s[26:27]
; %bb.3:                                ;   in Loop: Header=BB70_2 Depth=1
	v_bcnt_u32_b32 v1, v1, 0
	v_bcnt_u32_b32 v1, v2, v1
	ds_write_b32 v23, v1 offset:12
; %bb.4:                                ;   in Loop: Header=BB70_2 Depth=1
	s_or_b64 exec, exec, s[24:25]
	v_and_b32_e32 v1, 0xff, v20
	v_mul_u32_u24_e32 v5, 12, v1
	v_mad_u32_u24 v1, v1, 12, v13
	; wave barrier
	ds_read_b32 v24, v1 offset:12
	v_and_b32_e32 v1, 1, v20
	v_add_co_u32_e64 v2, s[24:25], -1, v1
	v_addc_co_u32_e64 v4, s[24:25], 0, -1, s[24:25]
	v_cmp_ne_u32_e64 s[24:25], 0, v1
	v_xor_b32_e32 v1, s25, v4
	v_lshlrev_b32_e32 v4, 30, v20
	v_xor_b32_e32 v2, s24, v2
	v_cmp_gt_i64_e64 s[24:25], 0, v[3:4]
	v_not_b32_e32 v4, v4
	v_ashrrev_i32_e32 v4, 31, v4
	v_and_b32_e32 v2, exec_lo, v2
	v_xor_b32_e32 v25, s25, v4
	v_xor_b32_e32 v4, s24, v4
	v_and_b32_e32 v2, v2, v4
	v_lshlrev_b32_e32 v4, 29, v20
	v_cmp_gt_i64_e64 s[24:25], 0, v[3:4]
	v_not_b32_e32 v4, v4
	v_and_b32_e32 v1, exec_hi, v1
	v_ashrrev_i32_e32 v4, 31, v4
	v_and_b32_e32 v1, v1, v25
	v_xor_b32_e32 v25, s25, v4
	v_xor_b32_e32 v4, s24, v4
	v_and_b32_e32 v2, v2, v4
	v_lshlrev_b32_e32 v4, 28, v20
	v_cmp_gt_i64_e64 s[24:25], 0, v[3:4]
	v_not_b32_e32 v4, v4
	v_ashrrev_i32_e32 v4, 31, v4
	v_and_b32_e32 v1, v1, v25
	v_xor_b32_e32 v25, s25, v4
	v_xor_b32_e32 v4, s24, v4
	v_and_b32_e32 v2, v2, v4
	v_lshlrev_b32_e32 v4, 27, v20
	v_cmp_gt_i64_e64 s[24:25], 0, v[3:4]
	v_not_b32_e32 v4, v4
	;; [unrolled: 8-line block ×4, first 2 shown]
	v_ashrrev_i32_e32 v4, 31, v4
	v_and_b32_e32 v1, v1, v25
	v_xor_b32_e32 v25, s25, v4
	v_xor_b32_e32 v4, s24, v4
	v_and_b32_e32 v1, v1, v25
	v_and_b32_e32 v25, v2, v4
	v_lshlrev_b32_e32 v4, 24, v20
	v_cmp_gt_i64_e64 s[24:25], 0, v[3:4]
	v_not_b32_e32 v2, v4
	v_ashrrev_i32_e32 v2, 31, v2
	v_xor_b32_e32 v4, s25, v2
	v_xor_b32_e32 v26, s24, v2
	v_and_b32_e32 v2, v1, v4
	v_and_b32_e32 v1, v25, v26
	v_mbcnt_lo_u32_b32 v4, v1, 0
	v_mbcnt_hi_u32_b32 v25, v2, v4
	v_cmp_ne_u64_e64 s[24:25], 0, v[1:2]
	v_cmp_eq_u32_e64 s[26:27], 0, v25
	s_and_b64 s[26:27], s[24:25], s[26:27]
	v_add_u32_e32 v26, v13, v5
	; wave barrier
	s_and_saveexec_b64 s[24:25], s[26:27]
	s_cbranch_execz .LBB70_6
; %bb.5:                                ;   in Loop: Header=BB70_2 Depth=1
	v_bcnt_u32_b32 v1, v1, 0
	v_bcnt_u32_b32 v1, v2, v1
	s_waitcnt lgkmcnt(0)
	v_add_u32_e32 v1, v24, v1
	ds_write_b32 v26, v1 offset:12
.LBB70_6:                               ;   in Loop: Header=BB70_2 Depth=1
	s_or_b64 exec, exec, s[24:25]
	v_and_b32_e32 v1, 0xff, v19
	v_mul_u32_u24_e32 v5, 12, v1
	v_mad_u32_u24 v1, v1, 12, v13
	; wave barrier
	ds_read_b32 v27, v1 offset:12
	v_and_b32_e32 v1, 1, v19
	v_add_co_u32_e64 v2, s[24:25], -1, v1
	v_addc_co_u32_e64 v4, s[24:25], 0, -1, s[24:25]
	v_cmp_ne_u32_e64 s[24:25], 0, v1
	v_xor_b32_e32 v1, s25, v4
	v_lshlrev_b32_e32 v4, 30, v19
	v_xor_b32_e32 v2, s24, v2
	v_cmp_gt_i64_e64 s[24:25], 0, v[3:4]
	v_not_b32_e32 v4, v4
	v_ashrrev_i32_e32 v4, 31, v4
	v_and_b32_e32 v2, exec_lo, v2
	v_xor_b32_e32 v28, s25, v4
	v_xor_b32_e32 v4, s24, v4
	v_and_b32_e32 v2, v2, v4
	v_lshlrev_b32_e32 v4, 29, v19
	v_cmp_gt_i64_e64 s[24:25], 0, v[3:4]
	v_not_b32_e32 v4, v4
	v_and_b32_e32 v1, exec_hi, v1
	v_ashrrev_i32_e32 v4, 31, v4
	v_and_b32_e32 v1, v1, v28
	v_xor_b32_e32 v28, s25, v4
	v_xor_b32_e32 v4, s24, v4
	v_and_b32_e32 v2, v2, v4
	v_lshlrev_b32_e32 v4, 28, v19
	v_cmp_gt_i64_e64 s[24:25], 0, v[3:4]
	v_not_b32_e32 v4, v4
	v_ashrrev_i32_e32 v4, 31, v4
	v_and_b32_e32 v1, v1, v28
	v_xor_b32_e32 v28, s25, v4
	v_xor_b32_e32 v4, s24, v4
	v_and_b32_e32 v2, v2, v4
	v_lshlrev_b32_e32 v4, 27, v19
	v_cmp_gt_i64_e64 s[24:25], 0, v[3:4]
	v_not_b32_e32 v4, v4
	;; [unrolled: 8-line block ×4, first 2 shown]
	v_ashrrev_i32_e32 v4, 31, v4
	v_and_b32_e32 v1, v1, v28
	v_xor_b32_e32 v28, s25, v4
	v_xor_b32_e32 v4, s24, v4
	v_and_b32_e32 v1, v1, v28
	v_and_b32_e32 v28, v2, v4
	v_lshlrev_b32_e32 v4, 24, v19
	v_cmp_gt_i64_e64 s[24:25], 0, v[3:4]
	v_not_b32_e32 v2, v4
	v_ashrrev_i32_e32 v2, 31, v2
	v_xor_b32_e32 v4, s25, v2
	v_xor_b32_e32 v29, s24, v2
	v_and_b32_e32 v2, v1, v4
	v_and_b32_e32 v1, v28, v29
	v_mbcnt_lo_u32_b32 v4, v1, 0
	v_mbcnt_hi_u32_b32 v28, v2, v4
	v_cmp_ne_u64_e64 s[24:25], 0, v[1:2]
	v_cmp_eq_u32_e64 s[26:27], 0, v28
	s_and_b64 s[26:27], s[24:25], s[26:27]
	v_add_u32_e32 v29, v13, v5
	; wave barrier
	s_and_saveexec_b64 s[24:25], s[26:27]
	s_cbranch_execz .LBB70_8
; %bb.7:                                ;   in Loop: Header=BB70_2 Depth=1
	v_bcnt_u32_b32 v1, v1, 0
	v_bcnt_u32_b32 v1, v2, v1
	s_waitcnt lgkmcnt(0)
	v_add_u32_e32 v1, v27, v1
	ds_write_b32 v29, v1 offset:12
.LBB70_8:                               ;   in Loop: Header=BB70_2 Depth=1
	s_or_b64 exec, exec, s[24:25]
	v_and_b32_e32 v1, 0xff, v18
	v_mul_u32_u24_e32 v5, 12, v1
	v_mad_u32_u24 v1, v1, 12, v13
	; wave barrier
	ds_read_b32 v30, v1 offset:12
	v_and_b32_e32 v1, 1, v18
	v_add_co_u32_e64 v2, s[24:25], -1, v1
	v_addc_co_u32_e64 v4, s[24:25], 0, -1, s[24:25]
	v_cmp_ne_u32_e64 s[24:25], 0, v1
	v_xor_b32_e32 v1, s25, v4
	v_lshlrev_b32_e32 v4, 30, v18
	v_xor_b32_e32 v2, s24, v2
	v_cmp_gt_i64_e64 s[24:25], 0, v[3:4]
	v_not_b32_e32 v4, v4
	v_ashrrev_i32_e32 v4, 31, v4
	v_and_b32_e32 v2, exec_lo, v2
	v_xor_b32_e32 v31, s25, v4
	v_xor_b32_e32 v4, s24, v4
	v_and_b32_e32 v2, v2, v4
	v_lshlrev_b32_e32 v4, 29, v18
	v_cmp_gt_i64_e64 s[24:25], 0, v[3:4]
	v_not_b32_e32 v4, v4
	v_and_b32_e32 v1, exec_hi, v1
	v_ashrrev_i32_e32 v4, 31, v4
	v_and_b32_e32 v1, v1, v31
	v_xor_b32_e32 v31, s25, v4
	v_xor_b32_e32 v4, s24, v4
	v_and_b32_e32 v2, v2, v4
	v_lshlrev_b32_e32 v4, 28, v18
	v_cmp_gt_i64_e64 s[24:25], 0, v[3:4]
	v_not_b32_e32 v4, v4
	v_ashrrev_i32_e32 v4, 31, v4
	v_and_b32_e32 v1, v1, v31
	v_xor_b32_e32 v31, s25, v4
	v_xor_b32_e32 v4, s24, v4
	v_and_b32_e32 v2, v2, v4
	v_lshlrev_b32_e32 v4, 27, v18
	v_cmp_gt_i64_e64 s[24:25], 0, v[3:4]
	v_not_b32_e32 v4, v4
	;; [unrolled: 8-line block ×4, first 2 shown]
	v_ashrrev_i32_e32 v4, 31, v4
	v_and_b32_e32 v1, v1, v31
	v_xor_b32_e32 v31, s25, v4
	v_xor_b32_e32 v4, s24, v4
	v_and_b32_e32 v1, v1, v31
	v_and_b32_e32 v31, v2, v4
	v_lshlrev_b32_e32 v4, 24, v18
	v_cmp_gt_i64_e64 s[24:25], 0, v[3:4]
	v_not_b32_e32 v2, v4
	v_ashrrev_i32_e32 v2, 31, v2
	v_xor_b32_e32 v4, s25, v2
	v_xor_b32_e32 v32, s24, v2
	v_and_b32_e32 v2, v1, v4
	v_and_b32_e32 v1, v31, v32
	v_mbcnt_lo_u32_b32 v4, v1, 0
	v_mbcnt_hi_u32_b32 v31, v2, v4
	v_cmp_ne_u64_e64 s[24:25], 0, v[1:2]
	v_cmp_eq_u32_e64 s[26:27], 0, v31
	s_and_b64 s[26:27], s[24:25], s[26:27]
	v_add_u32_e32 v32, v13, v5
	; wave barrier
	s_and_saveexec_b64 s[24:25], s[26:27]
	s_cbranch_execz .LBB70_10
; %bb.9:                                ;   in Loop: Header=BB70_2 Depth=1
	v_bcnt_u32_b32 v1, v1, 0
	v_bcnt_u32_b32 v1, v2, v1
	s_waitcnt lgkmcnt(0)
	v_add_u32_e32 v1, v30, v1
	ds_write_b32 v32, v1 offset:12
.LBB70_10:                              ;   in Loop: Header=BB70_2 Depth=1
	s_or_b64 exec, exec, s[24:25]
	v_and_b32_e32 v1, 0xff, v17
	v_mul_u32_u24_e32 v5, 12, v1
	v_mad_u32_u24 v1, v1, 12, v13
	; wave barrier
	ds_read_b32 v33, v1 offset:12
	v_and_b32_e32 v1, 1, v17
	v_add_co_u32_e64 v2, s[24:25], -1, v1
	v_addc_co_u32_e64 v4, s[24:25], 0, -1, s[24:25]
	v_cmp_ne_u32_e64 s[24:25], 0, v1
	v_xor_b32_e32 v1, s25, v4
	v_lshlrev_b32_e32 v4, 30, v17
	v_xor_b32_e32 v2, s24, v2
	v_cmp_gt_i64_e64 s[24:25], 0, v[3:4]
	v_not_b32_e32 v4, v4
	v_ashrrev_i32_e32 v4, 31, v4
	v_and_b32_e32 v2, exec_lo, v2
	v_xor_b32_e32 v34, s25, v4
	v_xor_b32_e32 v4, s24, v4
	v_and_b32_e32 v2, v2, v4
	v_lshlrev_b32_e32 v4, 29, v17
	v_cmp_gt_i64_e64 s[24:25], 0, v[3:4]
	v_not_b32_e32 v4, v4
	v_and_b32_e32 v1, exec_hi, v1
	v_ashrrev_i32_e32 v4, 31, v4
	v_and_b32_e32 v1, v1, v34
	v_xor_b32_e32 v34, s25, v4
	v_xor_b32_e32 v4, s24, v4
	v_and_b32_e32 v2, v2, v4
	v_lshlrev_b32_e32 v4, 28, v17
	v_cmp_gt_i64_e64 s[24:25], 0, v[3:4]
	v_not_b32_e32 v4, v4
	v_ashrrev_i32_e32 v4, 31, v4
	v_and_b32_e32 v1, v1, v34
	v_xor_b32_e32 v34, s25, v4
	v_xor_b32_e32 v4, s24, v4
	v_and_b32_e32 v2, v2, v4
	v_lshlrev_b32_e32 v4, 27, v17
	v_cmp_gt_i64_e64 s[24:25], 0, v[3:4]
	v_not_b32_e32 v4, v4
	;; [unrolled: 8-line block ×4, first 2 shown]
	v_ashrrev_i32_e32 v4, 31, v4
	v_and_b32_e32 v1, v1, v34
	v_xor_b32_e32 v34, s25, v4
	v_xor_b32_e32 v4, s24, v4
	v_and_b32_e32 v1, v1, v34
	v_and_b32_e32 v34, v2, v4
	v_lshlrev_b32_e32 v4, 24, v17
	v_cmp_gt_i64_e64 s[24:25], 0, v[3:4]
	v_not_b32_e32 v2, v4
	v_ashrrev_i32_e32 v2, 31, v2
	v_xor_b32_e32 v4, s25, v2
	v_xor_b32_e32 v35, s24, v2
	v_and_b32_e32 v2, v1, v4
	v_and_b32_e32 v1, v34, v35
	v_mbcnt_lo_u32_b32 v4, v1, 0
	v_mbcnt_hi_u32_b32 v34, v2, v4
	v_cmp_ne_u64_e64 s[24:25], 0, v[1:2]
	v_cmp_eq_u32_e64 s[26:27], 0, v34
	s_and_b64 s[26:27], s[24:25], s[26:27]
	v_add_u32_e32 v35, v13, v5
	; wave barrier
	s_and_saveexec_b64 s[24:25], s[26:27]
	s_cbranch_execz .LBB70_12
; %bb.11:                               ;   in Loop: Header=BB70_2 Depth=1
	v_bcnt_u32_b32 v1, v1, 0
	v_bcnt_u32_b32 v1, v2, v1
	s_waitcnt lgkmcnt(0)
	v_add_u32_e32 v1, v33, v1
	ds_write_b32 v35, v1 offset:12
.LBB70_12:                              ;   in Loop: Header=BB70_2 Depth=1
	s_or_b64 exec, exec, s[24:25]
	v_and_b32_e32 v1, 0xff, v16
	v_mul_u32_u24_e32 v5, 12, v1
	v_mad_u32_u24 v1, v1, 12, v13
	; wave barrier
	ds_read_b32 v36, v1 offset:12
	v_and_b32_e32 v1, 1, v16
	v_add_co_u32_e64 v2, s[24:25], -1, v1
	v_addc_co_u32_e64 v4, s[24:25], 0, -1, s[24:25]
	v_cmp_ne_u32_e64 s[24:25], 0, v1
	v_xor_b32_e32 v1, s25, v4
	v_lshlrev_b32_e32 v4, 30, v16
	v_xor_b32_e32 v2, s24, v2
	v_cmp_gt_i64_e64 s[24:25], 0, v[3:4]
	v_not_b32_e32 v4, v4
	v_ashrrev_i32_e32 v4, 31, v4
	v_and_b32_e32 v2, exec_lo, v2
	v_xor_b32_e32 v37, s25, v4
	v_xor_b32_e32 v4, s24, v4
	v_and_b32_e32 v2, v2, v4
	v_lshlrev_b32_e32 v4, 29, v16
	v_cmp_gt_i64_e64 s[24:25], 0, v[3:4]
	v_not_b32_e32 v4, v4
	v_and_b32_e32 v1, exec_hi, v1
	v_ashrrev_i32_e32 v4, 31, v4
	v_and_b32_e32 v1, v1, v37
	v_xor_b32_e32 v37, s25, v4
	v_xor_b32_e32 v4, s24, v4
	v_and_b32_e32 v2, v2, v4
	v_lshlrev_b32_e32 v4, 28, v16
	v_cmp_gt_i64_e64 s[24:25], 0, v[3:4]
	v_not_b32_e32 v4, v4
	v_ashrrev_i32_e32 v4, 31, v4
	v_and_b32_e32 v1, v1, v37
	v_xor_b32_e32 v37, s25, v4
	v_xor_b32_e32 v4, s24, v4
	v_and_b32_e32 v2, v2, v4
	v_lshlrev_b32_e32 v4, 27, v16
	v_cmp_gt_i64_e64 s[24:25], 0, v[3:4]
	v_not_b32_e32 v4, v4
	;; [unrolled: 8-line block ×4, first 2 shown]
	v_ashrrev_i32_e32 v4, 31, v4
	v_and_b32_e32 v1, v1, v37
	v_xor_b32_e32 v37, s25, v4
	v_xor_b32_e32 v4, s24, v4
	v_and_b32_e32 v1, v1, v37
	v_and_b32_e32 v37, v2, v4
	v_lshlrev_b32_e32 v4, 24, v16
	v_cmp_gt_i64_e64 s[24:25], 0, v[3:4]
	v_not_b32_e32 v2, v4
	v_ashrrev_i32_e32 v2, 31, v2
	v_xor_b32_e32 v4, s25, v2
	v_xor_b32_e32 v38, s24, v2
	v_and_b32_e32 v2, v1, v4
	v_and_b32_e32 v1, v37, v38
	v_mbcnt_lo_u32_b32 v4, v1, 0
	v_mbcnt_hi_u32_b32 v37, v2, v4
	v_cmp_ne_u64_e64 s[24:25], 0, v[1:2]
	v_cmp_eq_u32_e64 s[26:27], 0, v37
	s_and_b64 s[26:27], s[24:25], s[26:27]
	v_add_u32_e32 v38, v13, v5
	; wave barrier
	s_and_saveexec_b64 s[24:25], s[26:27]
	s_cbranch_execz .LBB70_14
; %bb.13:                               ;   in Loop: Header=BB70_2 Depth=1
	v_bcnt_u32_b32 v1, v1, 0
	v_bcnt_u32_b32 v1, v2, v1
	s_waitcnt lgkmcnt(0)
	v_add_u32_e32 v1, v36, v1
	ds_write_b32 v38, v1 offset:12
.LBB70_14:                              ;   in Loop: Header=BB70_2 Depth=1
	s_or_b64 exec, exec, s[24:25]
	v_and_b32_e32 v1, 0xff, v15
	v_mul_u32_u24_e32 v5, 12, v1
	v_mad_u32_u24 v1, v1, 12, v13
	; wave barrier
	ds_read_b32 v39, v1 offset:12
	v_and_b32_e32 v1, 1, v15
	v_add_co_u32_e64 v2, s[24:25], -1, v1
	v_addc_co_u32_e64 v4, s[24:25], 0, -1, s[24:25]
	v_cmp_ne_u32_e64 s[24:25], 0, v1
	v_xor_b32_e32 v1, s25, v4
	v_lshlrev_b32_e32 v4, 30, v15
	v_xor_b32_e32 v2, s24, v2
	v_cmp_gt_i64_e64 s[24:25], 0, v[3:4]
	v_not_b32_e32 v4, v4
	v_ashrrev_i32_e32 v4, 31, v4
	v_and_b32_e32 v2, exec_lo, v2
	v_xor_b32_e32 v40, s25, v4
	v_xor_b32_e32 v4, s24, v4
	v_and_b32_e32 v2, v2, v4
	v_lshlrev_b32_e32 v4, 29, v15
	v_cmp_gt_i64_e64 s[24:25], 0, v[3:4]
	v_not_b32_e32 v4, v4
	v_and_b32_e32 v1, exec_hi, v1
	v_ashrrev_i32_e32 v4, 31, v4
	v_and_b32_e32 v1, v1, v40
	v_xor_b32_e32 v40, s25, v4
	v_xor_b32_e32 v4, s24, v4
	v_and_b32_e32 v2, v2, v4
	v_lshlrev_b32_e32 v4, 28, v15
	v_cmp_gt_i64_e64 s[24:25], 0, v[3:4]
	v_not_b32_e32 v4, v4
	v_ashrrev_i32_e32 v4, 31, v4
	v_and_b32_e32 v1, v1, v40
	v_xor_b32_e32 v40, s25, v4
	v_xor_b32_e32 v4, s24, v4
	v_and_b32_e32 v2, v2, v4
	v_lshlrev_b32_e32 v4, 27, v15
	v_cmp_gt_i64_e64 s[24:25], 0, v[3:4]
	v_not_b32_e32 v4, v4
	;; [unrolled: 8-line block ×4, first 2 shown]
	v_ashrrev_i32_e32 v4, 31, v4
	v_and_b32_e32 v1, v1, v40
	v_xor_b32_e32 v40, s25, v4
	v_xor_b32_e32 v4, s24, v4
	v_and_b32_e32 v1, v1, v40
	v_and_b32_e32 v40, v2, v4
	v_lshlrev_b32_e32 v4, 24, v15
	v_cmp_gt_i64_e64 s[24:25], 0, v[3:4]
	v_not_b32_e32 v2, v4
	v_ashrrev_i32_e32 v2, 31, v2
	v_xor_b32_e32 v4, s25, v2
	v_xor_b32_e32 v41, s24, v2
	v_and_b32_e32 v2, v1, v4
	v_and_b32_e32 v1, v40, v41
	v_mbcnt_lo_u32_b32 v4, v1, 0
	v_mbcnt_hi_u32_b32 v40, v2, v4
	v_cmp_ne_u64_e64 s[24:25], 0, v[1:2]
	v_cmp_eq_u32_e64 s[26:27], 0, v40
	s_and_b64 s[26:27], s[24:25], s[26:27]
	v_add_u32_e32 v42, v13, v5
	; wave barrier
	s_and_saveexec_b64 s[24:25], s[26:27]
	s_cbranch_execz .LBB70_16
; %bb.15:                               ;   in Loop: Header=BB70_2 Depth=1
	v_bcnt_u32_b32 v1, v1, 0
	v_bcnt_u32_b32 v1, v2, v1
	s_waitcnt lgkmcnt(0)
	v_add_u32_e32 v1, v39, v1
	ds_write_b32 v42, v1 offset:12
.LBB70_16:                              ;   in Loop: Header=BB70_2 Depth=1
	s_or_b64 exec, exec, s[24:25]
	v_and_b32_e32 v1, 0xff, v14
	v_mul_u32_u24_e32 v5, 12, v1
	v_mad_u32_u24 v1, v1, 12, v13
	; wave barrier
	ds_read_b32 v41, v1 offset:12
	v_and_b32_e32 v1, 1, v14
	v_add_co_u32_e64 v2, s[24:25], -1, v1
	v_addc_co_u32_e64 v4, s[24:25], 0, -1, s[24:25]
	v_cmp_ne_u32_e64 s[24:25], 0, v1
	v_xor_b32_e32 v1, s25, v4
	v_lshlrev_b32_e32 v4, 30, v14
	v_xor_b32_e32 v2, s24, v2
	v_cmp_gt_i64_e64 s[24:25], 0, v[3:4]
	v_not_b32_e32 v4, v4
	v_ashrrev_i32_e32 v4, 31, v4
	v_and_b32_e32 v2, exec_lo, v2
	v_xor_b32_e32 v43, s25, v4
	v_xor_b32_e32 v4, s24, v4
	v_and_b32_e32 v2, v2, v4
	v_lshlrev_b32_e32 v4, 29, v14
	v_cmp_gt_i64_e64 s[24:25], 0, v[3:4]
	v_not_b32_e32 v4, v4
	v_and_b32_e32 v1, exec_hi, v1
	v_ashrrev_i32_e32 v4, 31, v4
	v_and_b32_e32 v1, v1, v43
	v_xor_b32_e32 v43, s25, v4
	v_xor_b32_e32 v4, s24, v4
	v_and_b32_e32 v2, v2, v4
	v_lshlrev_b32_e32 v4, 28, v14
	v_cmp_gt_i64_e64 s[24:25], 0, v[3:4]
	v_not_b32_e32 v4, v4
	v_ashrrev_i32_e32 v4, 31, v4
	v_and_b32_e32 v1, v1, v43
	v_xor_b32_e32 v43, s25, v4
	v_xor_b32_e32 v4, s24, v4
	v_and_b32_e32 v2, v2, v4
	v_lshlrev_b32_e32 v4, 27, v14
	v_cmp_gt_i64_e64 s[24:25], 0, v[3:4]
	v_not_b32_e32 v4, v4
	;; [unrolled: 8-line block ×4, first 2 shown]
	v_ashrrev_i32_e32 v4, 31, v4
	v_and_b32_e32 v1, v1, v43
	v_xor_b32_e32 v43, s25, v4
	v_xor_b32_e32 v4, s24, v4
	v_and_b32_e32 v1, v1, v43
	v_and_b32_e32 v43, v2, v4
	v_lshlrev_b32_e32 v4, 24, v14
	v_cmp_gt_i64_e64 s[24:25], 0, v[3:4]
	v_not_b32_e32 v2, v4
	v_ashrrev_i32_e32 v2, 31, v2
	v_xor_b32_e32 v4, s25, v2
	v_xor_b32_e32 v44, s24, v2
	v_and_b32_e32 v2, v1, v4
	v_and_b32_e32 v1, v43, v44
	v_mbcnt_lo_u32_b32 v4, v1, 0
	v_mbcnt_hi_u32_b32 v43, v2, v4
	v_cmp_ne_u64_e64 s[24:25], 0, v[1:2]
	v_cmp_eq_u32_e64 s[26:27], 0, v43
	s_and_b64 s[26:27], s[24:25], s[26:27]
	v_add_u32_e32 v44, v13, v5
	; wave barrier
	s_and_saveexec_b64 s[24:25], s[26:27]
	s_cbranch_execz .LBB70_18
; %bb.17:                               ;   in Loop: Header=BB70_2 Depth=1
	v_bcnt_u32_b32 v1, v1, 0
	v_bcnt_u32_b32 v1, v2, v1
	s_waitcnt lgkmcnt(0)
	v_add_u32_e32 v1, v41, v1
	ds_write_b32 v44, v1 offset:12
.LBB70_18:                              ;   in Loop: Header=BB70_2 Depth=1
	s_or_b64 exec, exec, s[24:25]
	; wave barrier
	s_waitcnt lgkmcnt(0)
	s_barrier
	ds_read2_b32 v[4:5], v6 offset0:3 offset1:4
	ds_read2_b32 v[1:2], v6 offset0:5 offset1:6
	s_waitcnt lgkmcnt(1)
	v_add_u32_e32 v45, v5, v4
	s_waitcnt lgkmcnt(0)
	v_add3_u32 v2, v45, v1, v2
	s_nop 1
	v_mov_b32_dpp v45, v2 row_shr:1 row_mask:0xf bank_mask:0xf
	v_cndmask_b32_e64 v45, v45, 0, s[8:9]
	v_add_u32_e32 v2, v45, v2
	s_nop 1
	v_mov_b32_dpp v45, v2 row_shr:2 row_mask:0xf bank_mask:0xf
	v_cndmask_b32_e64 v45, 0, v45, s[10:11]
	v_add_u32_e32 v2, v2, v45
	;; [unrolled: 4-line block ×4, first 2 shown]
	s_nop 1
	v_mov_b32_dpp v45, v2 row_bcast:15 row_mask:0xf bank_mask:0xf
	v_cndmask_b32_e64 v45, v45, 0, s[16:17]
	v_add_u32_e32 v2, v2, v45
	s_nop 1
	v_mov_b32_dpp v45, v2 row_bcast:31 row_mask:0xf bank_mask:0xf
	v_cndmask_b32_e64 v45, 0, v45, s[6:7]
	v_add_u32_e32 v2, v2, v45
	s_and_saveexec_b64 s[24:25], s[22:23]
; %bb.19:                               ;   in Loop: Header=BB70_2 Depth=1
	ds_write_b32 v9, v2
; %bb.20:                               ;   in Loop: Header=BB70_2 Depth=1
	s_or_b64 exec, exec, s[24:25]
	s_waitcnt lgkmcnt(0)
	s_barrier
	s_and_saveexec_b64 s[24:25], vcc
	s_cbranch_execz .LBB70_22
; %bb.21:                               ;   in Loop: Header=BB70_2 Depth=1
	ds_read_b32 v45, v11
	s_waitcnt lgkmcnt(0)
	s_nop 0
	v_mov_b32_dpp v46, v45 row_shr:1 row_mask:0xf bank_mask:0xf
	v_cndmask_b32_e64 v46, v46, 0, s[18:19]
	v_add_u32_e32 v45, v46, v45
	s_nop 1
	v_mov_b32_dpp v46, v45 row_shr:2 row_mask:0xf bank_mask:0xf
	v_cndmask_b32_e64 v46, 0, v46, s[20:21]
	v_add_u32_e32 v45, v45, v46
	ds_write_b32 v11, v45
.LBB70_22:                              ;   in Loop: Header=BB70_2 Depth=1
	s_or_b64 exec, exec, s[24:25]
	v_mov_b32_e32 v45, 0
	s_waitcnt lgkmcnt(0)
	s_barrier
	s_and_saveexec_b64 s[24:25], s[0:1]
	s_cbranch_execz .LBB70_1
; %bb.23:                               ;   in Loop: Header=BB70_2 Depth=1
	v_add_u32_e32 v45, -4, v9
	ds_read_b32 v45, v45
	s_branch .LBB70_1
.LBB70_24:
	s_add_u32 s0, s30, s33
	s_addc_u32 s1, s31, 0
	v_mov_b32_e32 v4, s1
	v_add_co_u32_e32 v3, vcc, s0, v0
	v_addc_co_u32_e32 v4, vcc, 0, v4, vcc
	v_lshrrev_b32_e32 v0, 8, v2
	global_store_byte v[3:4], v2, off
	global_store_byte v[3:4], v0, off offset:192
	global_store_byte_d16_hi v[3:4], v2, off offset:384
	v_lshrrev_b32_e32 v0, 24, v2
	global_store_byte v[3:4], v0, off offset:576
	global_store_byte v[3:4], v1, off offset:768
	v_lshrrev_b32_e32 v0, 8, v1
	global_store_byte v[3:4], v0, off offset:960
	global_store_byte_d16_hi v[3:4], v1, off offset:1152
	v_lshrrev_b32_e32 v0, 24, v1
	global_store_byte v[3:4], v0, off offset:1344
	s_endpgm
	.section	.rodata,"a",@progbits
	.p2align	6, 0x0
	.amdhsa_kernel _Z16sort_keys_kernelI22helper_blocked_blockedaLj192ELj8ELj10EEvPKT0_PS1_
		.amdhsa_group_segment_fixed_size 3088
		.amdhsa_private_segment_fixed_size 0
		.amdhsa_kernarg_size 272
		.amdhsa_user_sgpr_count 6
		.amdhsa_user_sgpr_private_segment_buffer 1
		.amdhsa_user_sgpr_dispatch_ptr 0
		.amdhsa_user_sgpr_queue_ptr 0
		.amdhsa_user_sgpr_kernarg_segment_ptr 1
		.amdhsa_user_sgpr_dispatch_id 0
		.amdhsa_user_sgpr_flat_scratch_init 0
		.amdhsa_user_sgpr_private_segment_size 0
		.amdhsa_uses_dynamic_stack 0
		.amdhsa_system_sgpr_private_segment_wavefront_offset 0
		.amdhsa_system_sgpr_workgroup_id_x 1
		.amdhsa_system_sgpr_workgroup_id_y 0
		.amdhsa_system_sgpr_workgroup_id_z 0
		.amdhsa_system_sgpr_workgroup_info 0
		.amdhsa_system_vgpr_workitem_id 2
		.amdhsa_next_free_vgpr 47
		.amdhsa_next_free_sgpr 36
		.amdhsa_reserve_vcc 1
		.amdhsa_reserve_flat_scratch 0
		.amdhsa_float_round_mode_32 0
		.amdhsa_float_round_mode_16_64 0
		.amdhsa_float_denorm_mode_32 3
		.amdhsa_float_denorm_mode_16_64 3
		.amdhsa_dx10_clamp 1
		.amdhsa_ieee_mode 1
		.amdhsa_fp16_overflow 0
		.amdhsa_exception_fp_ieee_invalid_op 0
		.amdhsa_exception_fp_denorm_src 0
		.amdhsa_exception_fp_ieee_div_zero 0
		.amdhsa_exception_fp_ieee_overflow 0
		.amdhsa_exception_fp_ieee_underflow 0
		.amdhsa_exception_fp_ieee_inexact 0
		.amdhsa_exception_int_div_zero 0
	.end_amdhsa_kernel
	.section	.text._Z16sort_keys_kernelI22helper_blocked_blockedaLj192ELj8ELj10EEvPKT0_PS1_,"axG",@progbits,_Z16sort_keys_kernelI22helper_blocked_blockedaLj192ELj8ELj10EEvPKT0_PS1_,comdat
.Lfunc_end70:
	.size	_Z16sort_keys_kernelI22helper_blocked_blockedaLj192ELj8ELj10EEvPKT0_PS1_, .Lfunc_end70-_Z16sort_keys_kernelI22helper_blocked_blockedaLj192ELj8ELj10EEvPKT0_PS1_
                                        ; -- End function
	.set _Z16sort_keys_kernelI22helper_blocked_blockedaLj192ELj8ELj10EEvPKT0_PS1_.num_vgpr, 47
	.set _Z16sort_keys_kernelI22helper_blocked_blockedaLj192ELj8ELj10EEvPKT0_PS1_.num_agpr, 0
	.set _Z16sort_keys_kernelI22helper_blocked_blockedaLj192ELj8ELj10EEvPKT0_PS1_.numbered_sgpr, 36
	.set _Z16sort_keys_kernelI22helper_blocked_blockedaLj192ELj8ELj10EEvPKT0_PS1_.num_named_barrier, 0
	.set _Z16sort_keys_kernelI22helper_blocked_blockedaLj192ELj8ELj10EEvPKT0_PS1_.private_seg_size, 0
	.set _Z16sort_keys_kernelI22helper_blocked_blockedaLj192ELj8ELj10EEvPKT0_PS1_.uses_vcc, 1
	.set _Z16sort_keys_kernelI22helper_blocked_blockedaLj192ELj8ELj10EEvPKT0_PS1_.uses_flat_scratch, 0
	.set _Z16sort_keys_kernelI22helper_blocked_blockedaLj192ELj8ELj10EEvPKT0_PS1_.has_dyn_sized_stack, 0
	.set _Z16sort_keys_kernelI22helper_blocked_blockedaLj192ELj8ELj10EEvPKT0_PS1_.has_recursion, 0
	.set _Z16sort_keys_kernelI22helper_blocked_blockedaLj192ELj8ELj10EEvPKT0_PS1_.has_indirect_call, 0
	.section	.AMDGPU.csdata,"",@progbits
; Kernel info:
; codeLenInByte = 4816
; TotalNumSgprs: 40
; NumVgprs: 47
; ScratchSize: 0
; MemoryBound: 0
; FloatMode: 240
; IeeeMode: 1
; LDSByteSize: 3088 bytes/workgroup (compile time only)
; SGPRBlocks: 4
; VGPRBlocks: 11
; NumSGPRsForWavesPerEU: 40
; NumVGPRsForWavesPerEU: 47
; Occupancy: 5
; WaveLimiterHint : 1
; COMPUTE_PGM_RSRC2:SCRATCH_EN: 0
; COMPUTE_PGM_RSRC2:USER_SGPR: 6
; COMPUTE_PGM_RSRC2:TRAP_HANDLER: 0
; COMPUTE_PGM_RSRC2:TGID_X_EN: 1
; COMPUTE_PGM_RSRC2:TGID_Y_EN: 0
; COMPUTE_PGM_RSRC2:TGID_Z_EN: 0
; COMPUTE_PGM_RSRC2:TIDIG_COMP_CNT: 2
	.section	.text._Z17sort_pairs_kernelI22helper_blocked_blockedaLj192ELj8ELj10EEvPKT0_PS1_,"axG",@progbits,_Z17sort_pairs_kernelI22helper_blocked_blockedaLj192ELj8ELj10EEvPKT0_PS1_,comdat
	.protected	_Z17sort_pairs_kernelI22helper_blocked_blockedaLj192ELj8ELj10EEvPKT0_PS1_ ; -- Begin function _Z17sort_pairs_kernelI22helper_blocked_blockedaLj192ELj8ELj10EEvPKT0_PS1_
	.globl	_Z17sort_pairs_kernelI22helper_blocked_blockedaLj192ELj8ELj10EEvPKT0_PS1_
	.p2align	8
	.type	_Z17sort_pairs_kernelI22helper_blocked_blockedaLj192ELj8ELj10EEvPKT0_PS1_,@function
_Z17sort_pairs_kernelI22helper_blocked_blockedaLj192ELj8ELj10EEvPKT0_PS1_: ; @_Z17sort_pairs_kernelI22helper_blocked_blockedaLj192ELj8ELj10EEvPKT0_PS1_
; %bb.0:
	s_load_dwordx4 s[28:31], s[4:5], 0x0
	s_load_dword s24, s[4:5], 0x1c
	s_mul_i32 s33, s6, 0x600
	v_mbcnt_lo_u32_b32 v6, -1, 0
	v_mbcnt_hi_u32_b32 v19, -1, v6
	s_waitcnt lgkmcnt(0)
	s_add_u32 s0, s28, s33
	s_addc_u32 s1, s29, 0
	global_load_ubyte v4, v0, s[0:1]
	global_load_ubyte v5, v0, s[0:1] offset:192
	global_load_ubyte v13, v0, s[0:1] offset:384
	;; [unrolled: 1-line block ×7, first 2 shown]
	v_subrev_co_u32_e64 v21, s[4:5], 1, v19
	v_and_b32_e32 v22, 64, v19
	v_and_b32_e32 v12, 16, v19
	v_cmp_lt_i32_e64 s[22:23], v21, v22
	v_cmp_eq_u32_e64 s[16:17], 0, v12
	v_cndmask_b32_e64 v12, v21, v19, s[22:23]
	s_lshr_b32 s22, s24, 16
	s_and_b32 s23, s24, 0xffff
	v_mad_u32_u24 v1, v2, s22, v1
	v_mad_u64_u32 v[1:2], s[22:23], v1, s23, v[0:1]
	v_and_b32_e32 v7, 0xc0, v0
	v_and_b32_e32 v11, 15, v19
	v_min_u32_e32 v20, 0x80, v7
	s_mov_b32 s25, 0xc0c0004
	v_and_b32_e32 v23, 3, v19
	v_cmp_eq_u32_e64 s[8:9], 0, v11
	v_cmp_lt_u32_e64 s[10:11], 1, v11
	v_cmp_lt_u32_e64 s[12:13], 3, v11
	;; [unrolled: 1-line block ×3, first 2 shown]
	v_or_b32_e32 v11, 63, v20
	v_lshrrev_b32_e32 v1, 4, v1
	v_cmp_eq_u32_e64 s[18:19], 0, v23
	v_cmp_lt_u32_e64 s[20:21], 1, v23
	v_cmp_eq_u32_e64 s[22:23], v0, v11
	v_lshlrev_b32_e32 v11, 2, v12
	v_and_b32_e32 v12, 0xffffffc, v1
	s_movk_i32 s26, 0x100
	v_lshlrev_b32_e32 v8, 3, v0
	v_lshlrev_b32_e32 v6, 4, v0
	v_lshrrev_b32_e32 v9, 4, v0
	v_lshlrev_b32_e32 v10, 2, v0
	v_and_b32_e32 v24, 0x600, v8
	v_sub_u32_e32 v8, v6, v8
	v_and_b32_e32 v9, 12, v9
	v_sub_u32_e32 v25, 0, v10
	v_mov_b32_e32 v3, 0
	s_movk_i32 s28, 0x80
	s_mov_b32 s29, 10
	s_movk_i32 s34, 0xff00
	s_movk_i32 s35, 0x8000
	v_cmp_gt_u32_e32 vcc, 3, v0
	v_cmp_lt_u32_e64 s[0:1], 63, v0
	v_cmp_eq_u32_e64 s[2:3], 0, v0
	v_add_lshl_u32 v7, v19, v7, 3
	v_cmp_lt_u32_e64 s[6:7], 31, v19
	v_add_u32_e32 v10, -4, v9
	s_waitcnt vmcnt(7)
	v_add_u16_e32 v22, 1, v4
	s_waitcnt vmcnt(6)
	v_perm_b32 v1, v4, v5, s25
	v_lshlrev_b16_e32 v23, 8, v5
	s_waitcnt vmcnt(4)
	v_perm_b32 v2, v13, v14, s25
	v_add_u16_e32 v13, 1, v13
	s_waitcnt vmcnt(2)
	v_perm_b32 v20, v15, v16, s25
	v_lshlrev_b16_e32 v14, 8, v14
	s_waitcnt vmcnt(0)
	v_perm_b32 v21, v17, v18, s25
	v_add_u16_e32 v15, 1, v15
	v_lshlrev_b16_e32 v16, 8, v16
	v_add_u16_e32 v17, 1, v17
	v_lshlrev_b16_e32 v18, 8, v18
	v_lshl_or_b32 v4, v2, 16, v1
	v_or_b32_sdwa v1, v23, v22 dst_sel:DWORD dst_unused:UNUSED_PAD src0_sel:DWORD src1_sel:BYTE_0
	v_or_b32_sdwa v2, v14, v13 dst_sel:DWORD dst_unused:UNUSED_PAD src0_sel:DWORD src1_sel:BYTE_0
	;; [unrolled: 1-line block ×4, first 2 shown]
	v_add_u16_e32 v1, 0x100, v1
	v_add_u16_sdwa v2, v2, s26 dst_sel:WORD_1 dst_unused:UNUSED_PAD src0_sel:DWORD src1_sel:DWORD
	v_add_u16_e32 v13, 0x100, v13
	v_add_u16_sdwa v14, v14, s26 dst_sel:WORD_1 dst_unused:UNUSED_PAD src0_sel:DWORD src1_sel:DWORD
	v_lshl_or_b32 v5, v21, 16, v20
	v_or_b32_e32 v1, v1, v2
	v_or_b32_e32 v2, v13, v14
	v_add_u32_e32 v13, v19, v24
	v_add_u32_e32 v14, v8, v25
	v_mov_b32_e32 v15, 12
	s_branch .LBB71_2
.LBB71_1:                               ;   in Loop: Header=BB71_2 Depth=1
	s_or_b64 exec, exec, s[24:25]
	s_waitcnt lgkmcnt(0)
	v_add_u32_e32 v2, v55, v2
	ds_bpermute_b32 v2, v11, v2
	s_add_i32 s29, s29, -1
	s_cmp_eq_u32 s29, 0
	s_waitcnt lgkmcnt(0)
	v_cndmask_b32_e64 v2, v2, v55, s[4:5]
	v_cndmask_b32_e64 v2, v2, 0, s[2:3]
	v_add_u32_e32 v4, v2, v4
	v_add_u32_e32 v5, v4, v5
	;; [unrolled: 1-line block ×3, first 2 shown]
	ds_write2_b32 v6, v2, v4 offset0:3 offset1:4
	ds_write2_b32 v6, v5, v1 offset0:5 offset1:6
	s_waitcnt lgkmcnt(0)
	s_barrier
	ds_read_b32 v1, v33 offset:12
	ds_read_b32 v2, v36 offset:12
	;; [unrolled: 1-line block ×8, first 2 shown]
	s_waitcnt lgkmcnt(7)
	v_add_u32_e32 v1, v1, v32
	s_waitcnt lgkmcnt(6)
	v_add3_u32 v2, v35, v34, v2
	s_waitcnt lgkmcnt(0)
	s_barrier
	ds_write_b8 v1, v23
	ds_write_b8 v2, v22
	v_add3_u32 v22, v38, v37, v4
	ds_write_b8 v22, v21
	v_add3_u32 v21, v41, v40, v5
	;; [unrolled: 2-line block ×6, first 2 shown]
	ds_write_b8 v17, v16
	s_waitcnt lgkmcnt(0)
	s_barrier
	ds_read_b64 v[4:5], v8
	s_waitcnt lgkmcnt(0)
	s_barrier
	ds_write_b8 v1, v24
	ds_write_b8 v2, v25
	;; [unrolled: 1-line block ×8, first 2 shown]
	v_and_b32_e32 v16, 0xffffff00, v4
	v_xor_b32_e32 v23, 0x80, v4
	v_or_b32_sdwa v16, v23, v16 dst_sel:DWORD dst_unused:UNUSED_PAD src0_sel:BYTE_0 src1_sel:DWORD
	v_and_b32_sdwa v23, v4, s34 dst_sel:DWORD dst_unused:UNUSED_PAD src0_sel:WORD_1 src1_sel:DWORD
	v_xor_b32_sdwa v4, v4, s28 dst_sel:DWORD dst_unused:UNUSED_PAD src0_sel:WORD_1 src1_sel:DWORD
	v_or_b32_sdwa v4, v4, v23 dst_sel:DWORD dst_unused:UNUSED_PAD src0_sel:BYTE_0 src1_sel:DWORD
	v_add_u16_e32 v16, 0x8000, v16
	v_add_u16_sdwa v4, v4, s35 dst_sel:WORD_1 dst_unused:UNUSED_PAD src0_sel:DWORD src1_sel:DWORD
	v_or_b32_e32 v4, v16, v4
	s_waitcnt lgkmcnt(0)
	s_barrier
	ds_read_b64 v[1:2], v8
	v_and_b32_e32 v16, 0xffffff00, v5
	v_xor_b32_e32 v17, 0x80, v5
	v_or_b32_sdwa v16, v17, v16 dst_sel:DWORD dst_unused:UNUSED_PAD src0_sel:BYTE_0 src1_sel:DWORD
	v_and_b32_sdwa v17, v5, s34 dst_sel:DWORD dst_unused:UNUSED_PAD src0_sel:WORD_1 src1_sel:DWORD
	v_xor_b32_sdwa v5, v5, s28 dst_sel:DWORD dst_unused:UNUSED_PAD src0_sel:WORD_1 src1_sel:DWORD
	v_or_b32_sdwa v5, v5, v17 dst_sel:DWORD dst_unused:UNUSED_PAD src0_sel:BYTE_0 src1_sel:DWORD
	v_add_u16_e32 v16, 0x8000, v16
	v_add_u16_sdwa v5, v5, s35 dst_sel:WORD_1 dst_unused:UNUSED_PAD src0_sel:DWORD src1_sel:DWORD
	v_or_b32_e32 v5, v16, v5
	s_cbranch_scc1 .LBB71_24
.LBB71_2:                               ; =>This Inner Loop Header: Depth=1
	v_and_b32_e32 v16, 0xffffff00, v4
	v_xor_b32_e32 v17, 0x80, v4
	v_or_b32_sdwa v16, v17, v16 dst_sel:DWORD dst_unused:UNUSED_PAD src0_sel:BYTE_0 src1_sel:DWORD
	v_and_b32_sdwa v17, v4, s34 dst_sel:DWORD dst_unused:UNUSED_PAD src0_sel:WORD_1 src1_sel:DWORD
	v_xor_b32_sdwa v4, v4, s28 dst_sel:DWORD dst_unused:UNUSED_PAD src0_sel:WORD_1 src1_sel:DWORD
	v_or_b32_sdwa v4, v4, v17 dst_sel:DWORD dst_unused:UNUSED_PAD src0_sel:BYTE_0 src1_sel:DWORD
	v_add_u16_e32 v16, 0x8000, v16
	v_add_u16_sdwa v4, v4, s35 dst_sel:WORD_1 dst_unused:UNUSED_PAD src0_sel:DWORD src1_sel:DWORD
	v_or_b32_e32 v4, v16, v4
	v_and_b32_e32 v16, 0xffffff00, v5
	v_xor_b32_e32 v17, 0x80, v5
	v_or_b32_sdwa v16, v17, v16 dst_sel:DWORD dst_unused:UNUSED_PAD src0_sel:BYTE_0 src1_sel:DWORD
	v_and_b32_sdwa v17, v5, s34 dst_sel:DWORD dst_unused:UNUSED_PAD src0_sel:WORD_1 src1_sel:DWORD
	v_xor_b32_sdwa v5, v5, s28 dst_sel:DWORD dst_unused:UNUSED_PAD src0_sel:WORD_1 src1_sel:DWORD
	v_or_b32_sdwa v5, v5, v17 dst_sel:DWORD dst_unused:UNUSED_PAD src0_sel:BYTE_0 src1_sel:DWORD
	v_add_u16_e32 v16, 0x8000, v16
	v_add_u16_sdwa v5, v5, s35 dst_sel:WORD_1 dst_unused:UNUSED_PAD src0_sel:DWORD src1_sel:DWORD
	v_or_b32_e32 v5, v16, v5
	ds_write_b64 v7, v[4:5]
	; wave barrier
	ds_read_u8 v23, v13
	ds_read_u8 v22, v13 offset:64
	ds_read_u8 v21, v13 offset:128
	;; [unrolled: 1-line block ×7, first 2 shown]
	; wave barrier
	s_waitcnt lgkmcnt(9)
	ds_write_b64 v7, v[1:2]
	s_waitcnt lgkmcnt(8)
	v_and_b32_e32 v1, 1, v23
	v_add_co_u32_e64 v2, s[24:25], -1, v1
	v_addc_co_u32_e64 v4, s[24:25], 0, -1, s[24:25]
	v_cmp_ne_u32_e64 s[24:25], 0, v1
	v_xor_b32_e32 v1, s25, v4
	v_lshlrev_b32_e32 v4, 30, v23
	v_xor_b32_e32 v2, s24, v2
	v_cmp_gt_i64_e64 s[24:25], 0, v[3:4]
	v_not_b32_e32 v4, v4
	v_ashrrev_i32_e32 v4, 31, v4
	v_and_b32_e32 v2, exec_lo, v2
	v_xor_b32_e32 v5, s25, v4
	v_xor_b32_e32 v4, s24, v4
	v_and_b32_e32 v2, v2, v4
	v_lshlrev_b32_e32 v4, 29, v23
	v_cmp_gt_i64_e64 s[24:25], 0, v[3:4]
	v_not_b32_e32 v4, v4
	v_and_b32_e32 v1, exec_hi, v1
	v_ashrrev_i32_e32 v4, 31, v4
	v_and_b32_e32 v1, v1, v5
	v_xor_b32_e32 v5, s25, v4
	v_xor_b32_e32 v4, s24, v4
	v_and_b32_e32 v2, v2, v4
	v_lshlrev_b32_e32 v4, 28, v23
	v_cmp_gt_i64_e64 s[24:25], 0, v[3:4]
	v_not_b32_e32 v4, v4
	v_ashrrev_i32_e32 v4, 31, v4
	v_and_b32_e32 v1, v1, v5
	v_xor_b32_e32 v5, s25, v4
	v_xor_b32_e32 v4, s24, v4
	v_and_b32_e32 v2, v2, v4
	v_lshlrev_b32_e32 v4, 27, v23
	v_cmp_gt_i64_e64 s[24:25], 0, v[3:4]
	v_not_b32_e32 v4, v4
	;; [unrolled: 8-line block ×4, first 2 shown]
	v_ashrrev_i32_e32 v4, 31, v4
	v_and_b32_e32 v1, v1, v5
	v_xor_b32_e32 v5, s25, v4
	v_xor_b32_e32 v4, s24, v4
	v_and_b32_e32 v1, v1, v5
	v_and_b32_e32 v5, v2, v4
	v_lshlrev_b32_e32 v4, 24, v23
	v_cmp_gt_i64_e64 s[24:25], 0, v[3:4]
	v_not_b32_e32 v2, v4
	v_ashrrev_i32_e32 v2, 31, v2
	v_xor_b32_e32 v4, s25, v2
	v_xor_b32_e32 v24, s24, v2
	; wave barrier
	v_and_b32_e32 v2, v1, v4
	v_and_b32_e32 v1, v5, v24
	ds_read_u8 v24, v13
	ds_read_u8 v25, v13 offset:64
	ds_read_u8 v26, v13 offset:128
	;; [unrolled: 1-line block ×7, first 2 shown]
	v_mbcnt_lo_u32_b32 v4, v1, 0
	v_mbcnt_hi_u32_b32 v32, v2, v4
	v_cmp_ne_u64_e64 s[24:25], 0, v[1:2]
	v_cmp_eq_u32_e64 s[26:27], 0, v32
	v_mul_u32_u24_sdwa v4, v23, v15 dst_sel:DWORD dst_unused:UNUSED_PAD src0_sel:BYTE_0 src1_sel:DWORD
	s_and_b64 s[26:27], s[24:25], s[26:27]
	v_add_u32_e32 v33, v12, v4
	s_waitcnt lgkmcnt(0)
	s_barrier
	ds_write2_b32 v6, v3, v3 offset0:3 offset1:4
	ds_write2_b32 v6, v3, v3 offset0:5 offset1:6
	s_waitcnt lgkmcnt(0)
	s_barrier
	; wave barrier
	s_and_saveexec_b64 s[24:25], s[26:27]
; %bb.3:                                ;   in Loop: Header=BB71_2 Depth=1
	v_bcnt_u32_b32 v1, v1, 0
	v_bcnt_u32_b32 v1, v2, v1
	ds_write_b32 v33, v1 offset:12
; %bb.4:                                ;   in Loop: Header=BB71_2 Depth=1
	s_or_b64 exec, exec, s[24:25]
	v_and_b32_e32 v1, 0xff, v22
	v_mul_u32_u24_e32 v5, 12, v1
	v_mad_u32_u24 v1, v1, 12, v12
	; wave barrier
	ds_read_b32 v34, v1 offset:12
	v_and_b32_e32 v1, 1, v22
	v_add_co_u32_e64 v2, s[24:25], -1, v1
	v_addc_co_u32_e64 v4, s[24:25], 0, -1, s[24:25]
	v_cmp_ne_u32_e64 s[24:25], 0, v1
	v_xor_b32_e32 v1, s25, v4
	v_lshlrev_b32_e32 v4, 30, v22
	v_xor_b32_e32 v2, s24, v2
	v_cmp_gt_i64_e64 s[24:25], 0, v[3:4]
	v_not_b32_e32 v4, v4
	v_ashrrev_i32_e32 v4, 31, v4
	v_and_b32_e32 v2, exec_lo, v2
	v_xor_b32_e32 v35, s25, v4
	v_xor_b32_e32 v4, s24, v4
	v_and_b32_e32 v2, v2, v4
	v_lshlrev_b32_e32 v4, 29, v22
	v_cmp_gt_i64_e64 s[24:25], 0, v[3:4]
	v_not_b32_e32 v4, v4
	v_and_b32_e32 v1, exec_hi, v1
	v_ashrrev_i32_e32 v4, 31, v4
	v_and_b32_e32 v1, v1, v35
	v_xor_b32_e32 v35, s25, v4
	v_xor_b32_e32 v4, s24, v4
	v_and_b32_e32 v2, v2, v4
	v_lshlrev_b32_e32 v4, 28, v22
	v_cmp_gt_i64_e64 s[24:25], 0, v[3:4]
	v_not_b32_e32 v4, v4
	v_ashrrev_i32_e32 v4, 31, v4
	v_and_b32_e32 v1, v1, v35
	v_xor_b32_e32 v35, s25, v4
	v_xor_b32_e32 v4, s24, v4
	v_and_b32_e32 v2, v2, v4
	v_lshlrev_b32_e32 v4, 27, v22
	v_cmp_gt_i64_e64 s[24:25], 0, v[3:4]
	v_not_b32_e32 v4, v4
	;; [unrolled: 8-line block ×4, first 2 shown]
	v_ashrrev_i32_e32 v4, 31, v4
	v_and_b32_e32 v1, v1, v35
	v_xor_b32_e32 v35, s25, v4
	v_xor_b32_e32 v4, s24, v4
	v_and_b32_e32 v1, v1, v35
	v_and_b32_e32 v35, v2, v4
	v_lshlrev_b32_e32 v4, 24, v22
	v_cmp_gt_i64_e64 s[24:25], 0, v[3:4]
	v_not_b32_e32 v2, v4
	v_ashrrev_i32_e32 v2, 31, v2
	v_xor_b32_e32 v4, s25, v2
	v_xor_b32_e32 v36, s24, v2
	v_and_b32_e32 v2, v1, v4
	v_and_b32_e32 v1, v35, v36
	v_mbcnt_lo_u32_b32 v4, v1, 0
	v_mbcnt_hi_u32_b32 v35, v2, v4
	v_cmp_ne_u64_e64 s[24:25], 0, v[1:2]
	v_cmp_eq_u32_e64 s[26:27], 0, v35
	s_and_b64 s[26:27], s[24:25], s[26:27]
	v_add_u32_e32 v36, v12, v5
	; wave barrier
	s_and_saveexec_b64 s[24:25], s[26:27]
	s_cbranch_execz .LBB71_6
; %bb.5:                                ;   in Loop: Header=BB71_2 Depth=1
	v_bcnt_u32_b32 v1, v1, 0
	v_bcnt_u32_b32 v1, v2, v1
	s_waitcnt lgkmcnt(0)
	v_add_u32_e32 v1, v34, v1
	ds_write_b32 v36, v1 offset:12
.LBB71_6:                               ;   in Loop: Header=BB71_2 Depth=1
	s_or_b64 exec, exec, s[24:25]
	v_and_b32_e32 v1, 0xff, v21
	v_mul_u32_u24_e32 v5, 12, v1
	v_mad_u32_u24 v1, v1, 12, v12
	; wave barrier
	ds_read_b32 v37, v1 offset:12
	v_and_b32_e32 v1, 1, v21
	v_add_co_u32_e64 v2, s[24:25], -1, v1
	v_addc_co_u32_e64 v4, s[24:25], 0, -1, s[24:25]
	v_cmp_ne_u32_e64 s[24:25], 0, v1
	v_xor_b32_e32 v1, s25, v4
	v_lshlrev_b32_e32 v4, 30, v21
	v_xor_b32_e32 v2, s24, v2
	v_cmp_gt_i64_e64 s[24:25], 0, v[3:4]
	v_not_b32_e32 v4, v4
	v_ashrrev_i32_e32 v4, 31, v4
	v_and_b32_e32 v2, exec_lo, v2
	v_xor_b32_e32 v38, s25, v4
	v_xor_b32_e32 v4, s24, v4
	v_and_b32_e32 v2, v2, v4
	v_lshlrev_b32_e32 v4, 29, v21
	v_cmp_gt_i64_e64 s[24:25], 0, v[3:4]
	v_not_b32_e32 v4, v4
	v_and_b32_e32 v1, exec_hi, v1
	v_ashrrev_i32_e32 v4, 31, v4
	v_and_b32_e32 v1, v1, v38
	v_xor_b32_e32 v38, s25, v4
	v_xor_b32_e32 v4, s24, v4
	v_and_b32_e32 v2, v2, v4
	v_lshlrev_b32_e32 v4, 28, v21
	v_cmp_gt_i64_e64 s[24:25], 0, v[3:4]
	v_not_b32_e32 v4, v4
	v_ashrrev_i32_e32 v4, 31, v4
	v_and_b32_e32 v1, v1, v38
	v_xor_b32_e32 v38, s25, v4
	v_xor_b32_e32 v4, s24, v4
	v_and_b32_e32 v2, v2, v4
	v_lshlrev_b32_e32 v4, 27, v21
	v_cmp_gt_i64_e64 s[24:25], 0, v[3:4]
	v_not_b32_e32 v4, v4
	;; [unrolled: 8-line block ×4, first 2 shown]
	v_ashrrev_i32_e32 v4, 31, v4
	v_and_b32_e32 v1, v1, v38
	v_xor_b32_e32 v38, s25, v4
	v_xor_b32_e32 v4, s24, v4
	v_and_b32_e32 v1, v1, v38
	v_and_b32_e32 v38, v2, v4
	v_lshlrev_b32_e32 v4, 24, v21
	v_cmp_gt_i64_e64 s[24:25], 0, v[3:4]
	v_not_b32_e32 v2, v4
	v_ashrrev_i32_e32 v2, 31, v2
	v_xor_b32_e32 v4, s25, v2
	v_xor_b32_e32 v39, s24, v2
	v_and_b32_e32 v2, v1, v4
	v_and_b32_e32 v1, v38, v39
	v_mbcnt_lo_u32_b32 v4, v1, 0
	v_mbcnt_hi_u32_b32 v38, v2, v4
	v_cmp_ne_u64_e64 s[24:25], 0, v[1:2]
	v_cmp_eq_u32_e64 s[26:27], 0, v38
	s_and_b64 s[26:27], s[24:25], s[26:27]
	v_add_u32_e32 v39, v12, v5
	; wave barrier
	s_and_saveexec_b64 s[24:25], s[26:27]
	s_cbranch_execz .LBB71_8
; %bb.7:                                ;   in Loop: Header=BB71_2 Depth=1
	v_bcnt_u32_b32 v1, v1, 0
	v_bcnt_u32_b32 v1, v2, v1
	s_waitcnt lgkmcnt(0)
	v_add_u32_e32 v1, v37, v1
	ds_write_b32 v39, v1 offset:12
.LBB71_8:                               ;   in Loop: Header=BB71_2 Depth=1
	s_or_b64 exec, exec, s[24:25]
	v_and_b32_e32 v1, 0xff, v20
	v_mul_u32_u24_e32 v5, 12, v1
	v_mad_u32_u24 v1, v1, 12, v12
	; wave barrier
	ds_read_b32 v40, v1 offset:12
	v_and_b32_e32 v1, 1, v20
	v_add_co_u32_e64 v2, s[24:25], -1, v1
	v_addc_co_u32_e64 v4, s[24:25], 0, -1, s[24:25]
	v_cmp_ne_u32_e64 s[24:25], 0, v1
	v_xor_b32_e32 v1, s25, v4
	v_lshlrev_b32_e32 v4, 30, v20
	v_xor_b32_e32 v2, s24, v2
	v_cmp_gt_i64_e64 s[24:25], 0, v[3:4]
	v_not_b32_e32 v4, v4
	v_ashrrev_i32_e32 v4, 31, v4
	v_and_b32_e32 v2, exec_lo, v2
	v_xor_b32_e32 v41, s25, v4
	v_xor_b32_e32 v4, s24, v4
	v_and_b32_e32 v2, v2, v4
	v_lshlrev_b32_e32 v4, 29, v20
	v_cmp_gt_i64_e64 s[24:25], 0, v[3:4]
	v_not_b32_e32 v4, v4
	v_and_b32_e32 v1, exec_hi, v1
	v_ashrrev_i32_e32 v4, 31, v4
	v_and_b32_e32 v1, v1, v41
	v_xor_b32_e32 v41, s25, v4
	v_xor_b32_e32 v4, s24, v4
	v_and_b32_e32 v2, v2, v4
	v_lshlrev_b32_e32 v4, 28, v20
	v_cmp_gt_i64_e64 s[24:25], 0, v[3:4]
	v_not_b32_e32 v4, v4
	v_ashrrev_i32_e32 v4, 31, v4
	v_and_b32_e32 v1, v1, v41
	v_xor_b32_e32 v41, s25, v4
	v_xor_b32_e32 v4, s24, v4
	v_and_b32_e32 v2, v2, v4
	v_lshlrev_b32_e32 v4, 27, v20
	v_cmp_gt_i64_e64 s[24:25], 0, v[3:4]
	v_not_b32_e32 v4, v4
	;; [unrolled: 8-line block ×4, first 2 shown]
	v_ashrrev_i32_e32 v4, 31, v4
	v_and_b32_e32 v1, v1, v41
	v_xor_b32_e32 v41, s25, v4
	v_xor_b32_e32 v4, s24, v4
	v_and_b32_e32 v1, v1, v41
	v_and_b32_e32 v41, v2, v4
	v_lshlrev_b32_e32 v4, 24, v20
	v_cmp_gt_i64_e64 s[24:25], 0, v[3:4]
	v_not_b32_e32 v2, v4
	v_ashrrev_i32_e32 v2, 31, v2
	v_xor_b32_e32 v4, s25, v2
	v_xor_b32_e32 v42, s24, v2
	v_and_b32_e32 v2, v1, v4
	v_and_b32_e32 v1, v41, v42
	v_mbcnt_lo_u32_b32 v4, v1, 0
	v_mbcnt_hi_u32_b32 v41, v2, v4
	v_cmp_ne_u64_e64 s[24:25], 0, v[1:2]
	v_cmp_eq_u32_e64 s[26:27], 0, v41
	s_and_b64 s[26:27], s[24:25], s[26:27]
	v_add_u32_e32 v42, v12, v5
	; wave barrier
	s_and_saveexec_b64 s[24:25], s[26:27]
	s_cbranch_execz .LBB71_10
; %bb.9:                                ;   in Loop: Header=BB71_2 Depth=1
	v_bcnt_u32_b32 v1, v1, 0
	v_bcnt_u32_b32 v1, v2, v1
	s_waitcnt lgkmcnt(0)
	v_add_u32_e32 v1, v40, v1
	ds_write_b32 v42, v1 offset:12
.LBB71_10:                              ;   in Loop: Header=BB71_2 Depth=1
	s_or_b64 exec, exec, s[24:25]
	v_and_b32_e32 v1, 0xff, v19
	v_mul_u32_u24_e32 v5, 12, v1
	v_mad_u32_u24 v1, v1, 12, v12
	; wave barrier
	ds_read_b32 v43, v1 offset:12
	v_and_b32_e32 v1, 1, v19
	v_add_co_u32_e64 v2, s[24:25], -1, v1
	v_addc_co_u32_e64 v4, s[24:25], 0, -1, s[24:25]
	v_cmp_ne_u32_e64 s[24:25], 0, v1
	v_xor_b32_e32 v1, s25, v4
	v_lshlrev_b32_e32 v4, 30, v19
	v_xor_b32_e32 v2, s24, v2
	v_cmp_gt_i64_e64 s[24:25], 0, v[3:4]
	v_not_b32_e32 v4, v4
	v_ashrrev_i32_e32 v4, 31, v4
	v_and_b32_e32 v2, exec_lo, v2
	v_xor_b32_e32 v44, s25, v4
	v_xor_b32_e32 v4, s24, v4
	v_and_b32_e32 v2, v2, v4
	v_lshlrev_b32_e32 v4, 29, v19
	v_cmp_gt_i64_e64 s[24:25], 0, v[3:4]
	v_not_b32_e32 v4, v4
	v_and_b32_e32 v1, exec_hi, v1
	v_ashrrev_i32_e32 v4, 31, v4
	v_and_b32_e32 v1, v1, v44
	v_xor_b32_e32 v44, s25, v4
	v_xor_b32_e32 v4, s24, v4
	v_and_b32_e32 v2, v2, v4
	v_lshlrev_b32_e32 v4, 28, v19
	v_cmp_gt_i64_e64 s[24:25], 0, v[3:4]
	v_not_b32_e32 v4, v4
	v_ashrrev_i32_e32 v4, 31, v4
	v_and_b32_e32 v1, v1, v44
	v_xor_b32_e32 v44, s25, v4
	v_xor_b32_e32 v4, s24, v4
	v_and_b32_e32 v2, v2, v4
	v_lshlrev_b32_e32 v4, 27, v19
	v_cmp_gt_i64_e64 s[24:25], 0, v[3:4]
	v_not_b32_e32 v4, v4
	;; [unrolled: 8-line block ×4, first 2 shown]
	v_ashrrev_i32_e32 v4, 31, v4
	v_and_b32_e32 v1, v1, v44
	v_xor_b32_e32 v44, s25, v4
	v_xor_b32_e32 v4, s24, v4
	v_and_b32_e32 v1, v1, v44
	v_and_b32_e32 v44, v2, v4
	v_lshlrev_b32_e32 v4, 24, v19
	v_cmp_gt_i64_e64 s[24:25], 0, v[3:4]
	v_not_b32_e32 v2, v4
	v_ashrrev_i32_e32 v2, 31, v2
	v_xor_b32_e32 v4, s25, v2
	v_xor_b32_e32 v45, s24, v2
	v_and_b32_e32 v2, v1, v4
	v_and_b32_e32 v1, v44, v45
	v_mbcnt_lo_u32_b32 v4, v1, 0
	v_mbcnt_hi_u32_b32 v44, v2, v4
	v_cmp_ne_u64_e64 s[24:25], 0, v[1:2]
	v_cmp_eq_u32_e64 s[26:27], 0, v44
	s_and_b64 s[26:27], s[24:25], s[26:27]
	v_add_u32_e32 v45, v12, v5
	; wave barrier
	s_and_saveexec_b64 s[24:25], s[26:27]
	s_cbranch_execz .LBB71_12
; %bb.11:                               ;   in Loop: Header=BB71_2 Depth=1
	v_bcnt_u32_b32 v1, v1, 0
	v_bcnt_u32_b32 v1, v2, v1
	s_waitcnt lgkmcnt(0)
	v_add_u32_e32 v1, v43, v1
	ds_write_b32 v45, v1 offset:12
.LBB71_12:                              ;   in Loop: Header=BB71_2 Depth=1
	s_or_b64 exec, exec, s[24:25]
	v_and_b32_e32 v1, 0xff, v18
	v_mul_u32_u24_e32 v5, 12, v1
	v_mad_u32_u24 v1, v1, 12, v12
	; wave barrier
	ds_read_b32 v46, v1 offset:12
	v_and_b32_e32 v1, 1, v18
	v_add_co_u32_e64 v2, s[24:25], -1, v1
	v_addc_co_u32_e64 v4, s[24:25], 0, -1, s[24:25]
	v_cmp_ne_u32_e64 s[24:25], 0, v1
	v_xor_b32_e32 v1, s25, v4
	v_lshlrev_b32_e32 v4, 30, v18
	v_xor_b32_e32 v2, s24, v2
	v_cmp_gt_i64_e64 s[24:25], 0, v[3:4]
	v_not_b32_e32 v4, v4
	v_ashrrev_i32_e32 v4, 31, v4
	v_and_b32_e32 v2, exec_lo, v2
	v_xor_b32_e32 v47, s25, v4
	v_xor_b32_e32 v4, s24, v4
	v_and_b32_e32 v2, v2, v4
	v_lshlrev_b32_e32 v4, 29, v18
	v_cmp_gt_i64_e64 s[24:25], 0, v[3:4]
	v_not_b32_e32 v4, v4
	v_and_b32_e32 v1, exec_hi, v1
	v_ashrrev_i32_e32 v4, 31, v4
	v_and_b32_e32 v1, v1, v47
	v_xor_b32_e32 v47, s25, v4
	v_xor_b32_e32 v4, s24, v4
	v_and_b32_e32 v2, v2, v4
	v_lshlrev_b32_e32 v4, 28, v18
	v_cmp_gt_i64_e64 s[24:25], 0, v[3:4]
	v_not_b32_e32 v4, v4
	v_ashrrev_i32_e32 v4, 31, v4
	v_and_b32_e32 v1, v1, v47
	v_xor_b32_e32 v47, s25, v4
	v_xor_b32_e32 v4, s24, v4
	v_and_b32_e32 v2, v2, v4
	v_lshlrev_b32_e32 v4, 27, v18
	v_cmp_gt_i64_e64 s[24:25], 0, v[3:4]
	v_not_b32_e32 v4, v4
	;; [unrolled: 8-line block ×4, first 2 shown]
	v_ashrrev_i32_e32 v4, 31, v4
	v_and_b32_e32 v1, v1, v47
	v_xor_b32_e32 v47, s25, v4
	v_xor_b32_e32 v4, s24, v4
	v_and_b32_e32 v1, v1, v47
	v_and_b32_e32 v47, v2, v4
	v_lshlrev_b32_e32 v4, 24, v18
	v_cmp_gt_i64_e64 s[24:25], 0, v[3:4]
	v_not_b32_e32 v2, v4
	v_ashrrev_i32_e32 v2, 31, v2
	v_xor_b32_e32 v4, s25, v2
	v_xor_b32_e32 v48, s24, v2
	v_and_b32_e32 v2, v1, v4
	v_and_b32_e32 v1, v47, v48
	v_mbcnt_lo_u32_b32 v4, v1, 0
	v_mbcnt_hi_u32_b32 v47, v2, v4
	v_cmp_ne_u64_e64 s[24:25], 0, v[1:2]
	v_cmp_eq_u32_e64 s[26:27], 0, v47
	s_and_b64 s[26:27], s[24:25], s[26:27]
	v_add_u32_e32 v48, v12, v5
	; wave barrier
	s_and_saveexec_b64 s[24:25], s[26:27]
	s_cbranch_execz .LBB71_14
; %bb.13:                               ;   in Loop: Header=BB71_2 Depth=1
	v_bcnt_u32_b32 v1, v1, 0
	v_bcnt_u32_b32 v1, v2, v1
	s_waitcnt lgkmcnt(0)
	v_add_u32_e32 v1, v46, v1
	ds_write_b32 v48, v1 offset:12
.LBB71_14:                              ;   in Loop: Header=BB71_2 Depth=1
	s_or_b64 exec, exec, s[24:25]
	v_and_b32_e32 v1, 0xff, v17
	v_mul_u32_u24_e32 v5, 12, v1
	v_mad_u32_u24 v1, v1, 12, v12
	; wave barrier
	ds_read_b32 v49, v1 offset:12
	v_and_b32_e32 v1, 1, v17
	v_add_co_u32_e64 v2, s[24:25], -1, v1
	v_addc_co_u32_e64 v4, s[24:25], 0, -1, s[24:25]
	v_cmp_ne_u32_e64 s[24:25], 0, v1
	v_xor_b32_e32 v1, s25, v4
	v_lshlrev_b32_e32 v4, 30, v17
	v_xor_b32_e32 v2, s24, v2
	v_cmp_gt_i64_e64 s[24:25], 0, v[3:4]
	v_not_b32_e32 v4, v4
	v_ashrrev_i32_e32 v4, 31, v4
	v_and_b32_e32 v2, exec_lo, v2
	v_xor_b32_e32 v50, s25, v4
	v_xor_b32_e32 v4, s24, v4
	v_and_b32_e32 v2, v2, v4
	v_lshlrev_b32_e32 v4, 29, v17
	v_cmp_gt_i64_e64 s[24:25], 0, v[3:4]
	v_not_b32_e32 v4, v4
	v_and_b32_e32 v1, exec_hi, v1
	v_ashrrev_i32_e32 v4, 31, v4
	v_and_b32_e32 v1, v1, v50
	v_xor_b32_e32 v50, s25, v4
	v_xor_b32_e32 v4, s24, v4
	v_and_b32_e32 v2, v2, v4
	v_lshlrev_b32_e32 v4, 28, v17
	v_cmp_gt_i64_e64 s[24:25], 0, v[3:4]
	v_not_b32_e32 v4, v4
	v_ashrrev_i32_e32 v4, 31, v4
	v_and_b32_e32 v1, v1, v50
	v_xor_b32_e32 v50, s25, v4
	v_xor_b32_e32 v4, s24, v4
	v_and_b32_e32 v2, v2, v4
	v_lshlrev_b32_e32 v4, 27, v17
	v_cmp_gt_i64_e64 s[24:25], 0, v[3:4]
	v_not_b32_e32 v4, v4
	;; [unrolled: 8-line block ×4, first 2 shown]
	v_ashrrev_i32_e32 v4, 31, v4
	v_and_b32_e32 v1, v1, v50
	v_xor_b32_e32 v50, s25, v4
	v_xor_b32_e32 v4, s24, v4
	v_and_b32_e32 v1, v1, v50
	v_and_b32_e32 v50, v2, v4
	v_lshlrev_b32_e32 v4, 24, v17
	v_cmp_gt_i64_e64 s[24:25], 0, v[3:4]
	v_not_b32_e32 v2, v4
	v_ashrrev_i32_e32 v2, 31, v2
	v_xor_b32_e32 v4, s25, v2
	v_xor_b32_e32 v51, s24, v2
	v_and_b32_e32 v2, v1, v4
	v_and_b32_e32 v1, v50, v51
	v_mbcnt_lo_u32_b32 v4, v1, 0
	v_mbcnt_hi_u32_b32 v50, v2, v4
	v_cmp_ne_u64_e64 s[24:25], 0, v[1:2]
	v_cmp_eq_u32_e64 s[26:27], 0, v50
	s_and_b64 s[26:27], s[24:25], s[26:27]
	v_add_u32_e32 v52, v12, v5
	; wave barrier
	s_and_saveexec_b64 s[24:25], s[26:27]
	s_cbranch_execz .LBB71_16
; %bb.15:                               ;   in Loop: Header=BB71_2 Depth=1
	v_bcnt_u32_b32 v1, v1, 0
	v_bcnt_u32_b32 v1, v2, v1
	s_waitcnt lgkmcnt(0)
	v_add_u32_e32 v1, v49, v1
	ds_write_b32 v52, v1 offset:12
.LBB71_16:                              ;   in Loop: Header=BB71_2 Depth=1
	s_or_b64 exec, exec, s[24:25]
	v_and_b32_e32 v1, 0xff, v16
	v_mul_u32_u24_e32 v5, 12, v1
	v_mad_u32_u24 v1, v1, 12, v12
	; wave barrier
	ds_read_b32 v51, v1 offset:12
	v_and_b32_e32 v1, 1, v16
	v_add_co_u32_e64 v2, s[24:25], -1, v1
	v_addc_co_u32_e64 v4, s[24:25], 0, -1, s[24:25]
	v_cmp_ne_u32_e64 s[24:25], 0, v1
	v_xor_b32_e32 v1, s25, v4
	v_lshlrev_b32_e32 v4, 30, v16
	v_xor_b32_e32 v2, s24, v2
	v_cmp_gt_i64_e64 s[24:25], 0, v[3:4]
	v_not_b32_e32 v4, v4
	v_ashrrev_i32_e32 v4, 31, v4
	v_and_b32_e32 v2, exec_lo, v2
	v_xor_b32_e32 v53, s25, v4
	v_xor_b32_e32 v4, s24, v4
	v_and_b32_e32 v2, v2, v4
	v_lshlrev_b32_e32 v4, 29, v16
	v_cmp_gt_i64_e64 s[24:25], 0, v[3:4]
	v_not_b32_e32 v4, v4
	v_and_b32_e32 v1, exec_hi, v1
	v_ashrrev_i32_e32 v4, 31, v4
	v_and_b32_e32 v1, v1, v53
	v_xor_b32_e32 v53, s25, v4
	v_xor_b32_e32 v4, s24, v4
	v_and_b32_e32 v2, v2, v4
	v_lshlrev_b32_e32 v4, 28, v16
	v_cmp_gt_i64_e64 s[24:25], 0, v[3:4]
	v_not_b32_e32 v4, v4
	v_ashrrev_i32_e32 v4, 31, v4
	v_and_b32_e32 v1, v1, v53
	v_xor_b32_e32 v53, s25, v4
	v_xor_b32_e32 v4, s24, v4
	v_and_b32_e32 v2, v2, v4
	v_lshlrev_b32_e32 v4, 27, v16
	v_cmp_gt_i64_e64 s[24:25], 0, v[3:4]
	v_not_b32_e32 v4, v4
	;; [unrolled: 8-line block ×4, first 2 shown]
	v_ashrrev_i32_e32 v4, 31, v4
	v_and_b32_e32 v1, v1, v53
	v_xor_b32_e32 v53, s25, v4
	v_xor_b32_e32 v4, s24, v4
	v_and_b32_e32 v1, v1, v53
	v_and_b32_e32 v53, v2, v4
	v_lshlrev_b32_e32 v4, 24, v16
	v_cmp_gt_i64_e64 s[24:25], 0, v[3:4]
	v_not_b32_e32 v2, v4
	v_ashrrev_i32_e32 v2, 31, v2
	v_xor_b32_e32 v4, s25, v2
	v_xor_b32_e32 v54, s24, v2
	v_and_b32_e32 v2, v1, v4
	v_and_b32_e32 v1, v53, v54
	v_mbcnt_lo_u32_b32 v4, v1, 0
	v_mbcnt_hi_u32_b32 v53, v2, v4
	v_cmp_ne_u64_e64 s[24:25], 0, v[1:2]
	v_cmp_eq_u32_e64 s[26:27], 0, v53
	s_and_b64 s[26:27], s[24:25], s[26:27]
	v_add_u32_e32 v54, v12, v5
	; wave barrier
	s_and_saveexec_b64 s[24:25], s[26:27]
	s_cbranch_execz .LBB71_18
; %bb.17:                               ;   in Loop: Header=BB71_2 Depth=1
	v_bcnt_u32_b32 v1, v1, 0
	v_bcnt_u32_b32 v1, v2, v1
	s_waitcnt lgkmcnt(0)
	v_add_u32_e32 v1, v51, v1
	ds_write_b32 v54, v1 offset:12
.LBB71_18:                              ;   in Loop: Header=BB71_2 Depth=1
	s_or_b64 exec, exec, s[24:25]
	; wave barrier
	s_waitcnt lgkmcnt(0)
	s_barrier
	ds_read2_b32 v[4:5], v6 offset0:3 offset1:4
	ds_read2_b32 v[1:2], v6 offset0:5 offset1:6
	s_waitcnt lgkmcnt(1)
	v_add_u32_e32 v55, v5, v4
	s_waitcnt lgkmcnt(0)
	v_add3_u32 v2, v55, v1, v2
	s_nop 1
	v_mov_b32_dpp v55, v2 row_shr:1 row_mask:0xf bank_mask:0xf
	v_cndmask_b32_e64 v55, v55, 0, s[8:9]
	v_add_u32_e32 v2, v55, v2
	s_nop 1
	v_mov_b32_dpp v55, v2 row_shr:2 row_mask:0xf bank_mask:0xf
	v_cndmask_b32_e64 v55, 0, v55, s[10:11]
	v_add_u32_e32 v2, v2, v55
	s_nop 1
	v_mov_b32_dpp v55, v2 row_shr:4 row_mask:0xf bank_mask:0xf
	v_cndmask_b32_e64 v55, 0, v55, s[12:13]
	v_add_u32_e32 v2, v2, v55
	s_nop 1
	v_mov_b32_dpp v55, v2 row_shr:8 row_mask:0xf bank_mask:0xf
	v_cndmask_b32_e64 v55, 0, v55, s[14:15]
	v_add_u32_e32 v2, v2, v55
	s_nop 1
	v_mov_b32_dpp v55, v2 row_bcast:15 row_mask:0xf bank_mask:0xf
	v_cndmask_b32_e64 v55, v55, 0, s[16:17]
	v_add_u32_e32 v2, v2, v55
	s_nop 1
	v_mov_b32_dpp v55, v2 row_bcast:31 row_mask:0xf bank_mask:0xf
	v_cndmask_b32_e64 v55, 0, v55, s[6:7]
	v_add_u32_e32 v2, v2, v55
	s_and_saveexec_b64 s[24:25], s[22:23]
; %bb.19:                               ;   in Loop: Header=BB71_2 Depth=1
	ds_write_b32 v9, v2
; %bb.20:                               ;   in Loop: Header=BB71_2 Depth=1
	s_or_b64 exec, exec, s[24:25]
	s_waitcnt lgkmcnt(0)
	s_barrier
	s_and_saveexec_b64 s[24:25], vcc
	s_cbranch_execz .LBB71_22
; %bb.21:                               ;   in Loop: Header=BB71_2 Depth=1
	ds_read_b32 v55, v14
	s_waitcnt lgkmcnt(0)
	s_nop 0
	v_mov_b32_dpp v56, v55 row_shr:1 row_mask:0xf bank_mask:0xf
	v_cndmask_b32_e64 v56, v56, 0, s[18:19]
	v_add_u32_e32 v55, v56, v55
	s_nop 1
	v_mov_b32_dpp v56, v55 row_shr:2 row_mask:0xf bank_mask:0xf
	v_cndmask_b32_e64 v56, 0, v56, s[20:21]
	v_add_u32_e32 v55, v55, v56
	ds_write_b32 v14, v55
.LBB71_22:                              ;   in Loop: Header=BB71_2 Depth=1
	s_or_b64 exec, exec, s[24:25]
	v_mov_b32_e32 v55, 0
	s_waitcnt lgkmcnt(0)
	s_barrier
	s_and_saveexec_b64 s[24:25], s[0:1]
	s_cbranch_execz .LBB71_1
; %bb.23:                               ;   in Loop: Header=BB71_2 Depth=1
	ds_read_b32 v55, v10
	s_branch .LBB71_1
.LBB71_24:
	v_lshrrev_b32_e32 v6, 8, v4
	s_waitcnt lgkmcnt(0)
	v_lshrrev_b32_e32 v7, 8, v1
	s_add_u32 s0, s30, s33
	v_add_u16_e32 v3, v4, v1
	v_add_u16_e32 v6, v6, v7
	v_add_u16_sdwa v7, v4, v1 dst_sel:DWORD dst_unused:UNUSED_PAD src0_sel:WORD_1 src1_sel:WORD_1
	v_add_u16_sdwa v4, v4, v1 dst_sel:DWORD dst_unused:UNUSED_PAD src0_sel:BYTE_3 src1_sel:BYTE_3
	v_lshrrev_b32_e32 v1, 8, v5
	v_lshrrev_b32_e32 v9, 8, v2
	s_addc_u32 s1, s31, 0
	v_add_u16_e32 v9, v1, v9
	v_mov_b32_e32 v1, s1
	v_add_co_u32_e32 v0, vcc, s0, v0
	v_addc_co_u32_e32 v1, vcc, 0, v1, vcc
	v_add_u16_e32 v8, v5, v2
	v_add_u16_sdwa v10, v5, v2 dst_sel:DWORD dst_unused:UNUSED_PAD src0_sel:WORD_1 src1_sel:WORD_1
	v_add_u16_sdwa v2, v5, v2 dst_sel:DWORD dst_unused:UNUSED_PAD src0_sel:BYTE_3 src1_sel:BYTE_3
	global_store_byte v[0:1], v3, off
	global_store_byte v[0:1], v6, off offset:192
	global_store_byte v[0:1], v7, off offset:384
	;; [unrolled: 1-line block ×7, first 2 shown]
	s_endpgm
	.section	.rodata,"a",@progbits
	.p2align	6, 0x0
	.amdhsa_kernel _Z17sort_pairs_kernelI22helper_blocked_blockedaLj192ELj8ELj10EEvPKT0_PS1_
		.amdhsa_group_segment_fixed_size 3088
		.amdhsa_private_segment_fixed_size 0
		.amdhsa_kernarg_size 272
		.amdhsa_user_sgpr_count 6
		.amdhsa_user_sgpr_private_segment_buffer 1
		.amdhsa_user_sgpr_dispatch_ptr 0
		.amdhsa_user_sgpr_queue_ptr 0
		.amdhsa_user_sgpr_kernarg_segment_ptr 1
		.amdhsa_user_sgpr_dispatch_id 0
		.amdhsa_user_sgpr_flat_scratch_init 0
		.amdhsa_user_sgpr_private_segment_size 0
		.amdhsa_uses_dynamic_stack 0
		.amdhsa_system_sgpr_private_segment_wavefront_offset 0
		.amdhsa_system_sgpr_workgroup_id_x 1
		.amdhsa_system_sgpr_workgroup_id_y 0
		.amdhsa_system_sgpr_workgroup_id_z 0
		.amdhsa_system_sgpr_workgroup_info 0
		.amdhsa_system_vgpr_workitem_id 2
		.amdhsa_next_free_vgpr 57
		.amdhsa_next_free_sgpr 36
		.amdhsa_reserve_vcc 1
		.amdhsa_reserve_flat_scratch 0
		.amdhsa_float_round_mode_32 0
		.amdhsa_float_round_mode_16_64 0
		.amdhsa_float_denorm_mode_32 3
		.amdhsa_float_denorm_mode_16_64 3
		.amdhsa_dx10_clamp 1
		.amdhsa_ieee_mode 1
		.amdhsa_fp16_overflow 0
		.amdhsa_exception_fp_ieee_invalid_op 0
		.amdhsa_exception_fp_denorm_src 0
		.amdhsa_exception_fp_ieee_div_zero 0
		.amdhsa_exception_fp_ieee_overflow 0
		.amdhsa_exception_fp_ieee_underflow 0
		.amdhsa_exception_fp_ieee_inexact 0
		.amdhsa_exception_int_div_zero 0
	.end_amdhsa_kernel
	.section	.text._Z17sort_pairs_kernelI22helper_blocked_blockedaLj192ELj8ELj10EEvPKT0_PS1_,"axG",@progbits,_Z17sort_pairs_kernelI22helper_blocked_blockedaLj192ELj8ELj10EEvPKT0_PS1_,comdat
.Lfunc_end71:
	.size	_Z17sort_pairs_kernelI22helper_blocked_blockedaLj192ELj8ELj10EEvPKT0_PS1_, .Lfunc_end71-_Z17sort_pairs_kernelI22helper_blocked_blockedaLj192ELj8ELj10EEvPKT0_PS1_
                                        ; -- End function
	.set _Z17sort_pairs_kernelI22helper_blocked_blockedaLj192ELj8ELj10EEvPKT0_PS1_.num_vgpr, 57
	.set _Z17sort_pairs_kernelI22helper_blocked_blockedaLj192ELj8ELj10EEvPKT0_PS1_.num_agpr, 0
	.set _Z17sort_pairs_kernelI22helper_blocked_blockedaLj192ELj8ELj10EEvPKT0_PS1_.numbered_sgpr, 36
	.set _Z17sort_pairs_kernelI22helper_blocked_blockedaLj192ELj8ELj10EEvPKT0_PS1_.num_named_barrier, 0
	.set _Z17sort_pairs_kernelI22helper_blocked_blockedaLj192ELj8ELj10EEvPKT0_PS1_.private_seg_size, 0
	.set _Z17sort_pairs_kernelI22helper_blocked_blockedaLj192ELj8ELj10EEvPKT0_PS1_.uses_vcc, 1
	.set _Z17sort_pairs_kernelI22helper_blocked_blockedaLj192ELj8ELj10EEvPKT0_PS1_.uses_flat_scratch, 0
	.set _Z17sort_pairs_kernelI22helper_blocked_blockedaLj192ELj8ELj10EEvPKT0_PS1_.has_dyn_sized_stack, 0
	.set _Z17sort_pairs_kernelI22helper_blocked_blockedaLj192ELj8ELj10EEvPKT0_PS1_.has_recursion, 0
	.set _Z17sort_pairs_kernelI22helper_blocked_blockedaLj192ELj8ELj10EEvPKT0_PS1_.has_indirect_call, 0
	.section	.AMDGPU.csdata,"",@progbits
; Kernel info:
; codeLenInByte = 5144
; TotalNumSgprs: 40
; NumVgprs: 57
; ScratchSize: 0
; MemoryBound: 0
; FloatMode: 240
; IeeeMode: 1
; LDSByteSize: 3088 bytes/workgroup (compile time only)
; SGPRBlocks: 4
; VGPRBlocks: 14
; NumSGPRsForWavesPerEU: 40
; NumVGPRsForWavesPerEU: 57
; Occupancy: 4
; WaveLimiterHint : 1
; COMPUTE_PGM_RSRC2:SCRATCH_EN: 0
; COMPUTE_PGM_RSRC2:USER_SGPR: 6
; COMPUTE_PGM_RSRC2:TRAP_HANDLER: 0
; COMPUTE_PGM_RSRC2:TGID_X_EN: 1
; COMPUTE_PGM_RSRC2:TGID_Y_EN: 0
; COMPUTE_PGM_RSRC2:TGID_Z_EN: 0
; COMPUTE_PGM_RSRC2:TIDIG_COMP_CNT: 2
	.section	.text._Z16sort_keys_kernelI22helper_blocked_blockedaLj256ELj1ELj10EEvPKT0_PS1_,"axG",@progbits,_Z16sort_keys_kernelI22helper_blocked_blockedaLj256ELj1ELj10EEvPKT0_PS1_,comdat
	.protected	_Z16sort_keys_kernelI22helper_blocked_blockedaLj256ELj1ELj10EEvPKT0_PS1_ ; -- Begin function _Z16sort_keys_kernelI22helper_blocked_blockedaLj256ELj1ELj10EEvPKT0_PS1_
	.globl	_Z16sort_keys_kernelI22helper_blocked_blockedaLj256ELj1ELj10EEvPKT0_PS1_
	.p2align	8
	.type	_Z16sort_keys_kernelI22helper_blocked_blockedaLj256ELj1ELj10EEvPKT0_PS1_,@function
_Z16sort_keys_kernelI22helper_blocked_blockedaLj256ELj1ELj10EEvPKT0_PS1_: ; @_Z16sort_keys_kernelI22helper_blocked_blockedaLj256ELj1ELj10EEvPKT0_PS1_
; %bb.0:
	s_load_dwordx4 s[28:31], s[4:5], 0x0
	s_load_dword s22, s[4:5], 0x1c
	s_lshl_b32 s33, s6, 8
	v_mbcnt_lo_u32_b32 v4, -1, 0
	v_mbcnt_hi_u32_b32 v4, -1, v4
	s_waitcnt lgkmcnt(0)
	s_add_u32 s0, s28, s33
	s_addc_u32 s1, s29, 0
	global_load_ubyte v3, v0, s[0:1]
	s_lshr_b32 s23, s22, 16
	s_and_b32 s22, s22, 0xffff
	v_mad_u32_u24 v1, v2, s23, v1
	v_mad_u64_u32 v[1:2], s[22:23], v1, s22, v[0:1]
	v_or_b32_e32 v6, 63, v0
	s_mov_b32 s10, 0
	v_cmp_eq_u32_e64 s[6:7], v0, v6
	v_subrev_co_u32_e64 v6, s[8:9], 1, v4
	v_and_b32_e32 v16, 64, v4
	v_lshrrev_b32_e32 v7, 4, v0
	s_mov_b32 s12, s10
	v_cmp_lt_i32_e64 s[20:21], v6, v16
	v_mul_u32_u24_e32 v13, 3, v0
	s_mov_b32 s11, s10
	s_mov_b32 s13, s10
	v_and_b32_e32 v14, 15, v4
	v_and_b32_e32 v15, 16, v4
	v_cmp_lt_u32_e64 s[4:5], 31, v4
	v_and_b32_e32 v12, 12, v7
	v_and_b32_e32 v17, 3, v4
	v_mov_b32_e32 v7, s10
	v_mov_b32_e32 v9, s12
	v_cndmask_b32_e64 v4, v6, v4, s[20:21]
	v_lshrrev_b32_e32 v1, 4, v1
	v_mov_b32_e32 v5, 0
	s_mov_b32 s28, 10
	v_lshlrev_b32_e32 v11, 4, v0
	v_cmp_gt_u32_e32 vcc, 4, v0
	v_cmp_lt_u32_e64 s[0:1], 63, v0
	v_cmp_eq_u32_e64 s[2:3], 0, v0
	v_mov_b32_e32 v8, s11
	v_mov_b32_e32 v10, s13
	v_add_u32_e32 v13, v0, v13
	v_cmp_eq_u32_e64 s[10:11], 0, v14
	v_cmp_lt_u32_e64 s[12:13], 1, v14
	v_cmp_lt_u32_e64 s[14:15], 3, v14
	;; [unrolled: 1-line block ×3, first 2 shown]
	v_cmp_eq_u32_e64 s[18:19], 0, v15
	v_cmp_eq_u32_e64 s[20:21], 0, v17
	v_cmp_lt_u32_e64 s[22:23], 1, v17
	v_add_u32_e32 v14, -4, v12
	v_lshlrev_b32_e32 v15, 2, v4
	v_and_b32_e32 v16, 0xffffffc, v1
	v_mov_b32_e32 v17, 4
	s_waitcnt vmcnt(0)
	v_xor_b32_e32 v18, 0xffffff80, v3
	s_branch .LBB72_2
.LBB72_1:                               ;   in Loop: Header=BB72_2 Depth=1
	s_or_b64 exec, exec, s[24:25]
	s_waitcnt lgkmcnt(0)
	v_add_u32_e32 v4, v20, v4
	ds_bpermute_b32 v4, v15, v4
	s_add_i32 s28, s28, -1
	s_cmp_eq_u32 s28, 0
	s_waitcnt lgkmcnt(0)
	v_cndmask_b32_e64 v4, v4, v20, s[8:9]
	v_cndmask_b32_e64 v20, v4, 0, s[2:3]
	v_add_u32_e32 v21, v20, v1
	v_add_u32_e32 v1, v21, v2
	;; [unrolled: 1-line block ×3, first 2 shown]
	ds_write2_b64 v11, v[20:21], v[1:2] offset0:2 offset1:3
	s_waitcnt lgkmcnt(0)
	s_barrier
	ds_read_b32 v1, v19 offset:16
	s_waitcnt lgkmcnt(0)
	s_barrier
	v_add_u32_e32 v1, v1, v6
	ds_write_b8 v1, v18
	s_waitcnt lgkmcnt(0)
	s_barrier
	ds_read_u8 v18, v0
	s_cbranch_scc1 .LBB72_10
.LBB72_2:                               ; =>This Inner Loop Header: Depth=1
	s_waitcnt lgkmcnt(0)
	v_and_b32_e32 v1, 1, v18
	v_add_co_u32_e64 v2, s[24:25], -1, v1
	v_addc_co_u32_e64 v4, s[24:25], 0, -1, s[24:25]
	v_cmp_ne_u32_e64 s[24:25], 0, v1
	v_lshlrev_b32_e32 v6, 30, v18
	v_xor_b32_e32 v1, s25, v4
	v_xor_b32_e32 v2, s24, v2
	v_cmp_gt_i64_e64 s[24:25], 0, v[5:6]
	v_not_b32_e32 v4, v6
	v_ashrrev_i32_e32 v4, 31, v4
	v_and_b32_e32 v1, exec_hi, v1
	v_xor_b32_e32 v6, s25, v4
	v_and_b32_e32 v2, exec_lo, v2
	v_xor_b32_e32 v4, s24, v4
	v_and_b32_e32 v1, v1, v6
	v_lshlrev_b32_e32 v6, 29, v18
	v_and_b32_e32 v2, v2, v4
	v_cmp_gt_i64_e64 s[24:25], 0, v[5:6]
	v_not_b32_e32 v4, v6
	v_ashrrev_i32_e32 v4, 31, v4
	v_xor_b32_e32 v6, s25, v4
	v_xor_b32_e32 v4, s24, v4
	v_and_b32_e32 v1, v1, v6
	v_lshlrev_b32_e32 v6, 28, v18
	v_and_b32_e32 v2, v2, v4
	v_cmp_gt_i64_e64 s[24:25], 0, v[5:6]
	v_not_b32_e32 v4, v6
	v_ashrrev_i32_e32 v4, 31, v4
	v_xor_b32_e32 v6, s25, v4
	;; [unrolled: 8-line block ×6, first 2 shown]
	v_xor_b32_e32 v19, s24, v2
	v_and_b32_e32 v2, v1, v6
	v_and_b32_e32 v1, v4, v19
	v_mbcnt_lo_u32_b32 v4, v1, 0
	v_mbcnt_hi_u32_b32 v6, v2, v4
	v_cmp_ne_u64_e64 s[24:25], 0, v[1:2]
	v_lshlrev_b32_sdwa v3, v17, v18 dst_sel:DWORD dst_unused:UNUSED_PAD src0_sel:DWORD src1_sel:BYTE_0
	v_cmp_eq_u32_e64 s[26:27], 0, v6
	s_and_b64 s[26:27], s[24:25], s[26:27]
	v_add_u32_e32 v19, v16, v3
	ds_write2_b64 v11, v[7:8], v[9:10] offset0:2 offset1:3
	s_waitcnt lgkmcnt(0)
	s_barrier
	; wave barrier
	s_and_saveexec_b64 s[24:25], s[26:27]
; %bb.3:                                ;   in Loop: Header=BB72_2 Depth=1
	v_bcnt_u32_b32 v1, v1, 0
	v_bcnt_u32_b32 v1, v2, v1
	ds_write_b32 v19, v1 offset:16
; %bb.4:                                ;   in Loop: Header=BB72_2 Depth=1
	s_or_b64 exec, exec, s[24:25]
	; wave barrier
	s_waitcnt lgkmcnt(0)
	s_barrier
	ds_read2_b64 v[1:4], v11 offset0:2 offset1:3
	s_waitcnt lgkmcnt(0)
	v_add_u32_e32 v20, v2, v1
	v_add3_u32 v4, v20, v3, v4
	s_nop 1
	v_mov_b32_dpp v20, v4 row_shr:1 row_mask:0xf bank_mask:0xf
	v_cndmask_b32_e64 v20, v20, 0, s[10:11]
	v_add_u32_e32 v4, v20, v4
	s_nop 1
	v_mov_b32_dpp v20, v4 row_shr:2 row_mask:0xf bank_mask:0xf
	v_cndmask_b32_e64 v20, 0, v20, s[12:13]
	v_add_u32_e32 v4, v4, v20
	;; [unrolled: 4-line block ×4, first 2 shown]
	s_nop 1
	v_mov_b32_dpp v20, v4 row_bcast:15 row_mask:0xf bank_mask:0xf
	v_cndmask_b32_e64 v20, v20, 0, s[18:19]
	v_add_u32_e32 v4, v4, v20
	s_nop 1
	v_mov_b32_dpp v20, v4 row_bcast:31 row_mask:0xf bank_mask:0xf
	v_cndmask_b32_e64 v20, 0, v20, s[4:5]
	v_add_u32_e32 v4, v4, v20
	s_and_saveexec_b64 s[24:25], s[6:7]
; %bb.5:                                ;   in Loop: Header=BB72_2 Depth=1
	ds_write_b32 v12, v4
; %bb.6:                                ;   in Loop: Header=BB72_2 Depth=1
	s_or_b64 exec, exec, s[24:25]
	s_waitcnt lgkmcnt(0)
	s_barrier
	s_and_saveexec_b64 s[24:25], vcc
	s_cbranch_execz .LBB72_8
; %bb.7:                                ;   in Loop: Header=BB72_2 Depth=1
	ds_read_b32 v20, v13
	s_waitcnt lgkmcnt(0)
	s_nop 0
	v_mov_b32_dpp v21, v20 row_shr:1 row_mask:0xf bank_mask:0xf
	v_cndmask_b32_e64 v21, v21, 0, s[20:21]
	v_add_u32_e32 v20, v21, v20
	s_nop 1
	v_mov_b32_dpp v21, v20 row_shr:2 row_mask:0xf bank_mask:0xf
	v_cndmask_b32_e64 v21, 0, v21, s[22:23]
	v_add_u32_e32 v20, v20, v21
	ds_write_b32 v13, v20
.LBB72_8:                               ;   in Loop: Header=BB72_2 Depth=1
	s_or_b64 exec, exec, s[24:25]
	v_mov_b32_e32 v20, 0
	s_waitcnt lgkmcnt(0)
	s_barrier
	s_and_saveexec_b64 s[24:25], s[0:1]
	s_cbranch_execz .LBB72_1
; %bb.9:                                ;   in Loop: Header=BB72_2 Depth=1
	ds_read_b32 v20, v14
	s_branch .LBB72_1
.LBB72_10:
	s_add_u32 s0, s30, s33
	s_addc_u32 s1, s31, 0
	v_mov_b32_e32 v1, s1
	v_add_co_u32_e32 v0, vcc, s0, v0
	s_waitcnt lgkmcnt(0)
	v_xor_b32_e32 v2, 0x80, v18
	v_addc_co_u32_e32 v1, vcc, 0, v1, vcc
	global_store_byte v[0:1], v2, off
	s_endpgm
	.section	.rodata,"a",@progbits
	.p2align	6, 0x0
	.amdhsa_kernel _Z16sort_keys_kernelI22helper_blocked_blockedaLj256ELj1ELj10EEvPKT0_PS1_
		.amdhsa_group_segment_fixed_size 4112
		.amdhsa_private_segment_fixed_size 0
		.amdhsa_kernarg_size 272
		.amdhsa_user_sgpr_count 6
		.amdhsa_user_sgpr_private_segment_buffer 1
		.amdhsa_user_sgpr_dispatch_ptr 0
		.amdhsa_user_sgpr_queue_ptr 0
		.amdhsa_user_sgpr_kernarg_segment_ptr 1
		.amdhsa_user_sgpr_dispatch_id 0
		.amdhsa_user_sgpr_flat_scratch_init 0
		.amdhsa_user_sgpr_private_segment_size 0
		.amdhsa_uses_dynamic_stack 0
		.amdhsa_system_sgpr_private_segment_wavefront_offset 0
		.amdhsa_system_sgpr_workgroup_id_x 1
		.amdhsa_system_sgpr_workgroup_id_y 0
		.amdhsa_system_sgpr_workgroup_id_z 0
		.amdhsa_system_sgpr_workgroup_info 0
		.amdhsa_system_vgpr_workitem_id 2
		.amdhsa_next_free_vgpr 22
		.amdhsa_next_free_sgpr 34
		.amdhsa_reserve_vcc 1
		.amdhsa_reserve_flat_scratch 0
		.amdhsa_float_round_mode_32 0
		.amdhsa_float_round_mode_16_64 0
		.amdhsa_float_denorm_mode_32 3
		.amdhsa_float_denorm_mode_16_64 3
		.amdhsa_dx10_clamp 1
		.amdhsa_ieee_mode 1
		.amdhsa_fp16_overflow 0
		.amdhsa_exception_fp_ieee_invalid_op 0
		.amdhsa_exception_fp_denorm_src 0
		.amdhsa_exception_fp_ieee_div_zero 0
		.amdhsa_exception_fp_ieee_overflow 0
		.amdhsa_exception_fp_ieee_underflow 0
		.amdhsa_exception_fp_ieee_inexact 0
		.amdhsa_exception_int_div_zero 0
	.end_amdhsa_kernel
	.section	.text._Z16sort_keys_kernelI22helper_blocked_blockedaLj256ELj1ELj10EEvPKT0_PS1_,"axG",@progbits,_Z16sort_keys_kernelI22helper_blocked_blockedaLj256ELj1ELj10EEvPKT0_PS1_,comdat
.Lfunc_end72:
	.size	_Z16sort_keys_kernelI22helper_blocked_blockedaLj256ELj1ELj10EEvPKT0_PS1_, .Lfunc_end72-_Z16sort_keys_kernelI22helper_blocked_blockedaLj256ELj1ELj10EEvPKT0_PS1_
                                        ; -- End function
	.set _Z16sort_keys_kernelI22helper_blocked_blockedaLj256ELj1ELj10EEvPKT0_PS1_.num_vgpr, 22
	.set _Z16sort_keys_kernelI22helper_blocked_blockedaLj256ELj1ELj10EEvPKT0_PS1_.num_agpr, 0
	.set _Z16sort_keys_kernelI22helper_blocked_blockedaLj256ELj1ELj10EEvPKT0_PS1_.numbered_sgpr, 34
	.set _Z16sort_keys_kernelI22helper_blocked_blockedaLj256ELj1ELj10EEvPKT0_PS1_.num_named_barrier, 0
	.set _Z16sort_keys_kernelI22helper_blocked_blockedaLj256ELj1ELj10EEvPKT0_PS1_.private_seg_size, 0
	.set _Z16sort_keys_kernelI22helper_blocked_blockedaLj256ELj1ELj10EEvPKT0_PS1_.uses_vcc, 1
	.set _Z16sort_keys_kernelI22helper_blocked_blockedaLj256ELj1ELj10EEvPKT0_PS1_.uses_flat_scratch, 0
	.set _Z16sort_keys_kernelI22helper_blocked_blockedaLj256ELj1ELj10EEvPKT0_PS1_.has_dyn_sized_stack, 0
	.set _Z16sort_keys_kernelI22helper_blocked_blockedaLj256ELj1ELj10EEvPKT0_PS1_.has_recursion, 0
	.set _Z16sort_keys_kernelI22helper_blocked_blockedaLj256ELj1ELj10EEvPKT0_PS1_.has_indirect_call, 0
	.section	.AMDGPU.csdata,"",@progbits
; Kernel info:
; codeLenInByte = 1196
; TotalNumSgprs: 38
; NumVgprs: 22
; ScratchSize: 0
; MemoryBound: 0
; FloatMode: 240
; IeeeMode: 1
; LDSByteSize: 4112 bytes/workgroup (compile time only)
; SGPRBlocks: 4
; VGPRBlocks: 5
; NumSGPRsForWavesPerEU: 38
; NumVGPRsForWavesPerEU: 22
; Occupancy: 10
; WaveLimiterHint : 0
; COMPUTE_PGM_RSRC2:SCRATCH_EN: 0
; COMPUTE_PGM_RSRC2:USER_SGPR: 6
; COMPUTE_PGM_RSRC2:TRAP_HANDLER: 0
; COMPUTE_PGM_RSRC2:TGID_X_EN: 1
; COMPUTE_PGM_RSRC2:TGID_Y_EN: 0
; COMPUTE_PGM_RSRC2:TGID_Z_EN: 0
; COMPUTE_PGM_RSRC2:TIDIG_COMP_CNT: 2
	.section	.text._Z17sort_pairs_kernelI22helper_blocked_blockedaLj256ELj1ELj10EEvPKT0_PS1_,"axG",@progbits,_Z17sort_pairs_kernelI22helper_blocked_blockedaLj256ELj1ELj10EEvPKT0_PS1_,comdat
	.protected	_Z17sort_pairs_kernelI22helper_blocked_blockedaLj256ELj1ELj10EEvPKT0_PS1_ ; -- Begin function _Z17sort_pairs_kernelI22helper_blocked_blockedaLj256ELj1ELj10EEvPKT0_PS1_
	.globl	_Z17sort_pairs_kernelI22helper_blocked_blockedaLj256ELj1ELj10EEvPKT0_PS1_
	.p2align	8
	.type	_Z17sort_pairs_kernelI22helper_blocked_blockedaLj256ELj1ELj10EEvPKT0_PS1_,@function
_Z17sort_pairs_kernelI22helper_blocked_blockedaLj256ELj1ELj10EEvPKT0_PS1_: ; @_Z17sort_pairs_kernelI22helper_blocked_blockedaLj256ELj1ELj10EEvPKT0_PS1_
; %bb.0:
	s_load_dwordx4 s[28:31], s[4:5], 0x0
	s_load_dword s22, s[4:5], 0x1c
	s_lshl_b32 s33, s6, 8
	v_mbcnt_lo_u32_b32 v4, -1, 0
	v_mbcnt_hi_u32_b32 v4, -1, v4
	s_waitcnt lgkmcnt(0)
	s_add_u32 s0, s28, s33
	s_addc_u32 s1, s29, 0
	global_load_ubyte v3, v0, s[0:1]
	s_lshr_b32 s23, s22, 16
	s_and_b32 s22, s22, 0xffff
	v_mad_u32_u24 v1, v2, s23, v1
	v_mad_u64_u32 v[1:2], s[22:23], v1, s22, v[0:1]
	v_or_b32_e32 v6, 63, v0
	s_mov_b32 s10, 0
	v_cmp_eq_u32_e64 s[6:7], v0, v6
	v_subrev_co_u32_e64 v6, s[8:9], 1, v4
	v_and_b32_e32 v16, 64, v4
	v_lshrrev_b32_e32 v7, 4, v0
	s_mov_b32 s12, s10
	v_cmp_lt_i32_e64 s[20:21], v6, v16
	v_mul_u32_u24_e32 v13, 3, v0
	s_mov_b32 s11, s10
	s_mov_b32 s13, s10
	v_and_b32_e32 v14, 15, v4
	v_and_b32_e32 v15, 16, v4
	v_cmp_lt_u32_e64 s[4:5], 31, v4
	v_and_b32_e32 v12, 12, v7
	v_and_b32_e32 v17, 3, v4
	v_mov_b32_e32 v7, s10
	v_mov_b32_e32 v9, s12
	v_cndmask_b32_e64 v4, v6, v4, s[20:21]
	v_lshrrev_b32_e32 v1, 4, v1
	v_mov_b32_e32 v5, 0
	s_mov_b32 s28, 10
	v_lshlrev_b32_e32 v11, 4, v0
	v_cmp_gt_u32_e32 vcc, 4, v0
	v_cmp_lt_u32_e64 s[0:1], 63, v0
	v_cmp_eq_u32_e64 s[2:3], 0, v0
	v_mov_b32_e32 v8, s11
	v_mov_b32_e32 v10, s13
	v_add_u32_e32 v13, v0, v13
	v_cmp_eq_u32_e64 s[10:11], 0, v14
	v_cmp_lt_u32_e64 s[12:13], 1, v14
	v_cmp_lt_u32_e64 s[14:15], 3, v14
	;; [unrolled: 1-line block ×3, first 2 shown]
	v_cmp_eq_u32_e64 s[18:19], 0, v15
	v_cmp_eq_u32_e64 s[20:21], 0, v17
	v_cmp_lt_u32_e64 s[22:23], 1, v17
	v_add_u32_e32 v14, -4, v12
	v_lshlrev_b32_e32 v15, 2, v4
	v_and_b32_e32 v16, 0xffffffc, v1
	v_mov_b32_e32 v17, 4
	s_waitcnt vmcnt(0)
	v_add_u16_e32 v18, 1, v3
	v_xor_b32_e32 v19, 0xffffff80, v3
	s_branch .LBB73_2
.LBB73_1:                               ;   in Loop: Header=BB73_2 Depth=1
	s_or_b64 exec, exec, s[24:25]
	s_waitcnt lgkmcnt(0)
	v_add_u32_e32 v4, v21, v4
	ds_bpermute_b32 v4, v15, v4
	s_add_i32 s28, s28, -1
	s_cmp_eq_u32 s28, 0
	s_waitcnt lgkmcnt(0)
	v_cndmask_b32_e64 v4, v4, v21, s[8:9]
	v_cndmask_b32_e64 v21, v4, 0, s[2:3]
	v_add_u32_e32 v22, v21, v1
	v_add_u32_e32 v1, v22, v2
	;; [unrolled: 1-line block ×3, first 2 shown]
	ds_write2_b64 v11, v[21:22], v[1:2] offset0:2 offset1:3
	s_waitcnt lgkmcnt(0)
	s_barrier
	ds_read_b32 v1, v20 offset:16
	s_waitcnt lgkmcnt(0)
	s_barrier
	v_add_u32_e32 v1, v1, v6
	ds_write_b8 v1, v19
	s_waitcnt lgkmcnt(0)
	s_barrier
	ds_read_u8 v19, v0
	s_waitcnt lgkmcnt(0)
	s_barrier
	ds_write_b8 v1, v18
	s_waitcnt lgkmcnt(0)
	s_barrier
	ds_read_u8 v18, v0
	s_cbranch_scc1 .LBB73_10
.LBB73_2:                               ; =>This Inner Loop Header: Depth=1
	v_and_b32_e32 v1, 1, v19
	v_add_co_u32_e64 v2, s[24:25], -1, v1
	v_addc_co_u32_e64 v4, s[24:25], 0, -1, s[24:25]
	v_cmp_ne_u32_e64 s[24:25], 0, v1
	v_lshlrev_b32_e32 v6, 30, v19
	v_xor_b32_e32 v1, s25, v4
	v_xor_b32_e32 v2, s24, v2
	v_cmp_gt_i64_e64 s[24:25], 0, v[5:6]
	v_not_b32_e32 v4, v6
	v_ashrrev_i32_e32 v4, 31, v4
	v_and_b32_e32 v1, exec_hi, v1
	v_xor_b32_e32 v6, s25, v4
	v_and_b32_e32 v2, exec_lo, v2
	v_xor_b32_e32 v4, s24, v4
	v_and_b32_e32 v1, v1, v6
	v_lshlrev_b32_e32 v6, 29, v19
	v_and_b32_e32 v2, v2, v4
	v_cmp_gt_i64_e64 s[24:25], 0, v[5:6]
	v_not_b32_e32 v4, v6
	v_ashrrev_i32_e32 v4, 31, v4
	v_xor_b32_e32 v6, s25, v4
	v_xor_b32_e32 v4, s24, v4
	v_and_b32_e32 v1, v1, v6
	v_lshlrev_b32_e32 v6, 28, v19
	v_and_b32_e32 v2, v2, v4
	v_cmp_gt_i64_e64 s[24:25], 0, v[5:6]
	v_not_b32_e32 v4, v6
	v_ashrrev_i32_e32 v4, 31, v4
	v_xor_b32_e32 v6, s25, v4
	;; [unrolled: 8-line block ×6, first 2 shown]
	v_xor_b32_e32 v20, s24, v2
	v_and_b32_e32 v2, v1, v6
	v_and_b32_e32 v1, v4, v20
	v_mbcnt_lo_u32_b32 v4, v1, 0
	v_mbcnt_hi_u32_b32 v6, v2, v4
	v_cmp_ne_u64_e64 s[24:25], 0, v[1:2]
	v_lshlrev_b32_sdwa v3, v17, v19 dst_sel:DWORD dst_unused:UNUSED_PAD src0_sel:DWORD src1_sel:BYTE_0
	v_cmp_eq_u32_e64 s[26:27], 0, v6
	s_and_b64 s[26:27], s[24:25], s[26:27]
	v_add_u32_e32 v20, v16, v3
	ds_write2_b64 v11, v[7:8], v[9:10] offset0:2 offset1:3
	s_waitcnt lgkmcnt(0)
	s_barrier
	; wave barrier
	s_and_saveexec_b64 s[24:25], s[26:27]
; %bb.3:                                ;   in Loop: Header=BB73_2 Depth=1
	v_bcnt_u32_b32 v1, v1, 0
	v_bcnt_u32_b32 v1, v2, v1
	ds_write_b32 v20, v1 offset:16
; %bb.4:                                ;   in Loop: Header=BB73_2 Depth=1
	s_or_b64 exec, exec, s[24:25]
	; wave barrier
	s_waitcnt lgkmcnt(0)
	s_barrier
	ds_read2_b64 v[1:4], v11 offset0:2 offset1:3
	s_waitcnt lgkmcnt(0)
	v_add_u32_e32 v21, v2, v1
	v_add3_u32 v4, v21, v3, v4
	s_nop 1
	v_mov_b32_dpp v21, v4 row_shr:1 row_mask:0xf bank_mask:0xf
	v_cndmask_b32_e64 v21, v21, 0, s[10:11]
	v_add_u32_e32 v4, v21, v4
	s_nop 1
	v_mov_b32_dpp v21, v4 row_shr:2 row_mask:0xf bank_mask:0xf
	v_cndmask_b32_e64 v21, 0, v21, s[12:13]
	v_add_u32_e32 v4, v4, v21
	;; [unrolled: 4-line block ×4, first 2 shown]
	s_nop 1
	v_mov_b32_dpp v21, v4 row_bcast:15 row_mask:0xf bank_mask:0xf
	v_cndmask_b32_e64 v21, v21, 0, s[18:19]
	v_add_u32_e32 v4, v4, v21
	s_nop 1
	v_mov_b32_dpp v21, v4 row_bcast:31 row_mask:0xf bank_mask:0xf
	v_cndmask_b32_e64 v21, 0, v21, s[4:5]
	v_add_u32_e32 v4, v4, v21
	s_and_saveexec_b64 s[24:25], s[6:7]
; %bb.5:                                ;   in Loop: Header=BB73_2 Depth=1
	ds_write_b32 v12, v4
; %bb.6:                                ;   in Loop: Header=BB73_2 Depth=1
	s_or_b64 exec, exec, s[24:25]
	s_waitcnt lgkmcnt(0)
	s_barrier
	s_and_saveexec_b64 s[24:25], vcc
	s_cbranch_execz .LBB73_8
; %bb.7:                                ;   in Loop: Header=BB73_2 Depth=1
	ds_read_b32 v21, v13
	s_waitcnt lgkmcnt(0)
	s_nop 0
	v_mov_b32_dpp v22, v21 row_shr:1 row_mask:0xf bank_mask:0xf
	v_cndmask_b32_e64 v22, v22, 0, s[20:21]
	v_add_u32_e32 v21, v22, v21
	s_nop 1
	v_mov_b32_dpp v22, v21 row_shr:2 row_mask:0xf bank_mask:0xf
	v_cndmask_b32_e64 v22, 0, v22, s[22:23]
	v_add_u32_e32 v21, v21, v22
	ds_write_b32 v13, v21
.LBB73_8:                               ;   in Loop: Header=BB73_2 Depth=1
	s_or_b64 exec, exec, s[24:25]
	v_mov_b32_e32 v21, 0
	s_waitcnt lgkmcnt(0)
	s_barrier
	s_and_saveexec_b64 s[24:25], s[0:1]
	s_cbranch_execz .LBB73_1
; %bb.9:                                ;   in Loop: Header=BB73_2 Depth=1
	ds_read_b32 v21, v14
	s_branch .LBB73_1
.LBB73_10:
	s_add_u32 s0, s30, s33
	s_waitcnt lgkmcnt(0)
	v_add_u16_e32 v1, v18, v19
	s_addc_u32 s1, s31, 0
	v_add_u16_e32 v2, 0xff80, v1
	v_mov_b32_e32 v1, s1
	v_add_co_u32_e32 v0, vcc, s0, v0
	v_addc_co_u32_e32 v1, vcc, 0, v1, vcc
	global_store_byte v[0:1], v2, off
	s_endpgm
	.section	.rodata,"a",@progbits
	.p2align	6, 0x0
	.amdhsa_kernel _Z17sort_pairs_kernelI22helper_blocked_blockedaLj256ELj1ELj10EEvPKT0_PS1_
		.amdhsa_group_segment_fixed_size 4112
		.amdhsa_private_segment_fixed_size 0
		.amdhsa_kernarg_size 272
		.amdhsa_user_sgpr_count 6
		.amdhsa_user_sgpr_private_segment_buffer 1
		.amdhsa_user_sgpr_dispatch_ptr 0
		.amdhsa_user_sgpr_queue_ptr 0
		.amdhsa_user_sgpr_kernarg_segment_ptr 1
		.amdhsa_user_sgpr_dispatch_id 0
		.amdhsa_user_sgpr_flat_scratch_init 0
		.amdhsa_user_sgpr_private_segment_size 0
		.amdhsa_uses_dynamic_stack 0
		.amdhsa_system_sgpr_private_segment_wavefront_offset 0
		.amdhsa_system_sgpr_workgroup_id_x 1
		.amdhsa_system_sgpr_workgroup_id_y 0
		.amdhsa_system_sgpr_workgroup_id_z 0
		.amdhsa_system_sgpr_workgroup_info 0
		.amdhsa_system_vgpr_workitem_id 2
		.amdhsa_next_free_vgpr 23
		.amdhsa_next_free_sgpr 34
		.amdhsa_reserve_vcc 1
		.amdhsa_reserve_flat_scratch 0
		.amdhsa_float_round_mode_32 0
		.amdhsa_float_round_mode_16_64 0
		.amdhsa_float_denorm_mode_32 3
		.amdhsa_float_denorm_mode_16_64 3
		.amdhsa_dx10_clamp 1
		.amdhsa_ieee_mode 1
		.amdhsa_fp16_overflow 0
		.amdhsa_exception_fp_ieee_invalid_op 0
		.amdhsa_exception_fp_denorm_src 0
		.amdhsa_exception_fp_ieee_div_zero 0
		.amdhsa_exception_fp_ieee_overflow 0
		.amdhsa_exception_fp_ieee_underflow 0
		.amdhsa_exception_fp_ieee_inexact 0
		.amdhsa_exception_int_div_zero 0
	.end_amdhsa_kernel
	.section	.text._Z17sort_pairs_kernelI22helper_blocked_blockedaLj256ELj1ELj10EEvPKT0_PS1_,"axG",@progbits,_Z17sort_pairs_kernelI22helper_blocked_blockedaLj256ELj1ELj10EEvPKT0_PS1_,comdat
.Lfunc_end73:
	.size	_Z17sort_pairs_kernelI22helper_blocked_blockedaLj256ELj1ELj10EEvPKT0_PS1_, .Lfunc_end73-_Z17sort_pairs_kernelI22helper_blocked_blockedaLj256ELj1ELj10EEvPKT0_PS1_
                                        ; -- End function
	.set _Z17sort_pairs_kernelI22helper_blocked_blockedaLj256ELj1ELj10EEvPKT0_PS1_.num_vgpr, 23
	.set _Z17sort_pairs_kernelI22helper_blocked_blockedaLj256ELj1ELj10EEvPKT0_PS1_.num_agpr, 0
	.set _Z17sort_pairs_kernelI22helper_blocked_blockedaLj256ELj1ELj10EEvPKT0_PS1_.numbered_sgpr, 34
	.set _Z17sort_pairs_kernelI22helper_blocked_blockedaLj256ELj1ELj10EEvPKT0_PS1_.num_named_barrier, 0
	.set _Z17sort_pairs_kernelI22helper_blocked_blockedaLj256ELj1ELj10EEvPKT0_PS1_.private_seg_size, 0
	.set _Z17sort_pairs_kernelI22helper_blocked_blockedaLj256ELj1ELj10EEvPKT0_PS1_.uses_vcc, 1
	.set _Z17sort_pairs_kernelI22helper_blocked_blockedaLj256ELj1ELj10EEvPKT0_PS1_.uses_flat_scratch, 0
	.set _Z17sort_pairs_kernelI22helper_blocked_blockedaLj256ELj1ELj10EEvPKT0_PS1_.has_dyn_sized_stack, 0
	.set _Z17sort_pairs_kernelI22helper_blocked_blockedaLj256ELj1ELj10EEvPKT0_PS1_.has_recursion, 0
	.set _Z17sort_pairs_kernelI22helper_blocked_blockedaLj256ELj1ELj10EEvPKT0_PS1_.has_indirect_call, 0
	.section	.AMDGPU.csdata,"",@progbits
; Kernel info:
; codeLenInByte = 1232
; TotalNumSgprs: 38
; NumVgprs: 23
; ScratchSize: 0
; MemoryBound: 0
; FloatMode: 240
; IeeeMode: 1
; LDSByteSize: 4112 bytes/workgroup (compile time only)
; SGPRBlocks: 4
; VGPRBlocks: 5
; NumSGPRsForWavesPerEU: 38
; NumVGPRsForWavesPerEU: 23
; Occupancy: 10
; WaveLimiterHint : 0
; COMPUTE_PGM_RSRC2:SCRATCH_EN: 0
; COMPUTE_PGM_RSRC2:USER_SGPR: 6
; COMPUTE_PGM_RSRC2:TRAP_HANDLER: 0
; COMPUTE_PGM_RSRC2:TGID_X_EN: 1
; COMPUTE_PGM_RSRC2:TGID_Y_EN: 0
; COMPUTE_PGM_RSRC2:TGID_Z_EN: 0
; COMPUTE_PGM_RSRC2:TIDIG_COMP_CNT: 2
	.section	.text._Z16sort_keys_kernelI22helper_blocked_blockedaLj256ELj3ELj10EEvPKT0_PS1_,"axG",@progbits,_Z16sort_keys_kernelI22helper_blocked_blockedaLj256ELj3ELj10EEvPKT0_PS1_,comdat
	.protected	_Z16sort_keys_kernelI22helper_blocked_blockedaLj256ELj3ELj10EEvPKT0_PS1_ ; -- Begin function _Z16sort_keys_kernelI22helper_blocked_blockedaLj256ELj3ELj10EEvPKT0_PS1_
	.globl	_Z16sort_keys_kernelI22helper_blocked_blockedaLj256ELj3ELj10EEvPKT0_PS1_
	.p2align	8
	.type	_Z16sort_keys_kernelI22helper_blocked_blockedaLj256ELj3ELj10EEvPKT0_PS1_,@function
_Z16sort_keys_kernelI22helper_blocked_blockedaLj256ELj3ELj10EEvPKT0_PS1_: ; @_Z16sort_keys_kernelI22helper_blocked_blockedaLj256ELj3ELj10EEvPKT0_PS1_
; %bb.0:
	s_load_dwordx4 s[28:31], s[4:5], 0x0
	s_load_dword s2, s[4:5], 0x1c
	s_mul_i32 s33, s6, 0x300
	v_mbcnt_lo_u32_b32 v7, -1, 0
	v_mbcnt_hi_u32_b32 v7, -1, v7
	s_waitcnt lgkmcnt(0)
	s_add_u32 s0, s28, s33
	s_addc_u32 s1, s29, 0
	global_load_ubyte v6, v0, s[0:1] offset:512
	global_load_ubyte v4, v0, s[0:1] offset:256
	global_load_ubyte v3, v0, s[0:1]
	s_lshr_b32 s0, s2, 16
	s_and_b32 s1, s2, 0xffff
	v_mad_u32_u24 v1, v2, s0, v1
	v_mad_u64_u32 v[1:2], s[0:1], v1, s1, v[0:1]
	v_and_b32_e32 v10, 64, v7
	s_mov_b32 s24, 0
	v_lshrrev_b32_e32 v1, 4, v1
	v_and_b32_e32 v12, 0xffffffc, v1
	v_and_b32_e32 v1, 15, v7
	v_cmp_eq_u32_e32 vcc, 0, v1
	v_cmp_lt_u32_e64 s[0:1], 1, v1
	v_cmp_lt_u32_e64 s[2:3], 3, v1
	;; [unrolled: 1-line block ×3, first 2 shown]
	v_and_b32_e32 v1, 16, v7
	v_cmp_eq_u32_e64 s[6:7], 0, v1
	v_or_b32_e32 v1, 63, v0
	v_cmp_eq_u32_e64 s[10:11], v0, v1
	v_subrev_co_u32_e64 v1, s[16:17], 1, v7
	v_lshrrev_b32_e32 v8, 6, v0
	v_cmp_lt_i32_e64 s[18:19], v1, v10
	v_mul_u32_u24_e32 v2, 0xc0, v8
	v_mul_u32_u24_e32 v9, 3, v7
	v_cndmask_b32_e64 v1, v1, v7, s[18:19]
	s_mov_b32 s26, s24
	v_lshlrev_b32_e32 v11, 4, v0
	v_cmp_lt_u32_e64 s[8:9], 31, v7
	v_lshlrev_b32_e32 v13, 2, v1
	v_lshlrev_b32_e32 v15, 2, v8
	v_and_b32_e32 v1, 3, v7
	v_add_u32_e32 v17, v9, v2
	v_add_u32_e32 v18, v7, v2
	s_mov_b32 s25, s24
	s_mov_b32 s27, s24
	v_mov_b32_e32 v7, s24
	v_mov_b32_e32 v9, s26
	;; [unrolled: 1-line block ×3, first 2 shown]
	v_cmp_gt_u32_e64 s[12:13], 4, v0
	v_cmp_lt_u32_e64 s[14:15], 63, v0
	v_cmp_eq_u32_e64 s[18:19], 0, v0
	v_mad_i32_i24 v14, v0, -13, v11
	v_cmp_eq_u32_e64 s[20:21], 0, v1
	v_cmp_lt_u32_e64 s[22:23], 1, v1
	v_add_u32_e32 v16, -4, v15
	s_mov_b32 s28, 10
	v_mov_b32_e32 v8, s25
	v_mov_b32_e32 v10, s27
	;; [unrolled: 1-line block ×3, first 2 shown]
	s_branch .LBB74_2
.LBB74_1:                               ;   in Loop: Header=BB74_2 Depth=1
	s_or_b64 exec, exec, s[24:25]
	s_waitcnt lgkmcnt(0)
	v_add_u32_e32 v4, v30, v4
	ds_bpermute_b32 v4, v13, v4
	s_add_i32 s28, s28, -1
	s_cmp_eq_u32 s28, 0
	s_waitcnt lgkmcnt(0)
	v_cndmask_b32_e64 v4, v4, v30, s[16:17]
	v_cndmask_b32_e64 v30, v4, 0, s[18:19]
	v_add_u32_e32 v31, v30, v1
	v_add_u32_e32 v1, v31, v2
	;; [unrolled: 1-line block ×3, first 2 shown]
	ds_write2_b64 v11, v[30:31], v[1:2] offset0:2 offset1:3
	s_waitcnt lgkmcnt(0)
	s_barrier
	ds_read_b32 v1, v24 offset:16
	ds_read_b32 v2, v26 offset:16
	;; [unrolled: 1-line block ×3, first 2 shown]
	s_waitcnt lgkmcnt(0)
	s_barrier
	v_add_u32_e32 v1, v1, v23
	ds_write_b8 v1, v22
	v_add3_u32 v1, v27, v25, v2
	ds_write_b8 v1, v21
	v_add3_u32 v1, v6, v28, v3
	ds_write_b8 v1, v20
	s_waitcnt lgkmcnt(0)
	s_barrier
	ds_read_u8 v1, v14
	ds_read_u16 v2, v14 offset:1
	s_waitcnt lgkmcnt(1)
	v_xor_b32_e32 v3, 0xffffff80, v1
	s_waitcnt lgkmcnt(0)
	v_and_b32_e32 v1, 0xffffff00, v2
	v_xor_b32_e32 v1, 0xffff8000, v1
	v_xor_b32_e32 v2, 0x80, v2
	v_or_b32_sdwa v4, v2, v1 dst_sel:DWORD dst_unused:UNUSED_PAD src0_sel:BYTE_0 src1_sel:DWORD
	v_lshrrev_b16_e32 v6, 8, v1
	s_cbranch_scc1 .LBB74_14
.LBB74_2:                               ; =>This Inner Loop Header: Depth=1
	s_waitcnt vmcnt(0)
	v_xor_b32_e32 v1, 0x80, v3
	v_xor_b32_e32 v2, 0x80, v4
	;; [unrolled: 1-line block ×3, first 2 shown]
	ds_write_b8 v17, v1
	ds_write_b8 v17, v2 offset:1
	ds_write_b8 v17, v3 offset:2
	; wave barrier
	ds_read_u8 v22, v18
	ds_read_u8 v21, v18 offset:64
	ds_read_u8 v20, v18 offset:128
	; wave barrier
	s_waitcnt lgkmcnt(2)
	v_and_b32_e32 v1, 1, v22
	v_add_co_u32_e64 v2, s[24:25], -1, v1
	v_addc_co_u32_e64 v4, s[24:25], 0, -1, s[24:25]
	v_cmp_ne_u32_e64 s[24:25], 0, v1
	v_lshlrev_b32_e32 v6, 30, v22
	v_xor_b32_e32 v1, s25, v4
	v_xor_b32_e32 v2, s24, v2
	v_cmp_gt_i64_e64 s[24:25], 0, v[5:6]
	v_not_b32_e32 v4, v6
	v_ashrrev_i32_e32 v4, 31, v4
	v_and_b32_e32 v1, exec_hi, v1
	v_xor_b32_e32 v6, s25, v4
	v_and_b32_e32 v2, exec_lo, v2
	v_xor_b32_e32 v4, s24, v4
	v_and_b32_e32 v1, v1, v6
	v_lshlrev_b32_e32 v6, 29, v22
	v_and_b32_e32 v2, v2, v4
	v_cmp_gt_i64_e64 s[24:25], 0, v[5:6]
	v_not_b32_e32 v4, v6
	v_ashrrev_i32_e32 v4, 31, v4
	v_xor_b32_e32 v6, s25, v4
	v_xor_b32_e32 v4, s24, v4
	v_and_b32_e32 v1, v1, v6
	v_lshlrev_b32_e32 v6, 28, v22
	v_and_b32_e32 v2, v2, v4
	v_cmp_gt_i64_e64 s[24:25], 0, v[5:6]
	v_not_b32_e32 v4, v6
	v_ashrrev_i32_e32 v4, 31, v4
	v_xor_b32_e32 v6, s25, v4
	;; [unrolled: 8-line block ×6, first 2 shown]
	v_xor_b32_e32 v23, s24, v2
	v_and_b32_e32 v2, v1, v6
	v_and_b32_e32 v1, v4, v23
	v_mbcnt_lo_u32_b32 v4, v1, 0
	v_mbcnt_hi_u32_b32 v23, v2, v4
	v_cmp_ne_u64_e64 s[24:25], 0, v[1:2]
	v_lshlrev_b32_sdwa v3, v19, v22 dst_sel:DWORD dst_unused:UNUSED_PAD src0_sel:DWORD src1_sel:BYTE_0
	v_cmp_eq_u32_e64 s[26:27], 0, v23
	s_and_b64 s[26:27], s[24:25], s[26:27]
	v_add_u32_e32 v24, v12, v3
	; wave barrier
	s_waitcnt lgkmcnt(0)
	s_barrier
	ds_write2_b64 v11, v[7:8], v[9:10] offset0:2 offset1:3
	s_waitcnt lgkmcnt(0)
	s_barrier
	; wave barrier
	s_and_saveexec_b64 s[24:25], s[26:27]
; %bb.3:                                ;   in Loop: Header=BB74_2 Depth=1
	v_bcnt_u32_b32 v1, v1, 0
	v_bcnt_u32_b32 v1, v2, v1
	ds_write_b32 v24, v1 offset:16
; %bb.4:                                ;   in Loop: Header=BB74_2 Depth=1
	s_or_b64 exec, exec, s[24:25]
	v_lshlrev_b32_sdwa v1, v19, v21 dst_sel:DWORD dst_unused:UNUSED_PAD src0_sel:DWORD src1_sel:BYTE_0
	v_add_u32_e32 v26, v12, v1
	v_and_b32_e32 v1, 1, v21
	v_add_co_u32_e64 v2, s[24:25], -1, v1
	v_addc_co_u32_e64 v3, s[24:25], 0, -1, s[24:25]
	v_cmp_ne_u32_e64 s[24:25], 0, v1
	v_lshlrev_b32_e32 v6, 30, v21
	v_xor_b32_e32 v1, s25, v3
	v_xor_b32_e32 v2, s24, v2
	v_cmp_gt_i64_e64 s[24:25], 0, v[5:6]
	v_not_b32_e32 v3, v6
	v_ashrrev_i32_e32 v3, 31, v3
	v_and_b32_e32 v2, exec_lo, v2
	v_xor_b32_e32 v4, s25, v3
	v_xor_b32_e32 v3, s24, v3
	v_lshlrev_b32_e32 v6, 29, v21
	v_and_b32_e32 v2, v2, v3
	v_cmp_gt_i64_e64 s[24:25], 0, v[5:6]
	v_not_b32_e32 v3, v6
	v_and_b32_e32 v1, exec_hi, v1
	v_ashrrev_i32_e32 v3, 31, v3
	v_and_b32_e32 v1, v1, v4
	v_xor_b32_e32 v4, s25, v3
	v_xor_b32_e32 v3, s24, v3
	v_lshlrev_b32_e32 v6, 28, v21
	v_and_b32_e32 v2, v2, v3
	v_cmp_gt_i64_e64 s[24:25], 0, v[5:6]
	v_not_b32_e32 v3, v6
	v_ashrrev_i32_e32 v3, 31, v3
	v_and_b32_e32 v1, v1, v4
	v_xor_b32_e32 v4, s25, v3
	v_xor_b32_e32 v3, s24, v3
	v_lshlrev_b32_e32 v6, 27, v21
	v_and_b32_e32 v2, v2, v3
	v_cmp_gt_i64_e64 s[24:25], 0, v[5:6]
	v_not_b32_e32 v3, v6
	v_ashrrev_i32_e32 v3, 31, v3
	v_and_b32_e32 v1, v1, v4
	v_xor_b32_e32 v4, s25, v3
	v_xor_b32_e32 v3, s24, v3
	v_lshlrev_b32_e32 v6, 26, v21
	v_and_b32_e32 v2, v2, v3
	v_cmp_gt_i64_e64 s[24:25], 0, v[5:6]
	v_not_b32_e32 v3, v6
	v_ashrrev_i32_e32 v3, 31, v3
	v_and_b32_e32 v1, v1, v4
	v_xor_b32_e32 v4, s25, v3
	v_xor_b32_e32 v3, s24, v3
	v_lshlrev_b32_e32 v6, 25, v21
	v_and_b32_e32 v2, v2, v3
	v_cmp_gt_i64_e64 s[24:25], 0, v[5:6]
	v_not_b32_e32 v3, v6
	v_ashrrev_i32_e32 v3, 31, v3
	v_and_b32_e32 v1, v1, v4
	v_xor_b32_e32 v4, s25, v3
	v_xor_b32_e32 v3, s24, v3
	v_lshlrev_b32_e32 v6, 24, v21
	v_and_b32_e32 v3, v2, v3
	v_cmp_gt_i64_e64 s[24:25], 0, v[5:6]
	v_not_b32_e32 v2, v6
	v_ashrrev_i32_e32 v2, 31, v2
	v_and_b32_e32 v1, v1, v4
	v_xor_b32_e32 v4, s25, v2
	v_xor_b32_e32 v6, s24, v2
	; wave barrier
	ds_read_b32 v25, v26 offset:16
	v_and_b32_e32 v2, v1, v4
	v_and_b32_e32 v1, v3, v6
	v_mbcnt_lo_u32_b32 v3, v1, 0
	v_mbcnt_hi_u32_b32 v27, v2, v3
	v_cmp_ne_u64_e64 s[24:25], 0, v[1:2]
	v_cmp_eq_u32_e64 s[26:27], 0, v27
	s_and_b64 s[26:27], s[24:25], s[26:27]
	; wave barrier
	s_and_saveexec_b64 s[24:25], s[26:27]
	s_cbranch_execz .LBB74_6
; %bb.5:                                ;   in Loop: Header=BB74_2 Depth=1
	v_bcnt_u32_b32 v1, v1, 0
	v_bcnt_u32_b32 v1, v2, v1
	s_waitcnt lgkmcnt(0)
	v_add_u32_e32 v1, v25, v1
	ds_write_b32 v26, v1 offset:16
.LBB74_6:                               ;   in Loop: Header=BB74_2 Depth=1
	s_or_b64 exec, exec, s[24:25]
	v_lshlrev_b32_sdwa v1, v19, v20 dst_sel:DWORD dst_unused:UNUSED_PAD src0_sel:DWORD src1_sel:BYTE_0
	v_add_u32_e32 v29, v12, v1
	v_and_b32_e32 v1, 1, v20
	v_add_co_u32_e64 v2, s[24:25], -1, v1
	v_addc_co_u32_e64 v3, s[24:25], 0, -1, s[24:25]
	v_cmp_ne_u32_e64 s[24:25], 0, v1
	v_lshlrev_b32_e32 v6, 30, v20
	v_xor_b32_e32 v1, s25, v3
	v_xor_b32_e32 v2, s24, v2
	v_cmp_gt_i64_e64 s[24:25], 0, v[5:6]
	v_not_b32_e32 v3, v6
	v_ashrrev_i32_e32 v3, 31, v3
	v_and_b32_e32 v2, exec_lo, v2
	v_xor_b32_e32 v4, s25, v3
	v_xor_b32_e32 v3, s24, v3
	v_lshlrev_b32_e32 v6, 29, v20
	v_and_b32_e32 v2, v2, v3
	v_cmp_gt_i64_e64 s[24:25], 0, v[5:6]
	v_not_b32_e32 v3, v6
	v_and_b32_e32 v1, exec_hi, v1
	v_ashrrev_i32_e32 v3, 31, v3
	v_and_b32_e32 v1, v1, v4
	v_xor_b32_e32 v4, s25, v3
	v_xor_b32_e32 v3, s24, v3
	v_lshlrev_b32_e32 v6, 28, v20
	v_and_b32_e32 v2, v2, v3
	v_cmp_gt_i64_e64 s[24:25], 0, v[5:6]
	v_not_b32_e32 v3, v6
	v_ashrrev_i32_e32 v3, 31, v3
	v_and_b32_e32 v1, v1, v4
	v_xor_b32_e32 v4, s25, v3
	v_xor_b32_e32 v3, s24, v3
	v_lshlrev_b32_e32 v6, 27, v20
	v_and_b32_e32 v2, v2, v3
	v_cmp_gt_i64_e64 s[24:25], 0, v[5:6]
	v_not_b32_e32 v3, v6
	;; [unrolled: 8-line block ×5, first 2 shown]
	v_ashrrev_i32_e32 v2, 31, v2
	v_and_b32_e32 v1, v1, v4
	v_xor_b32_e32 v4, s25, v2
	v_xor_b32_e32 v6, s24, v2
	; wave barrier
	ds_read_b32 v28, v29 offset:16
	v_and_b32_e32 v2, v1, v4
	v_and_b32_e32 v1, v3, v6
	v_mbcnt_lo_u32_b32 v3, v1, 0
	v_mbcnt_hi_u32_b32 v6, v2, v3
	v_cmp_ne_u64_e64 s[24:25], 0, v[1:2]
	v_cmp_eq_u32_e64 s[26:27], 0, v6
	s_and_b64 s[26:27], s[24:25], s[26:27]
	; wave barrier
	s_and_saveexec_b64 s[24:25], s[26:27]
	s_cbranch_execz .LBB74_8
; %bb.7:                                ;   in Loop: Header=BB74_2 Depth=1
	v_bcnt_u32_b32 v1, v1, 0
	v_bcnt_u32_b32 v1, v2, v1
	s_waitcnt lgkmcnt(0)
	v_add_u32_e32 v1, v28, v1
	ds_write_b32 v29, v1 offset:16
.LBB74_8:                               ;   in Loop: Header=BB74_2 Depth=1
	s_or_b64 exec, exec, s[24:25]
	; wave barrier
	s_waitcnt lgkmcnt(0)
	s_barrier
	ds_read2_b64 v[1:4], v11 offset0:2 offset1:3
	s_waitcnt lgkmcnt(0)
	v_add_u32_e32 v30, v2, v1
	v_add3_u32 v4, v30, v3, v4
	s_nop 1
	v_mov_b32_dpp v30, v4 row_shr:1 row_mask:0xf bank_mask:0xf
	v_cndmask_b32_e64 v30, v30, 0, vcc
	v_add_u32_e32 v4, v30, v4
	s_nop 1
	v_mov_b32_dpp v30, v4 row_shr:2 row_mask:0xf bank_mask:0xf
	v_cndmask_b32_e64 v30, 0, v30, s[0:1]
	v_add_u32_e32 v4, v4, v30
	s_nop 1
	v_mov_b32_dpp v30, v4 row_shr:4 row_mask:0xf bank_mask:0xf
	v_cndmask_b32_e64 v30, 0, v30, s[2:3]
	;; [unrolled: 4-line block ×3, first 2 shown]
	v_add_u32_e32 v4, v4, v30
	s_nop 1
	v_mov_b32_dpp v30, v4 row_bcast:15 row_mask:0xf bank_mask:0xf
	v_cndmask_b32_e64 v30, v30, 0, s[6:7]
	v_add_u32_e32 v4, v4, v30
	s_nop 1
	v_mov_b32_dpp v30, v4 row_bcast:31 row_mask:0xf bank_mask:0xf
	v_cndmask_b32_e64 v30, 0, v30, s[8:9]
	v_add_u32_e32 v4, v4, v30
	s_and_saveexec_b64 s[24:25], s[10:11]
; %bb.9:                                ;   in Loop: Header=BB74_2 Depth=1
	ds_write_b32 v15, v4
; %bb.10:                               ;   in Loop: Header=BB74_2 Depth=1
	s_or_b64 exec, exec, s[24:25]
	s_waitcnt lgkmcnt(0)
	s_barrier
	s_and_saveexec_b64 s[24:25], s[12:13]
	s_cbranch_execz .LBB74_12
; %bb.11:                               ;   in Loop: Header=BB74_2 Depth=1
	v_add_u32_e32 v30, v14, v0
	ds_read_b32 v31, v30
	s_waitcnt lgkmcnt(0)
	s_nop 0
	v_mov_b32_dpp v32, v31 row_shr:1 row_mask:0xf bank_mask:0xf
	v_cndmask_b32_e64 v32, v32, 0, s[20:21]
	v_add_u32_e32 v31, v32, v31
	s_nop 1
	v_mov_b32_dpp v32, v31 row_shr:2 row_mask:0xf bank_mask:0xf
	v_cndmask_b32_e64 v32, 0, v32, s[22:23]
	v_add_u32_e32 v31, v31, v32
	ds_write_b32 v30, v31
.LBB74_12:                              ;   in Loop: Header=BB74_2 Depth=1
	s_or_b64 exec, exec, s[24:25]
	v_mov_b32_e32 v30, 0
	s_waitcnt lgkmcnt(0)
	s_barrier
	s_and_saveexec_b64 s[24:25], s[14:15]
	s_cbranch_execz .LBB74_1
; %bb.13:                               ;   in Loop: Header=BB74_2 Depth=1
	ds_read_b32 v30, v16
	s_branch .LBB74_1
.LBB74_14:
	s_add_u32 s0, s30, s33
	s_addc_u32 s1, s31, 0
	v_mov_b32_e32 v1, s1
	v_add_co_u32_e32 v0, vcc, s0, v0
	v_and_b32_e32 v2, 0xffff, v4
	v_addc_co_u32_e32 v1, vcc, 0, v1, vcc
	global_store_byte v[0:1], v3, off
	global_store_byte v[0:1], v2, off offset:256
	v_lshrrev_b16_e32 v2, 8, v2
	global_store_byte v[0:1], v2, off offset:512
	s_endpgm
	.section	.rodata,"a",@progbits
	.p2align	6, 0x0
	.amdhsa_kernel _Z16sort_keys_kernelI22helper_blocked_blockedaLj256ELj3ELj10EEvPKT0_PS1_
		.amdhsa_group_segment_fixed_size 4112
		.amdhsa_private_segment_fixed_size 0
		.amdhsa_kernarg_size 272
		.amdhsa_user_sgpr_count 6
		.amdhsa_user_sgpr_private_segment_buffer 1
		.amdhsa_user_sgpr_dispatch_ptr 0
		.amdhsa_user_sgpr_queue_ptr 0
		.amdhsa_user_sgpr_kernarg_segment_ptr 1
		.amdhsa_user_sgpr_dispatch_id 0
		.amdhsa_user_sgpr_flat_scratch_init 0
		.amdhsa_user_sgpr_private_segment_size 0
		.amdhsa_uses_dynamic_stack 0
		.amdhsa_system_sgpr_private_segment_wavefront_offset 0
		.amdhsa_system_sgpr_workgroup_id_x 1
		.amdhsa_system_sgpr_workgroup_id_y 0
		.amdhsa_system_sgpr_workgroup_id_z 0
		.amdhsa_system_sgpr_workgroup_info 0
		.amdhsa_system_vgpr_workitem_id 2
		.amdhsa_next_free_vgpr 33
		.amdhsa_next_free_sgpr 34
		.amdhsa_reserve_vcc 1
		.amdhsa_reserve_flat_scratch 0
		.amdhsa_float_round_mode_32 0
		.amdhsa_float_round_mode_16_64 0
		.amdhsa_float_denorm_mode_32 3
		.amdhsa_float_denorm_mode_16_64 3
		.amdhsa_dx10_clamp 1
		.amdhsa_ieee_mode 1
		.amdhsa_fp16_overflow 0
		.amdhsa_exception_fp_ieee_invalid_op 0
		.amdhsa_exception_fp_denorm_src 0
		.amdhsa_exception_fp_ieee_div_zero 0
		.amdhsa_exception_fp_ieee_overflow 0
		.amdhsa_exception_fp_ieee_underflow 0
		.amdhsa_exception_fp_ieee_inexact 0
		.amdhsa_exception_int_div_zero 0
	.end_amdhsa_kernel
	.section	.text._Z16sort_keys_kernelI22helper_blocked_blockedaLj256ELj3ELj10EEvPKT0_PS1_,"axG",@progbits,_Z16sort_keys_kernelI22helper_blocked_blockedaLj256ELj3ELj10EEvPKT0_PS1_,comdat
.Lfunc_end74:
	.size	_Z16sort_keys_kernelI22helper_blocked_blockedaLj256ELj3ELj10EEvPKT0_PS1_, .Lfunc_end74-_Z16sort_keys_kernelI22helper_blocked_blockedaLj256ELj3ELj10EEvPKT0_PS1_
                                        ; -- End function
	.set _Z16sort_keys_kernelI22helper_blocked_blockedaLj256ELj3ELj10EEvPKT0_PS1_.num_vgpr, 33
	.set _Z16sort_keys_kernelI22helper_blocked_blockedaLj256ELj3ELj10EEvPKT0_PS1_.num_agpr, 0
	.set _Z16sort_keys_kernelI22helper_blocked_blockedaLj256ELj3ELj10EEvPKT0_PS1_.numbered_sgpr, 34
	.set _Z16sort_keys_kernelI22helper_blocked_blockedaLj256ELj3ELj10EEvPKT0_PS1_.num_named_barrier, 0
	.set _Z16sort_keys_kernelI22helper_blocked_blockedaLj256ELj3ELj10EEvPKT0_PS1_.private_seg_size, 0
	.set _Z16sort_keys_kernelI22helper_blocked_blockedaLj256ELj3ELj10EEvPKT0_PS1_.uses_vcc, 1
	.set _Z16sort_keys_kernelI22helper_blocked_blockedaLj256ELj3ELj10EEvPKT0_PS1_.uses_flat_scratch, 0
	.set _Z16sort_keys_kernelI22helper_blocked_blockedaLj256ELj3ELj10EEvPKT0_PS1_.has_dyn_sized_stack, 0
	.set _Z16sort_keys_kernelI22helper_blocked_blockedaLj256ELj3ELj10EEvPKT0_PS1_.has_recursion, 0
	.set _Z16sort_keys_kernelI22helper_blocked_blockedaLj256ELj3ELj10EEvPKT0_PS1_.has_indirect_call, 0
	.section	.AMDGPU.csdata,"",@progbits
; Kernel info:
; codeLenInByte = 2228
; TotalNumSgprs: 38
; NumVgprs: 33
; ScratchSize: 0
; MemoryBound: 0
; FloatMode: 240
; IeeeMode: 1
; LDSByteSize: 4112 bytes/workgroup (compile time only)
; SGPRBlocks: 4
; VGPRBlocks: 8
; NumSGPRsForWavesPerEU: 38
; NumVGPRsForWavesPerEU: 33
; Occupancy: 7
; WaveLimiterHint : 1
; COMPUTE_PGM_RSRC2:SCRATCH_EN: 0
; COMPUTE_PGM_RSRC2:USER_SGPR: 6
; COMPUTE_PGM_RSRC2:TRAP_HANDLER: 0
; COMPUTE_PGM_RSRC2:TGID_X_EN: 1
; COMPUTE_PGM_RSRC2:TGID_Y_EN: 0
; COMPUTE_PGM_RSRC2:TGID_Z_EN: 0
; COMPUTE_PGM_RSRC2:TIDIG_COMP_CNT: 2
	.section	.text._Z17sort_pairs_kernelI22helper_blocked_blockedaLj256ELj3ELj10EEvPKT0_PS1_,"axG",@progbits,_Z17sort_pairs_kernelI22helper_blocked_blockedaLj256ELj3ELj10EEvPKT0_PS1_,comdat
	.protected	_Z17sort_pairs_kernelI22helper_blocked_blockedaLj256ELj3ELj10EEvPKT0_PS1_ ; -- Begin function _Z17sort_pairs_kernelI22helper_blocked_blockedaLj256ELj3ELj10EEvPKT0_PS1_
	.globl	_Z17sort_pairs_kernelI22helper_blocked_blockedaLj256ELj3ELj10EEvPKT0_PS1_
	.p2align	8
	.type	_Z17sort_pairs_kernelI22helper_blocked_blockedaLj256ELj3ELj10EEvPKT0_PS1_,@function
_Z17sort_pairs_kernelI22helper_blocked_blockedaLj256ELj3ELj10EEvPKT0_PS1_: ; @_Z17sort_pairs_kernelI22helper_blocked_blockedaLj256ELj3ELj10EEvPKT0_PS1_
; %bb.0:
	s_load_dwordx4 s[28:31], s[4:5], 0x0
	s_load_dword s34, s[4:5], 0x1c
	s_mul_i32 s33, s6, 0x300
	v_mbcnt_lo_u32_b32 v7, -1, 0
	v_mbcnt_hi_u32_b32 v15, -1, v7
	s_waitcnt lgkmcnt(0)
	s_add_u32 s0, s28, s33
	s_addc_u32 s1, s29, 0
	global_load_ubyte v3, v0, s[0:1]
	global_load_ubyte v4, v0, s[0:1] offset:256
	global_load_ubyte v6, v0, s[0:1] offset:512
	v_subrev_co_u32_e64 v17, s[8:9], 1, v15
	v_and_b32_e32 v18, 64, v15
	v_cmp_lt_i32_e64 s[24:25], v17, v18
	v_cndmask_b32_e64 v17, v17, v15, s[24:25]
	s_lshr_b32 s24, s34, 16
	s_and_b32 s25, s34, 0xffff
	v_mad_u32_u24 v1, v2, s24, v1
	v_mad_u64_u32 v[1:2], s[24:25], v1, s25, v[0:1]
	v_lshrrev_b32_e32 v7, 6, v0
	v_mul_u32_u24_e32 v16, 0xc0, v7
	v_mul_u32_u24_e32 v14, 3, v15
	v_lshrrev_b32_e32 v1, 4, v1
	v_and_b32_e32 v9, 15, v15
	v_and_b32_e32 v10, 16, v15
	v_cmp_lt_u32_e64 s[4:5], 31, v15
	v_and_b32_e32 v19, 3, v15
	v_add_u32_e32 v14, v14, v16
	v_add_u32_e32 v15, v15, v16
	v_lshlrev_b32_e32 v16, 2, v17
	v_and_b32_e32 v17, 0xffffffc, v1
	s_mov_b32 s20, 0
	v_or_b32_e32 v8, 63, v0
	s_mov_b32 s26, s20
	v_lshlrev_b32_e32 v11, 4, v0
	s_mov_b32 s21, s20
	s_mov_b32 s27, s20
	v_cmp_eq_u32_e64 s[6:7], v0, v8
	v_lshlrev_b32_e32 v13, 2, v7
	v_cmp_eq_u32_e64 s[10:11], 0, v9
	v_cmp_lt_u32_e64 s[12:13], 1, v9
	v_cmp_lt_u32_e64 s[14:15], 3, v9
	;; [unrolled: 1-line block ×3, first 2 shown]
	v_cmp_eq_u32_e64 s[18:19], 0, v10
	v_mov_b32_e32 v7, s20
	v_mov_b32_e32 v9, s26
	;; [unrolled: 1-line block ×3, first 2 shown]
	s_mov_b32 s28, 10
	s_mov_b32 s29, 0xc0c0104
	v_cmp_gt_u32_e32 vcc, 4, v0
	v_cmp_lt_u32_e64 s[0:1], 63, v0
	v_cmp_eq_u32_e64 s[2:3], 0, v0
	v_mad_i32_i24 v12, v0, -13, v11
	v_mov_b32_e32 v8, s21
	v_cmp_eq_u32_e64 s[20:21], 0, v19
	v_cmp_lt_u32_e64 s[22:23], 1, v19
	v_mov_b32_e32 v10, s27
	v_mov_b32_e32 v18, 4
	s_waitcnt vmcnt(2)
	v_add_u16_e32 v1, 1, v3
	s_waitcnt vmcnt(1)
	v_lshlrev_b16_e32 v2, 8, v4
	v_or_b32_sdwa v1, v2, v1 dst_sel:DWORD dst_unused:UNUSED_PAD src0_sel:DWORD src1_sel:BYTE_0
	s_waitcnt vmcnt(0)
	v_add_u16_e32 v2, 1, v6
	v_and_b32_e32 v2, 0xff, v2
	v_add_u16_e32 v1, 0x100, v1
	v_lshlrev_b32_e32 v2, 16, v2
	v_or_b32_e32 v1, v1, v2
	s_branch .LBB75_2
.LBB75_1:                               ;   in Loop: Header=BB75_2 Depth=1
	s_or_b64 exec, exec, s[24:25]
	s_waitcnt lgkmcnt(0)
	v_add_u32_e32 v4, v32, v4
	ds_bpermute_b32 v4, v16, v4
	s_add_i32 s28, s28, -1
	s_cmp_eq_u32 s28, 0
	s_waitcnt lgkmcnt(0)
	v_cndmask_b32_e64 v4, v4, v32, s[8:9]
	v_cndmask_b32_e64 v32, v4, 0, s[2:3]
	v_add_u32_e32 v33, v32, v1
	v_add_u32_e32 v1, v33, v2
	;; [unrolled: 1-line block ×3, first 2 shown]
	ds_write2_b64 v11, v[32:33], v[1:2] offset0:2 offset1:3
	s_waitcnt lgkmcnt(0)
	s_barrier
	ds_read_b32 v1, v26 offset:16
	ds_read_b32 v2, v28 offset:16
	;; [unrolled: 1-line block ×3, first 2 shown]
	s_waitcnt lgkmcnt(0)
	s_barrier
	v_add_u32_e32 v1, v1, v25
	v_add3_u32 v2, v29, v27, v2
	v_add3_u32 v3, v6, v30, v3
	ds_write_b8 v1, v21
	ds_write_b8 v2, v20
	ds_write_b8 v3, v19
	s_waitcnt lgkmcnt(0)
	s_barrier
	ds_read_u8 v4, v12
	ds_read_u16 v6, v12 offset:1
	s_waitcnt lgkmcnt(0)
	s_barrier
	ds_write_b8 v1, v22
	ds_write_b8 v2, v23
	;; [unrolled: 1-line block ×3, first 2 shown]
	s_waitcnt lgkmcnt(0)
	s_barrier
	ds_read_u16 v2, v12 offset:1
	ds_read_u8 v19, v12
	v_xor_b32_e32 v3, 0xffffff80, v4
	s_waitcnt lgkmcnt(1)
	v_lshlrev_b16_e32 v1, 8, v2
	v_lshrrev_b16_e32 v4, 8, v2
	v_lshlrev_b32_e32 v4, 16, v4
	s_waitcnt lgkmcnt(0)
	v_perm_b32 v1, v19, v1, s29
	v_or_b32_e32 v1, v1, v4
	v_and_b32_e32 v4, 0xffffff00, v6
	v_xor_b32_e32 v20, 0xffff8000, v4
	v_xor_b32_e32 v4, 0x80, v6
	v_or_b32_sdwa v4, v4, v20 dst_sel:DWORD dst_unused:UNUSED_PAD src0_sel:BYTE_0 src1_sel:DWORD
	v_lshrrev_b16_e32 v6, 8, v20
	s_cbranch_scc1 .LBB75_14
.LBB75_2:                               ; =>This Inner Loop Header: Depth=1
	v_xor_b32_e32 v2, 0x80, v3
	v_xor_b32_e32 v3, 0x80, v4
	;; [unrolled: 1-line block ×3, first 2 shown]
	ds_write_b8 v14, v2
	ds_write_b8 v14, v3 offset:1
	ds_write_b8 v14, v4 offset:2
	; wave barrier
	ds_read_u8 v21, v15
	ds_read_u8 v20, v15 offset:64
	ds_read_u8 v19, v15 offset:128
	v_lshrrev_b32_e32 v2, 8, v1
	; wave barrier
	ds_write_b8 v14, v1
	ds_write_b8 v14, v2 offset:1
	ds_write_b8_d16_hi v14, v1 offset:2
	s_waitcnt lgkmcnt(5)
	v_and_b32_e32 v1, 1, v21
	v_add_co_u32_e64 v2, s[24:25], -1, v1
	v_addc_co_u32_e64 v3, s[24:25], 0, -1, s[24:25]
	v_cmp_ne_u32_e64 s[24:25], 0, v1
	v_lshlrev_b32_e32 v6, 30, v21
	v_xor_b32_e32 v1, s25, v3
	v_xor_b32_e32 v2, s24, v2
	v_cmp_gt_i64_e64 s[24:25], 0, v[5:6]
	v_not_b32_e32 v3, v6
	v_ashrrev_i32_e32 v3, 31, v3
	v_and_b32_e32 v2, exec_lo, v2
	v_xor_b32_e32 v4, s25, v3
	v_xor_b32_e32 v3, s24, v3
	v_lshlrev_b32_e32 v6, 29, v21
	v_and_b32_e32 v2, v2, v3
	v_cmp_gt_i64_e64 s[24:25], 0, v[5:6]
	v_not_b32_e32 v3, v6
	v_and_b32_e32 v1, exec_hi, v1
	v_ashrrev_i32_e32 v3, 31, v3
	v_and_b32_e32 v1, v1, v4
	v_xor_b32_e32 v4, s25, v3
	v_xor_b32_e32 v3, s24, v3
	v_lshlrev_b32_e32 v6, 28, v21
	v_and_b32_e32 v2, v2, v3
	v_cmp_gt_i64_e64 s[24:25], 0, v[5:6]
	v_not_b32_e32 v3, v6
	v_ashrrev_i32_e32 v3, 31, v3
	v_and_b32_e32 v1, v1, v4
	v_xor_b32_e32 v4, s25, v3
	v_xor_b32_e32 v3, s24, v3
	v_lshlrev_b32_e32 v6, 27, v21
	v_and_b32_e32 v2, v2, v3
	v_cmp_gt_i64_e64 s[24:25], 0, v[5:6]
	v_not_b32_e32 v3, v6
	;; [unrolled: 8-line block ×5, first 2 shown]
	v_ashrrev_i32_e32 v2, 31, v2
	; wave barrier
	v_and_b32_e32 v1, v1, v4
	v_xor_b32_e32 v4, s25, v2
	v_xor_b32_e32 v6, s24, v2
	ds_read_u8 v22, v15
	ds_read_u8 v23, v15 offset:64
	ds_read_u8 v24, v15 offset:128
	v_and_b32_e32 v2, v1, v4
	v_and_b32_e32 v1, v3, v6
	v_mbcnt_lo_u32_b32 v3, v1, 0
	v_mbcnt_hi_u32_b32 v25, v2, v3
	v_cmp_ne_u64_e64 s[24:25], 0, v[1:2]
	v_cmp_eq_u32_e64 s[26:27], 0, v25
	v_lshlrev_b32_sdwa v3, v18, v21 dst_sel:DWORD dst_unused:UNUSED_PAD src0_sel:DWORD src1_sel:BYTE_0
	s_and_b64 s[26:27], s[24:25], s[26:27]
	v_add_u32_e32 v26, v17, v3
	s_waitcnt lgkmcnt(0)
	s_barrier
	ds_write2_b64 v11, v[7:8], v[9:10] offset0:2 offset1:3
	s_waitcnt lgkmcnt(0)
	s_barrier
	; wave barrier
	s_and_saveexec_b64 s[24:25], s[26:27]
; %bb.3:                                ;   in Loop: Header=BB75_2 Depth=1
	v_bcnt_u32_b32 v1, v1, 0
	v_bcnt_u32_b32 v1, v2, v1
	ds_write_b32 v26, v1 offset:16
; %bb.4:                                ;   in Loop: Header=BB75_2 Depth=1
	s_or_b64 exec, exec, s[24:25]
	v_lshlrev_b32_sdwa v1, v18, v20 dst_sel:DWORD dst_unused:UNUSED_PAD src0_sel:DWORD src1_sel:BYTE_0
	v_add_u32_e32 v28, v17, v1
	v_and_b32_e32 v1, 1, v20
	v_add_co_u32_e64 v2, s[24:25], -1, v1
	v_addc_co_u32_e64 v3, s[24:25], 0, -1, s[24:25]
	v_cmp_ne_u32_e64 s[24:25], 0, v1
	v_lshlrev_b32_e32 v6, 30, v20
	v_xor_b32_e32 v1, s25, v3
	v_xor_b32_e32 v2, s24, v2
	v_cmp_gt_i64_e64 s[24:25], 0, v[5:6]
	v_not_b32_e32 v3, v6
	v_ashrrev_i32_e32 v3, 31, v3
	v_and_b32_e32 v2, exec_lo, v2
	v_xor_b32_e32 v4, s25, v3
	v_xor_b32_e32 v3, s24, v3
	v_lshlrev_b32_e32 v6, 29, v20
	v_and_b32_e32 v2, v2, v3
	v_cmp_gt_i64_e64 s[24:25], 0, v[5:6]
	v_not_b32_e32 v3, v6
	v_and_b32_e32 v1, exec_hi, v1
	v_ashrrev_i32_e32 v3, 31, v3
	v_and_b32_e32 v1, v1, v4
	v_xor_b32_e32 v4, s25, v3
	v_xor_b32_e32 v3, s24, v3
	v_lshlrev_b32_e32 v6, 28, v20
	v_and_b32_e32 v2, v2, v3
	v_cmp_gt_i64_e64 s[24:25], 0, v[5:6]
	v_not_b32_e32 v3, v6
	v_ashrrev_i32_e32 v3, 31, v3
	v_and_b32_e32 v1, v1, v4
	v_xor_b32_e32 v4, s25, v3
	v_xor_b32_e32 v3, s24, v3
	v_lshlrev_b32_e32 v6, 27, v20
	v_and_b32_e32 v2, v2, v3
	v_cmp_gt_i64_e64 s[24:25], 0, v[5:6]
	v_not_b32_e32 v3, v6
	;; [unrolled: 8-line block ×5, first 2 shown]
	v_ashrrev_i32_e32 v2, 31, v2
	v_and_b32_e32 v1, v1, v4
	v_xor_b32_e32 v4, s25, v2
	v_xor_b32_e32 v6, s24, v2
	; wave barrier
	ds_read_b32 v27, v28 offset:16
	v_and_b32_e32 v2, v1, v4
	v_and_b32_e32 v1, v3, v6
	v_mbcnt_lo_u32_b32 v3, v1, 0
	v_mbcnt_hi_u32_b32 v29, v2, v3
	v_cmp_ne_u64_e64 s[24:25], 0, v[1:2]
	v_cmp_eq_u32_e64 s[26:27], 0, v29
	s_and_b64 s[26:27], s[24:25], s[26:27]
	; wave barrier
	s_and_saveexec_b64 s[24:25], s[26:27]
	s_cbranch_execz .LBB75_6
; %bb.5:                                ;   in Loop: Header=BB75_2 Depth=1
	v_bcnt_u32_b32 v1, v1, 0
	v_bcnt_u32_b32 v1, v2, v1
	s_waitcnt lgkmcnt(0)
	v_add_u32_e32 v1, v27, v1
	ds_write_b32 v28, v1 offset:16
.LBB75_6:                               ;   in Loop: Header=BB75_2 Depth=1
	s_or_b64 exec, exec, s[24:25]
	v_lshlrev_b32_sdwa v1, v18, v19 dst_sel:DWORD dst_unused:UNUSED_PAD src0_sel:DWORD src1_sel:BYTE_0
	v_add_u32_e32 v31, v17, v1
	v_and_b32_e32 v1, 1, v19
	v_add_co_u32_e64 v2, s[24:25], -1, v1
	v_addc_co_u32_e64 v3, s[24:25], 0, -1, s[24:25]
	v_cmp_ne_u32_e64 s[24:25], 0, v1
	v_lshlrev_b32_e32 v6, 30, v19
	v_xor_b32_e32 v1, s25, v3
	v_xor_b32_e32 v2, s24, v2
	v_cmp_gt_i64_e64 s[24:25], 0, v[5:6]
	v_not_b32_e32 v3, v6
	v_ashrrev_i32_e32 v3, 31, v3
	v_and_b32_e32 v2, exec_lo, v2
	v_xor_b32_e32 v4, s25, v3
	v_xor_b32_e32 v3, s24, v3
	v_lshlrev_b32_e32 v6, 29, v19
	v_and_b32_e32 v2, v2, v3
	v_cmp_gt_i64_e64 s[24:25], 0, v[5:6]
	v_not_b32_e32 v3, v6
	v_and_b32_e32 v1, exec_hi, v1
	v_ashrrev_i32_e32 v3, 31, v3
	v_and_b32_e32 v1, v1, v4
	v_xor_b32_e32 v4, s25, v3
	v_xor_b32_e32 v3, s24, v3
	v_lshlrev_b32_e32 v6, 28, v19
	v_and_b32_e32 v2, v2, v3
	v_cmp_gt_i64_e64 s[24:25], 0, v[5:6]
	v_not_b32_e32 v3, v6
	v_ashrrev_i32_e32 v3, 31, v3
	v_and_b32_e32 v1, v1, v4
	v_xor_b32_e32 v4, s25, v3
	v_xor_b32_e32 v3, s24, v3
	v_lshlrev_b32_e32 v6, 27, v19
	v_and_b32_e32 v2, v2, v3
	v_cmp_gt_i64_e64 s[24:25], 0, v[5:6]
	v_not_b32_e32 v3, v6
	;; [unrolled: 8-line block ×5, first 2 shown]
	v_ashrrev_i32_e32 v2, 31, v2
	v_and_b32_e32 v1, v1, v4
	v_xor_b32_e32 v4, s25, v2
	v_xor_b32_e32 v6, s24, v2
	; wave barrier
	ds_read_b32 v30, v31 offset:16
	v_and_b32_e32 v2, v1, v4
	v_and_b32_e32 v1, v3, v6
	v_mbcnt_lo_u32_b32 v3, v1, 0
	v_mbcnt_hi_u32_b32 v6, v2, v3
	v_cmp_ne_u64_e64 s[24:25], 0, v[1:2]
	v_cmp_eq_u32_e64 s[26:27], 0, v6
	s_and_b64 s[26:27], s[24:25], s[26:27]
	; wave barrier
	s_and_saveexec_b64 s[24:25], s[26:27]
	s_cbranch_execz .LBB75_8
; %bb.7:                                ;   in Loop: Header=BB75_2 Depth=1
	v_bcnt_u32_b32 v1, v1, 0
	v_bcnt_u32_b32 v1, v2, v1
	s_waitcnt lgkmcnt(0)
	v_add_u32_e32 v1, v30, v1
	ds_write_b32 v31, v1 offset:16
.LBB75_8:                               ;   in Loop: Header=BB75_2 Depth=1
	s_or_b64 exec, exec, s[24:25]
	; wave barrier
	s_waitcnt lgkmcnt(0)
	s_barrier
	ds_read2_b64 v[1:4], v11 offset0:2 offset1:3
	s_waitcnt lgkmcnt(0)
	v_add_u32_e32 v32, v2, v1
	v_add3_u32 v4, v32, v3, v4
	s_nop 1
	v_mov_b32_dpp v32, v4 row_shr:1 row_mask:0xf bank_mask:0xf
	v_cndmask_b32_e64 v32, v32, 0, s[10:11]
	v_add_u32_e32 v4, v32, v4
	s_nop 1
	v_mov_b32_dpp v32, v4 row_shr:2 row_mask:0xf bank_mask:0xf
	v_cndmask_b32_e64 v32, 0, v32, s[12:13]
	v_add_u32_e32 v4, v4, v32
	;; [unrolled: 4-line block ×4, first 2 shown]
	s_nop 1
	v_mov_b32_dpp v32, v4 row_bcast:15 row_mask:0xf bank_mask:0xf
	v_cndmask_b32_e64 v32, v32, 0, s[18:19]
	v_add_u32_e32 v4, v4, v32
	s_nop 1
	v_mov_b32_dpp v32, v4 row_bcast:31 row_mask:0xf bank_mask:0xf
	v_cndmask_b32_e64 v32, 0, v32, s[4:5]
	v_add_u32_e32 v4, v4, v32
	s_and_saveexec_b64 s[24:25], s[6:7]
; %bb.9:                                ;   in Loop: Header=BB75_2 Depth=1
	ds_write_b32 v13, v4
; %bb.10:                               ;   in Loop: Header=BB75_2 Depth=1
	s_or_b64 exec, exec, s[24:25]
	s_waitcnt lgkmcnt(0)
	s_barrier
	s_and_saveexec_b64 s[24:25], vcc
	s_cbranch_execz .LBB75_12
; %bb.11:                               ;   in Loop: Header=BB75_2 Depth=1
	v_add_u32_e32 v32, v12, v0
	ds_read_b32 v33, v32
	s_waitcnt lgkmcnt(0)
	s_nop 0
	v_mov_b32_dpp v34, v33 row_shr:1 row_mask:0xf bank_mask:0xf
	v_cndmask_b32_e64 v34, v34, 0, s[20:21]
	v_add_u32_e32 v33, v34, v33
	s_nop 1
	v_mov_b32_dpp v34, v33 row_shr:2 row_mask:0xf bank_mask:0xf
	v_cndmask_b32_e64 v34, 0, v34, s[22:23]
	v_add_u32_e32 v33, v33, v34
	ds_write_b32 v32, v33
.LBB75_12:                              ;   in Loop: Header=BB75_2 Depth=1
	s_or_b64 exec, exec, s[24:25]
	v_mov_b32_e32 v32, 0
	s_waitcnt lgkmcnt(0)
	s_barrier
	s_and_saveexec_b64 s[24:25], s[0:1]
	s_cbranch_execz .LBB75_1
; %bb.13:                               ;   in Loop: Header=BB75_2 Depth=1
	v_add_u32_e32 v32, -4, v13
	ds_read_b32 v32, v32
	s_branch .LBB75_1
.LBB75_14:
	s_add_u32 s0, s30, s33
	s_addc_u32 s1, s31, 0
	v_mov_b32_e32 v1, s1
	v_add_co_u32_e32 v0, vcc, s0, v0
	v_add_u16_e32 v3, v3, v19
	v_addc_co_u32_e32 v1, vcc, 0, v1, vcc
	v_add_u16_sdwa v5, v6, v2 dst_sel:DWORD dst_unused:UNUSED_PAD src0_sel:DWORD src1_sel:BYTE_1
	v_add_u16_e32 v2, v4, v2
	global_store_byte v[0:1], v3, off
	global_store_byte v[0:1], v2, off offset:256
	global_store_byte v[0:1], v5, off offset:512
	s_endpgm
	.section	.rodata,"a",@progbits
	.p2align	6, 0x0
	.amdhsa_kernel _Z17sort_pairs_kernelI22helper_blocked_blockedaLj256ELj3ELj10EEvPKT0_PS1_
		.amdhsa_group_segment_fixed_size 4112
		.amdhsa_private_segment_fixed_size 0
		.amdhsa_kernarg_size 272
		.amdhsa_user_sgpr_count 6
		.amdhsa_user_sgpr_private_segment_buffer 1
		.amdhsa_user_sgpr_dispatch_ptr 0
		.amdhsa_user_sgpr_queue_ptr 0
		.amdhsa_user_sgpr_kernarg_segment_ptr 1
		.amdhsa_user_sgpr_dispatch_id 0
		.amdhsa_user_sgpr_flat_scratch_init 0
		.amdhsa_user_sgpr_private_segment_size 0
		.amdhsa_uses_dynamic_stack 0
		.amdhsa_system_sgpr_private_segment_wavefront_offset 0
		.amdhsa_system_sgpr_workgroup_id_x 1
		.amdhsa_system_sgpr_workgroup_id_y 0
		.amdhsa_system_sgpr_workgroup_id_z 0
		.amdhsa_system_sgpr_workgroup_info 0
		.amdhsa_system_vgpr_workitem_id 2
		.amdhsa_next_free_vgpr 35
		.amdhsa_next_free_sgpr 35
		.amdhsa_reserve_vcc 1
		.amdhsa_reserve_flat_scratch 0
		.amdhsa_float_round_mode_32 0
		.amdhsa_float_round_mode_16_64 0
		.amdhsa_float_denorm_mode_32 3
		.amdhsa_float_denorm_mode_16_64 3
		.amdhsa_dx10_clamp 1
		.amdhsa_ieee_mode 1
		.amdhsa_fp16_overflow 0
		.amdhsa_exception_fp_ieee_invalid_op 0
		.amdhsa_exception_fp_denorm_src 0
		.amdhsa_exception_fp_ieee_div_zero 0
		.amdhsa_exception_fp_ieee_overflow 0
		.amdhsa_exception_fp_ieee_underflow 0
		.amdhsa_exception_fp_ieee_inexact 0
		.amdhsa_exception_int_div_zero 0
	.end_amdhsa_kernel
	.section	.text._Z17sort_pairs_kernelI22helper_blocked_blockedaLj256ELj3ELj10EEvPKT0_PS1_,"axG",@progbits,_Z17sort_pairs_kernelI22helper_blocked_blockedaLj256ELj3ELj10EEvPKT0_PS1_,comdat
.Lfunc_end75:
	.size	_Z17sort_pairs_kernelI22helper_blocked_blockedaLj256ELj3ELj10EEvPKT0_PS1_, .Lfunc_end75-_Z17sort_pairs_kernelI22helper_blocked_blockedaLj256ELj3ELj10EEvPKT0_PS1_
                                        ; -- End function
	.set _Z17sort_pairs_kernelI22helper_blocked_blockedaLj256ELj3ELj10EEvPKT0_PS1_.num_vgpr, 35
	.set _Z17sort_pairs_kernelI22helper_blocked_blockedaLj256ELj3ELj10EEvPKT0_PS1_.num_agpr, 0
	.set _Z17sort_pairs_kernelI22helper_blocked_blockedaLj256ELj3ELj10EEvPKT0_PS1_.numbered_sgpr, 35
	.set _Z17sort_pairs_kernelI22helper_blocked_blockedaLj256ELj3ELj10EEvPKT0_PS1_.num_named_barrier, 0
	.set _Z17sort_pairs_kernelI22helper_blocked_blockedaLj256ELj3ELj10EEvPKT0_PS1_.private_seg_size, 0
	.set _Z17sort_pairs_kernelI22helper_blocked_blockedaLj256ELj3ELj10EEvPKT0_PS1_.uses_vcc, 1
	.set _Z17sort_pairs_kernelI22helper_blocked_blockedaLj256ELj3ELj10EEvPKT0_PS1_.uses_flat_scratch, 0
	.set _Z17sort_pairs_kernelI22helper_blocked_blockedaLj256ELj3ELj10EEvPKT0_PS1_.has_dyn_sized_stack, 0
	.set _Z17sort_pairs_kernelI22helper_blocked_blockedaLj256ELj3ELj10EEvPKT0_PS1_.has_recursion, 0
	.set _Z17sort_pairs_kernelI22helper_blocked_blockedaLj256ELj3ELj10EEvPKT0_PS1_.has_indirect_call, 0
	.section	.AMDGPU.csdata,"",@progbits
; Kernel info:
; codeLenInByte = 2424
; TotalNumSgprs: 39
; NumVgprs: 35
; ScratchSize: 0
; MemoryBound: 0
; FloatMode: 240
; IeeeMode: 1
; LDSByteSize: 4112 bytes/workgroup (compile time only)
; SGPRBlocks: 4
; VGPRBlocks: 8
; NumSGPRsForWavesPerEU: 39
; NumVGPRsForWavesPerEU: 35
; Occupancy: 7
; WaveLimiterHint : 1
; COMPUTE_PGM_RSRC2:SCRATCH_EN: 0
; COMPUTE_PGM_RSRC2:USER_SGPR: 6
; COMPUTE_PGM_RSRC2:TRAP_HANDLER: 0
; COMPUTE_PGM_RSRC2:TGID_X_EN: 1
; COMPUTE_PGM_RSRC2:TGID_Y_EN: 0
; COMPUTE_PGM_RSRC2:TGID_Z_EN: 0
; COMPUTE_PGM_RSRC2:TIDIG_COMP_CNT: 2
	.section	.text._Z16sort_keys_kernelI22helper_blocked_blockedaLj256ELj4ELj10EEvPKT0_PS1_,"axG",@progbits,_Z16sort_keys_kernelI22helper_blocked_blockedaLj256ELj4ELj10EEvPKT0_PS1_,comdat
	.protected	_Z16sort_keys_kernelI22helper_blocked_blockedaLj256ELj4ELj10EEvPKT0_PS1_ ; -- Begin function _Z16sort_keys_kernelI22helper_blocked_blockedaLj256ELj4ELj10EEvPKT0_PS1_
	.globl	_Z16sort_keys_kernelI22helper_blocked_blockedaLj256ELj4ELj10EEvPKT0_PS1_
	.p2align	8
	.type	_Z16sort_keys_kernelI22helper_blocked_blockedaLj256ELj4ELj10EEvPKT0_PS1_,@function
_Z16sort_keys_kernelI22helper_blocked_blockedaLj256ELj4ELj10EEvPKT0_PS1_: ; @_Z16sort_keys_kernelI22helper_blocked_blockedaLj256ELj4ELj10EEvPKT0_PS1_
; %bb.0:
	s_load_dwordx4 s[36:39], s[4:5], 0x0
	s_load_dword s7, s[4:5], 0x1c
	s_lshl_b32 s33, s6, 10
	v_mbcnt_lo_u32_b32 v7, -1, 0
	v_mbcnt_hi_u32_b32 v7, -1, v7
	s_waitcnt lgkmcnt(0)
	s_add_u32 s0, s36, s33
	s_addc_u32 s1, s37, 0
	global_load_ubyte v6, v0, s[0:1] offset:768
	global_load_ubyte v3, v0, s[0:1] offset:512
	global_load_ubyte v22, v0, s[0:1] offset:256
	global_load_ubyte v4, v0, s[0:1]
	s_lshr_b32 s6, s7, 16
	s_and_b32 s7, s7, 0xffff
	v_mad_u32_u24 v1, v2, s6, v1
	v_mad_u64_u32 v[1:2], s[6:7], v1, s7, v[0:1]
	v_lshrrev_b32_e32 v8, 2, v7
	v_and_b32_e32 v10, 64, v7
	v_lshrrev_b32_e32 v1, 4, v1
	v_and_b32_e32 v16, 0xffffffc, v1
	v_and_b32_e32 v1, 15, v7
	v_cmp_eq_u32_e64 s[6:7], 0, v1
	v_cmp_lt_u32_e64 s[8:9], 1, v1
	v_cmp_lt_u32_e64 s[10:11], 3, v1
	;; [unrolled: 1-line block ×3, first 2 shown]
	v_and_b32_e32 v1, 16, v7
	v_cmp_eq_u32_e64 s[14:15], 0, v1
	v_or_b32_e32 v1, 63, v0
	v_cmp_eq_u32_e64 s[18:19], v0, v1
	v_subrev_co_u32_e64 v1, s[24:25], 1, v7
	s_mov_b32 s30, 0
	v_or_b32_e32 v11, v8, v10
	v_add_u32_e32 v8, 48, v8
	v_cmp_lt_i32_e64 s[26:27], v1, v10
	v_and_b32_e32 v9, 3, v7
	v_and_or_b32 v8, v8, 63, v10
	v_cndmask_b32_e64 v1, v1, v7, s[26:27]
	v_lshrrev_b32_e32 v2, 4, v0
	s_mov_b32 s34, s30
	v_cmp_eq_u32_e32 vcc, 3, v9
	v_cmp_eq_u32_e64 s[0:1], 2, v9
	v_cmp_eq_u32_e64 s[2:3], 1, v9
	;; [unrolled: 1-line block ×3, first 2 shown]
	v_lshlrev_b32_e32 v11, 2, v11
	v_lshlrev_b32_e32 v14, 2, v8
	;; [unrolled: 1-line block ×3, first 2 shown]
	v_cmp_lt_u32_e64 s[16:17], 31, v7
	v_lshlrev_b32_e32 v17, 2, v1
	v_mul_i32_i24_e32 v1, -12, v0
	v_and_b32_e32 v18, 12, v2
	v_cmp_lt_u32_e64 s[28:29], 1, v9
	s_mov_b32 s31, s30
	s_mov_b32 s35, s30
	v_mov_b32_e32 v7, s30
	v_mov_b32_e32 v9, s34
	s_mov_b32 s36, 10
	v_mov_b32_e32 v5, 0
	v_add_u32_e32 v12, 64, v11
	s_movk_i32 s37, 0x80
	v_or_b32_e32 v13, 0x80, v11
	s_mov_b32 s40, 0xffff
	v_cmp_gt_u32_e64 s[20:21], 4, v0
	v_cmp_lt_u32_e64 s[22:23], 63, v0
	v_cmp_eq_u32_e64 s[26:27], 0, v0
	v_add_u32_e32 v19, -4, v18
	s_movk_i32 s41, 0xff
	s_mov_b32 s42, 0x3020104
	s_mov_b32 s43, 0xffff0000
	;; [unrolled: 1-line block ×3, first 2 shown]
	v_mov_b32_e32 v8, s31
	s_movk_i32 s45, 0xff00
	v_add_u32_e32 v20, v15, v1
	v_mov_b32_e32 v21, 4
	v_mov_b32_e32 v10, s35
	s_branch .LBB76_2
.LBB76_1:                               ;   in Loop: Header=BB76_2 Depth=1
	s_or_b64 exec, exec, s[30:31]
	s_waitcnt lgkmcnt(0)
	v_add_u32_e32 v4, v36, v4
	ds_bpermute_b32 v4, v17, v4
	s_add_i32 s36, s36, -1
	s_cmp_eq_u32 s36, 0
	s_waitcnt lgkmcnt(0)
	v_cndmask_b32_e64 v4, v4, v36, s[24:25]
	v_cndmask_b32_e64 v36, v4, 0, s[26:27]
	v_add_u32_e32 v37, v36, v1
	v_add_u32_e32 v1, v37, v2
	;; [unrolled: 1-line block ×3, first 2 shown]
	ds_write2_b64 v15, v[36:37], v[1:2] offset0:2 offset1:3
	s_waitcnt lgkmcnt(0)
	s_barrier
	ds_read_b32 v1, v24 offset:16
	ds_read_b32 v2, v27 offset:16
	;; [unrolled: 1-line block ×4, first 2 shown]
	s_waitcnt lgkmcnt(0)
	v_add_u32_e32 v1, v1, v23
	s_barrier
	ds_write_b8 v1, v22
	v_add3_u32 v1, v28, v26, v2
	ds_write_b8 v1, v25
	v_add3_u32 v1, v32, v30, v3
	;; [unrolled: 2-line block ×3, first 2 shown]
	ds_write_b8 v1, v33
	s_waitcnt lgkmcnt(0)
	s_barrier
	ds_read_b32 v1, v20
	s_waitcnt lgkmcnt(0)
	v_and_b32_e32 v2, 0xffffff00, v1
	v_xor_b32_e32 v3, 0x80, v1
	v_or_b32_sdwa v2, v3, v2 dst_sel:DWORD dst_unused:UNUSED_PAD src0_sel:BYTE_0 src1_sel:DWORD
	v_add_u16_e32 v4, 0x8000, v2
	v_and_b32_sdwa v2, v1, s45 dst_sel:DWORD dst_unused:UNUSED_PAD src0_sel:WORD_1 src1_sel:DWORD
	v_xor_b32_sdwa v1, v1, s37 dst_sel:DWORD dst_unused:UNUSED_PAD src0_sel:WORD_1 src1_sel:DWORD
	v_or_b32_sdwa v1, v1, v2 dst_sel:DWORD dst_unused:UNUSED_PAD src0_sel:BYTE_0 src1_sel:DWORD
	v_add_u16_e32 v3, 0x8000, v1
	v_lshlrev_b32_e32 v2, 16, v3
	v_or_b32_e32 v1, v4, v2
	v_lshrrev_b32_e32 v22, 8, v1
	v_lshrrev_b32_e32 v6, 24, v2
	s_cbranch_scc1 .LBB76_16
.LBB76_2:                               ; =>This Inner Loop Header: Depth=1
	s_waitcnt vmcnt(0)
	v_xor_b32_e32 v1, 0x80, v4
	v_xor_b32_e32 v2, 0x80, v22
	v_and_b32_e32 v1, 0xff, v1
	ds_bpermute_b32 v4, v11, v1
	v_xor_b32_e32 v3, 0x80, v3
	v_and_b32_e32 v2, 0xff, v2
	ds_bpermute_b32 v22, v11, v2
	v_and_b32_e32 v3, 0xff, v3
	ds_bpermute_b32 v23, v11, v3
	v_xor_b32_e32 v6, 0x80, v6
	v_and_b32_e32 v6, 0xff, v6
	s_waitcnt lgkmcnt(2)
	v_and_b32_e32 v4, 0xff, v4
	ds_bpermute_b32 v24, v11, v6
	v_cndmask_b32_e64 v4, 0, v4, s[4:5]
	s_waitcnt lgkmcnt(2)
	v_and_b32_e32 v22, 0xff, v22
	v_cndmask_b32_e64 v4, v4, v22, s[2:3]
	s_waitcnt lgkmcnt(1)
	v_and_b32_e32 v22, 0xff, v23
	ds_bpermute_b32 v23, v12, v1
	v_cndmask_b32_e64 v4, v4, v22, s[0:1]
	s_waitcnt lgkmcnt(1)
	v_perm_b32 v22, v24, v4, s42
	v_cndmask_b32_e32 v4, v4, v22, vcc
	ds_bpermute_b32 v22, v12, v2
	s_waitcnt lgkmcnt(1)
	v_lshlrev_b16_e32 v23, 8, v23
	v_or_b32_sdwa v23, v4, v23 dst_sel:DWORD dst_unused:UNUSED_PAD src0_sel:BYTE_0 src1_sel:DWORD
	v_and_b32_e32 v23, 0xffff, v23
	v_cndmask_b32_e64 v4, v4, v23, s[4:5]
	ds_bpermute_b32 v23, v12, v3
	s_waitcnt lgkmcnt(1)
	v_lshlrev_b16_e32 v22, 8, v22
	v_or_b32_sdwa v22, v4, v22 dst_sel:DWORD dst_unused:UNUSED_PAD src0_sel:BYTE_0 src1_sel:DWORD
	v_and_b32_e32 v22, 0xffff, v22
	v_and_or_b32 v22, v4, s43, v22
	v_cndmask_b32_e64 v4, v4, v22, s[2:3]
	s_waitcnt lgkmcnt(0)
	v_lshlrev_b16_e32 v22, 8, v23
	ds_bpermute_b32 v23, v12, v6
	v_or_b32_sdwa v22, v4, v22 dst_sel:DWORD dst_unused:UNUSED_PAD src0_sel:BYTE_0 src1_sel:DWORD
	v_and_b32_e32 v22, 0xffff, v22
	v_and_or_b32 v22, v4, s43, v22
	v_cndmask_b32_e64 v4, v4, v22, s[0:1]
	s_waitcnt lgkmcnt(0)
	v_lshlrev_b16_e32 v22, 8, v23
	ds_bpermute_b32 v23, v13, v1
	v_or_b32_sdwa v22, v4, v22 dst_sel:DWORD dst_unused:UNUSED_PAD src0_sel:BYTE_0 src1_sel:DWORD
	v_and_b32_e32 v22, 0xffff, v22
	v_and_or_b32 v22, v4, s43, v22
	v_cndmask_b32_e32 v4, v4, v22, vcc
	ds_bpermute_b32 v22, v13, v2
	s_waitcnt lgkmcnt(1)
	v_perm_b32 v23, v23, v4, s44
	v_lshlrev_b32_e32 v23, 16, v23
	v_and_or_b32 v23, v4, s40, v23
	v_cndmask_b32_e64 v4, v4, v23, s[4:5]
	ds_bpermute_b32 v23, v13, v3
	s_waitcnt lgkmcnt(1)
	v_perm_b32 v22, v22, v4, s44
	v_lshlrev_b32_e32 v22, 16, v22
	v_and_or_b32 v22, v4, s40, v22
	v_cndmask_b32_e64 v4, v4, v22, s[2:3]
	;; [unrolled: 6-line block ×3, first 2 shown]
	ds_bpermute_b32 v1, v14, v1
	s_waitcnt lgkmcnt(1)
	v_perm_b32 v22, v22, v4, s44
	v_lshlrev_b32_e32 v22, 16, v22
	v_and_or_b32 v22, v4, s40, v22
	v_cndmask_b32_e32 v4, v4, v22, vcc
	ds_bpermute_b32 v2, v14, v2
	v_and_b32_sdwa v22, v4, s41 dst_sel:DWORD dst_unused:UNUSED_PAD src0_sel:WORD_1 src1_sel:DWORD
	s_waitcnt lgkmcnt(1)
	v_lshlrev_b16_e32 v1, 8, v1
	v_or_b32_sdwa v1, v22, v1 dst_sel:WORD_1 dst_unused:UNUSED_PAD src0_sel:DWORD src1_sel:DWORD
	v_and_or_b32 v1, v4, s40, v1
	v_cndmask_b32_e64 v1, v4, v1, s[4:5]
	ds_bpermute_b32 v3, v14, v3
	v_and_b32_sdwa v4, v1, s41 dst_sel:DWORD dst_unused:UNUSED_PAD src0_sel:WORD_1 src1_sel:DWORD
	s_waitcnt lgkmcnt(1)
	v_lshlrev_b16_e32 v2, 8, v2
	v_or_b32_sdwa v2, v4, v2 dst_sel:WORD_1 dst_unused:UNUSED_PAD src0_sel:DWORD src1_sel:DWORD
	v_and_or_b32 v2, v1, s40, v2
	v_cndmask_b32_e64 v1, v1, v2, s[2:3]
	;; [unrolled: 7-line block ×3, first 2 shown]
	v_and_b32_sdwa v2, v1, s41 dst_sel:DWORD dst_unused:UNUSED_PAD src0_sel:WORD_1 src1_sel:DWORD
	s_waitcnt lgkmcnt(0)
	v_lshlrev_b16_e32 v3, 8, v4
	v_or_b32_sdwa v2, v2, v3 dst_sel:WORD_1 dst_unused:UNUSED_PAD src0_sel:DWORD src1_sel:DWORD
	v_and_or_b32 v2, v1, s40, v2
	v_cndmask_b32_e32 v22, v1, v2, vcc
	v_and_b32_e32 v1, 1, v22
	v_add_co_u32_e64 v2, s[30:31], -1, v1
	v_addc_co_u32_e64 v4, s[30:31], 0, -1, s[30:31]
	v_cmp_ne_u32_e64 s[30:31], 0, v1
	v_lshlrev_b32_e32 v6, 30, v22
	v_xor_b32_e32 v1, s31, v4
	v_xor_b32_e32 v2, s30, v2
	v_cmp_gt_i64_e64 s[30:31], 0, v[5:6]
	v_not_b32_e32 v4, v6
	v_ashrrev_i32_e32 v4, 31, v4
	v_and_b32_e32 v1, exec_hi, v1
	v_xor_b32_e32 v6, s31, v4
	v_and_b32_e32 v2, exec_lo, v2
	v_xor_b32_e32 v4, s30, v4
	v_and_b32_e32 v1, v1, v6
	v_lshlrev_b32_e32 v6, 29, v22
	v_and_b32_e32 v2, v2, v4
	v_cmp_gt_i64_e64 s[30:31], 0, v[5:6]
	v_not_b32_e32 v4, v6
	v_ashrrev_i32_e32 v4, 31, v4
	v_xor_b32_e32 v6, s31, v4
	v_xor_b32_e32 v4, s30, v4
	v_and_b32_e32 v1, v1, v6
	v_lshlrev_b32_e32 v6, 28, v22
	v_and_b32_e32 v2, v2, v4
	v_cmp_gt_i64_e64 s[30:31], 0, v[5:6]
	v_not_b32_e32 v4, v6
	v_ashrrev_i32_e32 v4, 31, v4
	v_xor_b32_e32 v6, s31, v4
	;; [unrolled: 8-line block ×6, first 2 shown]
	v_xor_b32_e32 v23, s30, v2
	v_and_b32_e32 v2, v1, v6
	v_and_b32_e32 v1, v4, v23
	v_mbcnt_lo_u32_b32 v4, v1, 0
	v_mbcnt_hi_u32_b32 v23, v2, v4
	v_cmp_ne_u64_e64 s[30:31], 0, v[1:2]
	v_lshlrev_b32_sdwa v3, v21, v22 dst_sel:DWORD dst_unused:UNUSED_PAD src0_sel:DWORD src1_sel:BYTE_0
	v_cmp_eq_u32_e64 s[34:35], 0, v23
	s_and_b64 s[34:35], s[34:35], s[30:31]
	v_add_u32_e32 v24, v16, v3
	s_barrier
	ds_write2_b64 v15, v[7:8], v[9:10] offset0:2 offset1:3
	s_waitcnt lgkmcnt(0)
	s_barrier
	; wave barrier
	s_and_saveexec_b64 s[30:31], s[34:35]
; %bb.3:                                ;   in Loop: Header=BB76_2 Depth=1
	v_bcnt_u32_b32 v1, v1, 0
	v_bcnt_u32_b32 v1, v2, v1
	ds_write_b32 v24, v1 offset:16
; %bb.4:                                ;   in Loop: Header=BB76_2 Depth=1
	s_or_b64 exec, exec, s[30:31]
	v_lshlrev_b32_sdwa v1, v21, v22 dst_sel:DWORD dst_unused:UNUSED_PAD src0_sel:DWORD src1_sel:BYTE_1
	v_add_u32_e32 v27, v16, v1
	v_bfe_u32 v1, v22, 8, 1
	v_add_co_u32_e64 v2, s[30:31], -1, v1
	v_lshrrev_b32_e32 v25, 8, v22
	v_addc_co_u32_e64 v3, s[30:31], 0, -1, s[30:31]
	v_cmp_ne_u32_e64 s[30:31], 0, v1
	v_lshlrev_b32_e32 v6, 30, v25
	v_xor_b32_e32 v1, s31, v3
	v_xor_b32_e32 v2, s30, v2
	v_cmp_gt_i64_e64 s[30:31], 0, v[5:6]
	v_not_b32_e32 v3, v6
	v_ashrrev_i32_e32 v3, 31, v3
	v_and_b32_e32 v2, exec_lo, v2
	v_xor_b32_e32 v4, s31, v3
	v_xor_b32_e32 v3, s30, v3
	v_lshlrev_b32_e32 v6, 29, v25
	v_and_b32_e32 v2, v2, v3
	v_cmp_gt_i64_e64 s[30:31], 0, v[5:6]
	v_not_b32_e32 v3, v6
	v_and_b32_e32 v1, exec_hi, v1
	v_ashrrev_i32_e32 v3, 31, v3
	v_and_b32_e32 v1, v1, v4
	v_xor_b32_e32 v4, s31, v3
	v_xor_b32_e32 v3, s30, v3
	v_lshlrev_b32_e32 v6, 28, v25
	v_and_b32_e32 v2, v2, v3
	v_cmp_gt_i64_e64 s[30:31], 0, v[5:6]
	v_not_b32_e32 v3, v6
	v_ashrrev_i32_e32 v3, 31, v3
	v_and_b32_e32 v1, v1, v4
	v_xor_b32_e32 v4, s31, v3
	v_xor_b32_e32 v3, s30, v3
	v_lshlrev_b32_e32 v6, 27, v25
	v_and_b32_e32 v2, v2, v3
	v_cmp_gt_i64_e64 s[30:31], 0, v[5:6]
	v_not_b32_e32 v3, v6
	;; [unrolled: 8-line block ×5, first 2 shown]
	v_ashrrev_i32_e32 v2, 31, v2
	v_and_b32_e32 v1, v1, v4
	v_xor_b32_e32 v4, s31, v2
	v_xor_b32_e32 v6, s30, v2
	; wave barrier
	ds_read_b32 v26, v27 offset:16
	v_and_b32_e32 v2, v1, v4
	v_and_b32_e32 v1, v3, v6
	v_mbcnt_lo_u32_b32 v3, v1, 0
	v_mbcnt_hi_u32_b32 v28, v2, v3
	v_cmp_ne_u64_e64 s[30:31], 0, v[1:2]
	v_cmp_eq_u32_e64 s[34:35], 0, v28
	s_and_b64 s[34:35], s[30:31], s[34:35]
	; wave barrier
	s_and_saveexec_b64 s[30:31], s[34:35]
	s_cbranch_execz .LBB76_6
; %bb.5:                                ;   in Loop: Header=BB76_2 Depth=1
	v_bcnt_u32_b32 v1, v1, 0
	v_bcnt_u32_b32 v1, v2, v1
	s_waitcnt lgkmcnt(0)
	v_add_u32_e32 v1, v26, v1
	ds_write_b32 v27, v1 offset:16
.LBB76_6:                               ;   in Loop: Header=BB76_2 Depth=1
	s_or_b64 exec, exec, s[30:31]
	v_lshlrev_b32_sdwa v1, v21, v22 dst_sel:DWORD dst_unused:UNUSED_PAD src0_sel:DWORD src1_sel:BYTE_2
	v_add_u32_e32 v31, v16, v1
	v_bfe_u32 v1, v22, 16, 1
	v_add_co_u32_e64 v2, s[30:31], -1, v1
	v_lshrrev_b32_e32 v29, 16, v22
	v_addc_co_u32_e64 v3, s[30:31], 0, -1, s[30:31]
	v_cmp_ne_u32_e64 s[30:31], 0, v1
	v_lshlrev_b32_e32 v6, 30, v29
	v_xor_b32_e32 v1, s31, v3
	v_xor_b32_e32 v2, s30, v2
	v_cmp_gt_i64_e64 s[30:31], 0, v[5:6]
	v_not_b32_e32 v3, v6
	v_ashrrev_i32_e32 v3, 31, v3
	v_and_b32_e32 v2, exec_lo, v2
	v_xor_b32_e32 v4, s31, v3
	v_xor_b32_e32 v3, s30, v3
	v_lshlrev_b32_e32 v6, 29, v29
	v_and_b32_e32 v2, v2, v3
	v_cmp_gt_i64_e64 s[30:31], 0, v[5:6]
	v_not_b32_e32 v3, v6
	v_and_b32_e32 v1, exec_hi, v1
	v_ashrrev_i32_e32 v3, 31, v3
	v_and_b32_e32 v1, v1, v4
	v_xor_b32_e32 v4, s31, v3
	v_xor_b32_e32 v3, s30, v3
	v_lshlrev_b32_e32 v6, 28, v29
	v_and_b32_e32 v2, v2, v3
	v_cmp_gt_i64_e64 s[30:31], 0, v[5:6]
	v_not_b32_e32 v3, v6
	v_ashrrev_i32_e32 v3, 31, v3
	v_and_b32_e32 v1, v1, v4
	v_xor_b32_e32 v4, s31, v3
	v_xor_b32_e32 v3, s30, v3
	v_lshlrev_b32_e32 v6, 27, v29
	v_and_b32_e32 v2, v2, v3
	v_cmp_gt_i64_e64 s[30:31], 0, v[5:6]
	v_not_b32_e32 v3, v6
	;; [unrolled: 8-line block ×5, first 2 shown]
	v_ashrrev_i32_e32 v2, 31, v2
	v_and_b32_e32 v1, v1, v4
	v_xor_b32_e32 v4, s31, v2
	v_xor_b32_e32 v6, s30, v2
	; wave barrier
	ds_read_b32 v30, v31 offset:16
	v_and_b32_e32 v2, v1, v4
	v_and_b32_e32 v1, v3, v6
	v_mbcnt_lo_u32_b32 v3, v1, 0
	v_mbcnt_hi_u32_b32 v32, v2, v3
	v_cmp_ne_u64_e64 s[30:31], 0, v[1:2]
	v_cmp_eq_u32_e64 s[34:35], 0, v32
	s_and_b64 s[34:35], s[30:31], s[34:35]
	; wave barrier
	s_and_saveexec_b64 s[30:31], s[34:35]
	s_cbranch_execz .LBB76_8
; %bb.7:                                ;   in Loop: Header=BB76_2 Depth=1
	v_bcnt_u32_b32 v1, v1, 0
	v_bcnt_u32_b32 v1, v2, v1
	s_waitcnt lgkmcnt(0)
	v_add_u32_e32 v1, v30, v1
	ds_write_b32 v31, v1 offset:16
.LBB76_8:                               ;   in Loop: Header=BB76_2 Depth=1
	s_or_b64 exec, exec, s[30:31]
	v_lshrrev_b32_e32 v33, 24, v22
	v_lshlrev_b32_e32 v1, 4, v33
	v_add_u32_e32 v35, v16, v1
	v_bfe_u32 v1, v22, 24, 1
	v_add_co_u32_e64 v2, s[30:31], -1, v1
	v_addc_co_u32_e64 v3, s[30:31], 0, -1, s[30:31]
	v_cmp_ne_u32_e64 s[30:31], 0, v1
	v_lshlrev_b32_e32 v6, 30, v33
	v_xor_b32_e32 v1, s31, v3
	v_xor_b32_e32 v2, s30, v2
	v_cmp_gt_i64_e64 s[30:31], 0, v[5:6]
	v_not_b32_e32 v3, v6
	v_ashrrev_i32_e32 v3, 31, v3
	v_and_b32_e32 v2, exec_lo, v2
	v_xor_b32_e32 v4, s31, v3
	v_xor_b32_e32 v3, s30, v3
	v_lshlrev_b32_e32 v6, 29, v33
	v_and_b32_e32 v2, v2, v3
	v_cmp_gt_i64_e64 s[30:31], 0, v[5:6]
	v_not_b32_e32 v3, v6
	v_and_b32_e32 v1, exec_hi, v1
	v_ashrrev_i32_e32 v3, 31, v3
	v_and_b32_e32 v1, v1, v4
	v_xor_b32_e32 v4, s31, v3
	v_xor_b32_e32 v3, s30, v3
	v_lshlrev_b32_e32 v6, 28, v33
	v_and_b32_e32 v2, v2, v3
	v_cmp_gt_i64_e64 s[30:31], 0, v[5:6]
	v_not_b32_e32 v3, v6
	v_ashrrev_i32_e32 v3, 31, v3
	v_and_b32_e32 v1, v1, v4
	v_xor_b32_e32 v4, s31, v3
	v_xor_b32_e32 v3, s30, v3
	v_lshlrev_b32_e32 v6, 27, v33
	v_and_b32_e32 v2, v2, v3
	v_cmp_gt_i64_e64 s[30:31], 0, v[5:6]
	v_not_b32_e32 v3, v6
	;; [unrolled: 8-line block ×4, first 2 shown]
	v_ashrrev_i32_e32 v3, 31, v3
	v_and_b32_e32 v1, v1, v4
	v_xor_b32_e32 v4, s31, v3
	v_xor_b32_e32 v3, s30, v3
	v_and_b32_e32 v6, 0xff000000, v22
	v_and_b32_e32 v3, v2, v3
	v_cmp_gt_i64_e64 s[30:31], 0, v[5:6]
	v_not_b32_e32 v2, v6
	v_ashrrev_i32_e32 v2, 31, v2
	v_and_b32_e32 v1, v1, v4
	v_xor_b32_e32 v4, s31, v2
	v_xor_b32_e32 v6, s30, v2
	; wave barrier
	ds_read_b32 v34, v35 offset:16
	v_and_b32_e32 v2, v1, v4
	v_and_b32_e32 v1, v3, v6
	v_mbcnt_lo_u32_b32 v3, v1, 0
	v_mbcnt_hi_u32_b32 v6, v2, v3
	v_cmp_ne_u64_e64 s[30:31], 0, v[1:2]
	v_cmp_eq_u32_e64 s[34:35], 0, v6
	s_and_b64 s[34:35], s[30:31], s[34:35]
	; wave barrier
	s_and_saveexec_b64 s[30:31], s[34:35]
	s_cbranch_execz .LBB76_10
; %bb.9:                                ;   in Loop: Header=BB76_2 Depth=1
	v_bcnt_u32_b32 v1, v1, 0
	v_bcnt_u32_b32 v1, v2, v1
	s_waitcnt lgkmcnt(0)
	v_add_u32_e32 v1, v34, v1
	ds_write_b32 v35, v1 offset:16
.LBB76_10:                              ;   in Loop: Header=BB76_2 Depth=1
	s_or_b64 exec, exec, s[30:31]
	; wave barrier
	s_waitcnt lgkmcnt(0)
	s_barrier
	ds_read2_b64 v[1:4], v15 offset0:2 offset1:3
	s_waitcnt lgkmcnt(0)
	v_add_u32_e32 v36, v2, v1
	v_add3_u32 v4, v36, v3, v4
	s_nop 1
	v_mov_b32_dpp v36, v4 row_shr:1 row_mask:0xf bank_mask:0xf
	v_cndmask_b32_e64 v36, v36, 0, s[6:7]
	v_add_u32_e32 v4, v36, v4
	s_nop 1
	v_mov_b32_dpp v36, v4 row_shr:2 row_mask:0xf bank_mask:0xf
	v_cndmask_b32_e64 v36, 0, v36, s[8:9]
	v_add_u32_e32 v4, v4, v36
	s_nop 1
	v_mov_b32_dpp v36, v4 row_shr:4 row_mask:0xf bank_mask:0xf
	v_cndmask_b32_e64 v36, 0, v36, s[10:11]
	v_add_u32_e32 v4, v4, v36
	s_nop 1
	v_mov_b32_dpp v36, v4 row_shr:8 row_mask:0xf bank_mask:0xf
	v_cndmask_b32_e64 v36, 0, v36, s[12:13]
	v_add_u32_e32 v4, v4, v36
	s_nop 1
	v_mov_b32_dpp v36, v4 row_bcast:15 row_mask:0xf bank_mask:0xf
	v_cndmask_b32_e64 v36, v36, 0, s[14:15]
	v_add_u32_e32 v4, v4, v36
	s_nop 1
	v_mov_b32_dpp v36, v4 row_bcast:31 row_mask:0xf bank_mask:0xf
	v_cndmask_b32_e64 v36, 0, v36, s[16:17]
	v_add_u32_e32 v4, v4, v36
	s_and_saveexec_b64 s[30:31], s[18:19]
; %bb.11:                               ;   in Loop: Header=BB76_2 Depth=1
	ds_write_b32 v18, v4
; %bb.12:                               ;   in Loop: Header=BB76_2 Depth=1
	s_or_b64 exec, exec, s[30:31]
	s_waitcnt lgkmcnt(0)
	s_barrier
	s_and_saveexec_b64 s[30:31], s[20:21]
	s_cbranch_execz .LBB76_14
; %bb.13:                               ;   in Loop: Header=BB76_2 Depth=1
	ds_read_b32 v36, v20
	s_waitcnt lgkmcnt(0)
	s_nop 0
	v_mov_b32_dpp v37, v36 row_shr:1 row_mask:0xf bank_mask:0xf
	v_cndmask_b32_e64 v37, v37, 0, s[4:5]
	v_add_u32_e32 v36, v37, v36
	s_nop 1
	v_mov_b32_dpp v37, v36 row_shr:2 row_mask:0xf bank_mask:0xf
	v_cndmask_b32_e64 v37, 0, v37, s[28:29]
	v_add_u32_e32 v36, v36, v37
	ds_write_b32 v20, v36
.LBB76_14:                              ;   in Loop: Header=BB76_2 Depth=1
	s_or_b64 exec, exec, s[30:31]
	v_mov_b32_e32 v36, 0
	s_waitcnt lgkmcnt(0)
	s_barrier
	s_and_saveexec_b64 s[30:31], s[22:23]
	s_cbranch_execz .LBB76_1
; %bb.15:                               ;   in Loop: Header=BB76_2 Depth=1
	ds_read_b32 v36, v19
	s_branch .LBB76_1
.LBB76_16:
	s_add_u32 s0, s38, s33
	s_addc_u32 s1, s39, 0
	v_mov_b32_e32 v3, s1
	v_add_co_u32_e32 v2, vcc, s0, v0
	v_addc_co_u32_e32 v3, vcc, 0, v3, vcc
	v_lshrrev_b32_e32 v0, 8, v1
	global_store_byte v[2:3], v1, off
	global_store_byte v[2:3], v0, off offset:256
	global_store_byte_d16_hi v[2:3], v1, off offset:512
	v_lshrrev_b32_e32 v0, 24, v1
	global_store_byte v[2:3], v0, off offset:768
	s_endpgm
	.section	.rodata,"a",@progbits
	.p2align	6, 0x0
	.amdhsa_kernel _Z16sort_keys_kernelI22helper_blocked_blockedaLj256ELj4ELj10EEvPKT0_PS1_
		.amdhsa_group_segment_fixed_size 4112
		.amdhsa_private_segment_fixed_size 0
		.amdhsa_kernarg_size 272
		.amdhsa_user_sgpr_count 6
		.amdhsa_user_sgpr_private_segment_buffer 1
		.amdhsa_user_sgpr_dispatch_ptr 0
		.amdhsa_user_sgpr_queue_ptr 0
		.amdhsa_user_sgpr_kernarg_segment_ptr 1
		.amdhsa_user_sgpr_dispatch_id 0
		.amdhsa_user_sgpr_flat_scratch_init 0
		.amdhsa_user_sgpr_private_segment_size 0
		.amdhsa_uses_dynamic_stack 0
		.amdhsa_system_sgpr_private_segment_wavefront_offset 0
		.amdhsa_system_sgpr_workgroup_id_x 1
		.amdhsa_system_sgpr_workgroup_id_y 0
		.amdhsa_system_sgpr_workgroup_id_z 0
		.amdhsa_system_sgpr_workgroup_info 0
		.amdhsa_system_vgpr_workitem_id 2
		.amdhsa_next_free_vgpr 38
		.amdhsa_next_free_sgpr 46
		.amdhsa_reserve_vcc 1
		.amdhsa_reserve_flat_scratch 0
		.amdhsa_float_round_mode_32 0
		.amdhsa_float_round_mode_16_64 0
		.amdhsa_float_denorm_mode_32 3
		.amdhsa_float_denorm_mode_16_64 3
		.amdhsa_dx10_clamp 1
		.amdhsa_ieee_mode 1
		.amdhsa_fp16_overflow 0
		.amdhsa_exception_fp_ieee_invalid_op 0
		.amdhsa_exception_fp_denorm_src 0
		.amdhsa_exception_fp_ieee_div_zero 0
		.amdhsa_exception_fp_ieee_overflow 0
		.amdhsa_exception_fp_ieee_underflow 0
		.amdhsa_exception_fp_ieee_inexact 0
		.amdhsa_exception_int_div_zero 0
	.end_amdhsa_kernel
	.section	.text._Z16sort_keys_kernelI22helper_blocked_blockedaLj256ELj4ELj10EEvPKT0_PS1_,"axG",@progbits,_Z16sort_keys_kernelI22helper_blocked_blockedaLj256ELj4ELj10EEvPKT0_PS1_,comdat
.Lfunc_end76:
	.size	_Z16sort_keys_kernelI22helper_blocked_blockedaLj256ELj4ELj10EEvPKT0_PS1_, .Lfunc_end76-_Z16sort_keys_kernelI22helper_blocked_blockedaLj256ELj4ELj10EEvPKT0_PS1_
                                        ; -- End function
	.set _Z16sort_keys_kernelI22helper_blocked_blockedaLj256ELj4ELj10EEvPKT0_PS1_.num_vgpr, 38
	.set _Z16sort_keys_kernelI22helper_blocked_blockedaLj256ELj4ELj10EEvPKT0_PS1_.num_agpr, 0
	.set _Z16sort_keys_kernelI22helper_blocked_blockedaLj256ELj4ELj10EEvPKT0_PS1_.numbered_sgpr, 46
	.set _Z16sort_keys_kernelI22helper_blocked_blockedaLj256ELj4ELj10EEvPKT0_PS1_.num_named_barrier, 0
	.set _Z16sort_keys_kernelI22helper_blocked_blockedaLj256ELj4ELj10EEvPKT0_PS1_.private_seg_size, 0
	.set _Z16sort_keys_kernelI22helper_blocked_blockedaLj256ELj4ELj10EEvPKT0_PS1_.uses_vcc, 1
	.set _Z16sort_keys_kernelI22helper_blocked_blockedaLj256ELj4ELj10EEvPKT0_PS1_.uses_flat_scratch, 0
	.set _Z16sort_keys_kernelI22helper_blocked_blockedaLj256ELj4ELj10EEvPKT0_PS1_.has_dyn_sized_stack, 0
	.set _Z16sort_keys_kernelI22helper_blocked_blockedaLj256ELj4ELj10EEvPKT0_PS1_.has_recursion, 0
	.set _Z16sort_keys_kernelI22helper_blocked_blockedaLj256ELj4ELj10EEvPKT0_PS1_.has_indirect_call, 0
	.section	.AMDGPU.csdata,"",@progbits
; Kernel info:
; codeLenInByte = 3404
; TotalNumSgprs: 50
; NumVgprs: 38
; ScratchSize: 0
; MemoryBound: 0
; FloatMode: 240
; IeeeMode: 1
; LDSByteSize: 4112 bytes/workgroup (compile time only)
; SGPRBlocks: 6
; VGPRBlocks: 9
; NumSGPRsForWavesPerEU: 50
; NumVGPRsForWavesPerEU: 38
; Occupancy: 6
; WaveLimiterHint : 1
; COMPUTE_PGM_RSRC2:SCRATCH_EN: 0
; COMPUTE_PGM_RSRC2:USER_SGPR: 6
; COMPUTE_PGM_RSRC2:TRAP_HANDLER: 0
; COMPUTE_PGM_RSRC2:TGID_X_EN: 1
; COMPUTE_PGM_RSRC2:TGID_Y_EN: 0
; COMPUTE_PGM_RSRC2:TGID_Z_EN: 0
; COMPUTE_PGM_RSRC2:TIDIG_COMP_CNT: 2
	.section	.text._Z17sort_pairs_kernelI22helper_blocked_blockedaLj256ELj4ELj10EEvPKT0_PS1_,"axG",@progbits,_Z17sort_pairs_kernelI22helper_blocked_blockedaLj256ELj4ELj10EEvPKT0_PS1_,comdat
	.protected	_Z17sort_pairs_kernelI22helper_blocked_blockedaLj256ELj4ELj10EEvPKT0_PS1_ ; -- Begin function _Z17sort_pairs_kernelI22helper_blocked_blockedaLj256ELj4ELj10EEvPKT0_PS1_
	.globl	_Z17sort_pairs_kernelI22helper_blocked_blockedaLj256ELj4ELj10EEvPKT0_PS1_
	.p2align	8
	.type	_Z17sort_pairs_kernelI22helper_blocked_blockedaLj256ELj4ELj10EEvPKT0_PS1_,@function
_Z17sort_pairs_kernelI22helper_blocked_blockedaLj256ELj4ELj10EEvPKT0_PS1_: ; @_Z17sort_pairs_kernelI22helper_blocked_blockedaLj256ELj4ELj10EEvPKT0_PS1_
; %bb.0:
	s_load_dwordx4 s[36:39], s[4:5], 0x0
	s_load_dword s34, s[4:5], 0x1c
	s_lshl_b32 s33, s6, 10
	v_mbcnt_lo_u32_b32 v3, -1, 0
	v_mbcnt_hi_u32_b32 v3, -1, v3
	s_waitcnt lgkmcnt(0)
	s_add_u32 s0, s36, s33
	s_addc_u32 s1, s37, 0
	global_load_ubyte v22, v0, s[0:1]
	global_load_ubyte v23, v0, s[0:1] offset:256
	global_load_ubyte v4, v0, s[0:1] offset:512
	;; [unrolled: 1-line block ×3, first 2 shown]
	s_lshr_b32 s35, s34, 16
	s_and_b32 s34, s34, 0xffff
	v_mad_u32_u24 v1, v2, s35, v1
	v_mad_u64_u32 v[1:2], s[34:35], v1, s34, v[0:1]
	s_mov_b32 s12, 0
	v_lshlrev_b32_e32 v12, 4, v0
	v_or_b32_e32 v7, 63, v0
	v_mul_i32_i24_e32 v8, -12, v0
	v_lshrrev_b32_e32 v9, 4, v0
	v_lshrrev_b32_e32 v10, 2, v3
	v_and_b32_e32 v17, 64, v3
	v_subrev_co_u32_e64 v19, s[10:11], 1, v3
	s_mov_b32 s13, s12
	v_and_b32_e32 v16, 15, v3
	v_cmp_eq_u32_e64 s[6:7], v0, v7
	v_and_b32_e32 v13, 12, v9
	v_add_u32_e32 v14, v12, v8
	v_mov_b32_e32 v7, s12
	v_or_b32_e32 v9, v10, v17
	v_add_u32_e32 v10, 48, v10
	v_cmp_lt_i32_e64 s[28:29], v19, v17
	s_mov_b32 s30, s12
	s_mov_b32 s31, s12
	v_and_b32_e32 v15, 3, v3
	v_and_b32_e32 v18, 16, v3
	v_cmp_lt_u32_e64 s[8:9], 31, v3
	v_mov_b32_e32 v8, s13
	v_cmp_eq_u32_e64 s[12:13], 0, v16
	v_cmp_lt_u32_e64 s[14:15], 1, v16
	v_cmp_lt_u32_e64 s[16:17], 3, v16
	;; [unrolled: 1-line block ×3, first 2 shown]
	v_cndmask_b32_e64 v3, v19, v3, s[28:29]
	v_lshlrev_b32_e32 v16, 2, v9
	v_and_or_b32 v9, v10, 63, v17
	v_lshrrev_b32_e32 v1, 4, v1
	v_lshlrev_b32_e32 v17, 2, v3
	v_lshlrev_b32_e32 v20, 2, v9
	v_and_b32_e32 v21, 0xffffffc, v1
	s_movk_i32 s48, 0x100
	s_mov_b32 s36, 10
	v_mov_b32_e32 v5, 0
	s_movk_i32 s37, 0xff
	s_movk_i32 s40, 0x80
	s_mov_b32 s41, 0xffff
	s_mov_b32 s42, 0x3020104
	;; [unrolled: 1-line block ×6, first 2 shown]
	s_movk_i32 s47, 0xff00
	v_mov_b32_e32 v11, 4
	v_cmp_gt_u32_e64 s[0:1], 4, v0
	v_cmp_lt_u32_e64 s[2:3], 63, v0
	v_cmp_eq_u32_e64 s[4:5], 0, v0
	v_cmp_eq_u32_e64 s[20:21], 3, v15
	v_cmp_eq_u32_e64 s[22:23], 2, v15
	v_cmp_eq_u32_e64 s[24:25], 1, v15
	v_cmp_eq_u32_e32 vcc, 0, v15
	v_cmp_eq_u32_e64 s[26:27], 0, v18
	v_cmp_lt_u32_e64 s[28:29], 1, v15
	v_add_u32_e32 v15, -4, v13
	v_add_u32_e32 v18, 64, v16
	v_or_b32_e32 v19, 0x80, v16
	s_waitcnt vmcnt(3)
	v_add_u16_e32 v1, 1, v22
	s_waitcnt vmcnt(2)
	v_lshlrev_b16_e32 v2, 8, v23
	s_waitcnt vmcnt(1)
	v_add_u16_e32 v3, 1, v4
	s_waitcnt vmcnt(0)
	v_lshlrev_b16_e32 v9, 8, v6
	v_or_b32_sdwa v1, v2, v1 dst_sel:DWORD dst_unused:UNUSED_PAD src0_sel:DWORD src1_sel:BYTE_0
	v_or_b32_sdwa v2, v9, v3 dst_sel:DWORD dst_unused:UNUSED_PAD src0_sel:DWORD src1_sel:BYTE_0
	v_add_u16_e32 v1, 0x100, v1
	v_add_u16_sdwa v2, v2, s48 dst_sel:WORD_1 dst_unused:UNUSED_PAD src0_sel:DWORD src1_sel:DWORD
	v_mov_b32_e32 v9, s30
	v_or_b32_e32 v3, v1, v2
	v_mov_b32_e32 v10, s31
	s_branch .LBB77_2
.LBB77_1:                               ;   in Loop: Header=BB77_2 Depth=1
	s_or_b64 exec, exec, s[30:31]
	v_cndmask_b32_sdwa v39, v5, v39, vcc dst_sel:DWORD dst_unused:UNUSED_PAD src0_sel:DWORD src1_sel:BYTE_0
	v_and_b32_e32 v41, 0xff, v41
	v_cndmask_b32_e64 v39, v39, v41, s[24:25]
	v_and_b32_e32 v41, 0xff, v42
	v_cndmask_b32_e64 v39, v39, v41, s[22:23]
	v_perm_b32 v41, v43, v39, s42
	v_cndmask_b32_e64 v39, v39, v41, s[20:21]
	v_perm_b32 v36, v39, v36, s45
	v_cndmask_b32_e32 v36, v39, v36, vcc
	v_perm_b32 v37, v36, v37, s45
	v_cndmask_b32_e64 v36, v36, v37, s[24:25]
	v_perm_b32 v37, v36, v38, s45
	v_cndmask_b32_e64 v36, v36, v37, s[22:23]
	;; [unrolled: 2-line block ×3, first 2 shown]
	v_perm_b32 v32, v32, v36, s44
	v_lshlrev_b32_e32 v32, 16, v32
	v_and_or_b32 v32, v36, s41, v32
	v_cndmask_b32_e32 v32, v36, v32, vcc
	v_perm_b32 v33, v33, v32, s44
	v_lshlrev_b32_e32 v33, 16, v33
	v_and_or_b32 v33, v32, s41, v33
	v_cndmask_b32_e64 v32, v32, v33, s[24:25]
	v_perm_b32 v33, v34, v32, s44
	v_lshlrev_b32_e32 v33, 16, v33
	v_and_or_b32 v33, v32, s41, v33
	v_cndmask_b32_e64 v32, v32, v33, s[22:23]
	v_perm_b32 v33, v35, v32, s44
	v_lshlrev_b32_e32 v33, 16, v33
	v_and_or_b32 v33, v32, s41, v33
	v_cndmask_b32_e64 v32, v32, v33, s[20:21]
	v_perm_b32 v26, v32, v26, s46
	v_lshlrev_b32_e32 v26, 16, v26
	v_and_or_b32 v26, v32, s41, v26
	v_cndmask_b32_e32 v26, v32, v26, vcc
	v_perm_b32 v27, v26, v27, s46
	v_lshlrev_b32_e32 v27, 16, v27
	v_and_or_b32 v27, v26, s41, v27
	v_cndmask_b32_e64 v26, v26, v27, s[24:25]
	v_perm_b32 v27, v26, v28, s46
	s_waitcnt lgkmcnt(0)
	v_add_u32_e32 v4, v52, v4
	v_lshlrev_b32_e32 v27, 16, v27
	ds_bpermute_b32 v4, v17, v4
	v_and_or_b32 v27, v26, s41, v27
	v_cndmask_b32_e64 v26, v26, v27, s[22:23]
	v_perm_b32 v27, v26, v29, s46
	v_lshlrev_b32_e32 v27, 16, v27
	v_and_or_b32 v27, v26, s41, v27
	s_waitcnt lgkmcnt(0)
	v_cndmask_b32_e64 v4, v4, v52, s[10:11]
	v_cndmask_b32_e64 v28, v26, v27, s[20:21]
	;; [unrolled: 1-line block ×3, first 2 shown]
	v_add_u32_e32 v27, v26, v1
	v_add_u32_e32 v1, v27, v2
	;; [unrolled: 1-line block ×3, first 2 shown]
	ds_write2_b64 v12, v[26:27], v[1:2] offset0:2 offset1:3
	s_waitcnt lgkmcnt(0)
	s_barrier
	ds_read_b32 v1, v24 offset:16
	ds_read_b32 v2, v31 offset:16
	;; [unrolled: 1-line block ×4, first 2 shown]
	s_waitcnt lgkmcnt(0)
	v_add_u32_e32 v1, v1, v23
	v_add3_u32 v2, v44, v30, v2
	v_add3_u32 v3, v48, v46, v3
	;; [unrolled: 1-line block ×3, first 2 shown]
	s_barrier
	ds_write_b8 v1, v22
	ds_write_b8 v2, v25
	;; [unrolled: 1-line block ×4, first 2 shown]
	s_waitcnt lgkmcnt(0)
	s_barrier
	ds_read_b32 v6, v14
	v_lshrrev_b32_e32 v29, 8, v28
	v_lshrrev_b32_e32 v32, 24, v28
	s_waitcnt lgkmcnt(0)
	s_barrier
	ds_write_b8 v1, v28
	ds_write_b8 v2, v29
	ds_write_b8_d16_hi v3, v28
	ds_write_b8 v4, v32
	v_and_b32_e32 v1, 0xffffff00, v6
	v_xor_b32_e32 v2, 0x80, v6
	v_or_b32_sdwa v1, v2, v1 dst_sel:DWORD dst_unused:UNUSED_PAD src0_sel:BYTE_0 src1_sel:DWORD
	v_add_u16_e32 v22, 0x8000, v1
	v_and_b32_sdwa v1, v6, s47 dst_sel:DWORD dst_unused:UNUSED_PAD src0_sel:WORD_1 src1_sel:DWORD
	v_xor_b32_sdwa v2, v6, s40 dst_sel:DWORD dst_unused:UNUSED_PAD src0_sel:WORD_1 src1_sel:DWORD
	s_waitcnt lgkmcnt(0)
	s_barrier
	ds_read_b32 v3, v14
	v_or_b32_sdwa v1, v2, v1 dst_sel:DWORD dst_unused:UNUSED_PAD src0_sel:BYTE_0 src1_sel:DWORD
	v_add_u16_e32 v4, 0x8000, v1
	v_lshlrev_b32_e32 v1, 16, v4
	v_or_b32_e32 v2, v22, v1
	s_add_i32 s36, s36, -1
	v_lshrrev_b32_e32 v23, 8, v2
	s_cmp_eq_u32 s36, 0
	v_lshrrev_b32_e32 v6, 24, v1
	s_cbranch_scc1 .LBB77_16
.LBB77_2:                               ; =>This Inner Loop Header: Depth=1
	v_xor_b32_e32 v1, 0x80, v22
	v_xor_b32_e32 v2, 0x80, v23
	v_and_b32_e32 v1, 0xff, v1
	ds_bpermute_b32 v22, v16, v1
	v_and_b32_e32 v2, 0xff, v2
	v_xor_b32_e32 v4, 0x80, v4
	ds_bpermute_b32 v23, v16, v2
	v_and_b32_e32 v4, 0xff, v4
	ds_bpermute_b32 v24, v16, v4
	v_xor_b32_e32 v6, 0x80, v6
	v_and_b32_e32 v6, 0xff, v6
	s_waitcnt lgkmcnt(2)
	v_and_b32_e32 v22, 0xff, v22
	ds_bpermute_b32 v25, v16, v6
	v_cndmask_b32_e32 v22, 0, v22, vcc
	s_waitcnt lgkmcnt(2)
	v_and_b32_e32 v23, 0xff, v23
	v_cndmask_b32_e64 v22, v22, v23, s[24:25]
	s_waitcnt lgkmcnt(1)
	v_and_b32_e32 v23, 0xff, v24
	ds_bpermute_b32 v24, v18, v1
	v_cndmask_b32_e64 v22, v22, v23, s[22:23]
	s_waitcnt lgkmcnt(1)
	v_perm_b32 v23, v25, v22, s42
	v_cndmask_b32_e64 v22, v22, v23, s[20:21]
	ds_bpermute_b32 v23, v18, v2
	s_waitcnt lgkmcnt(1)
	v_lshlrev_b16_e32 v24, 8, v24
	v_or_b32_sdwa v24, v22, v24 dst_sel:DWORD dst_unused:UNUSED_PAD src0_sel:BYTE_0 src1_sel:DWORD
	v_and_b32_e32 v24, 0xffff, v24
	v_cndmask_b32_e32 v22, v22, v24, vcc
	ds_bpermute_b32 v24, v18, v4
	s_waitcnt lgkmcnt(1)
	v_lshlrev_b16_e32 v23, 8, v23
	v_or_b32_sdwa v23, v22, v23 dst_sel:DWORD dst_unused:UNUSED_PAD src0_sel:BYTE_0 src1_sel:DWORD
	v_and_b32_e32 v23, 0xffff, v23
	v_and_or_b32 v23, v22, s43, v23
	v_cndmask_b32_e64 v22, v22, v23, s[24:25]
	s_waitcnt lgkmcnt(0)
	v_lshlrev_b16_e32 v23, 8, v24
	ds_bpermute_b32 v24, v18, v6
	v_or_b32_sdwa v23, v22, v23 dst_sel:DWORD dst_unused:UNUSED_PAD src0_sel:BYTE_0 src1_sel:DWORD
	v_and_b32_e32 v23, 0xffff, v23
	v_and_or_b32 v23, v22, s43, v23
	v_cndmask_b32_e64 v22, v22, v23, s[22:23]
	s_waitcnt lgkmcnt(0)
	v_lshlrev_b16_e32 v23, 8, v24
	ds_bpermute_b32 v24, v19, v1
	v_or_b32_sdwa v23, v22, v23 dst_sel:DWORD dst_unused:UNUSED_PAD src0_sel:BYTE_0 src1_sel:DWORD
	v_and_b32_e32 v23, 0xffff, v23
	v_and_or_b32 v23, v22, s43, v23
	v_cndmask_b32_e64 v22, v22, v23, s[20:21]
	ds_bpermute_b32 v23, v19, v2
	s_waitcnt lgkmcnt(1)
	v_perm_b32 v24, v24, v22, s44
	v_lshlrev_b32_e32 v24, 16, v24
	v_and_or_b32 v24, v22, s41, v24
	v_cndmask_b32_e32 v22, v22, v24, vcc
	ds_bpermute_b32 v24, v19, v4
	s_waitcnt lgkmcnt(1)
	v_perm_b32 v23, v23, v22, s44
	v_lshlrev_b32_e32 v23, 16, v23
	v_and_or_b32 v23, v22, s41, v23
	v_cndmask_b32_e64 v22, v22, v23, s[24:25]
	ds_bpermute_b32 v23, v19, v6
	s_waitcnt lgkmcnt(1)
	v_perm_b32 v24, v24, v22, s44
	v_lshlrev_b32_e32 v24, 16, v24
	v_and_or_b32 v24, v22, s41, v24
	v_cndmask_b32_e64 v22, v22, v24, s[22:23]
	;; [unrolled: 6-line block ×3, first 2 shown]
	ds_bpermute_b32 v2, v20, v2
	v_and_b32_sdwa v23, v22, s37 dst_sel:DWORD dst_unused:UNUSED_PAD src0_sel:WORD_1 src1_sel:DWORD
	s_waitcnt lgkmcnt(1)
	v_lshlrev_b16_e32 v1, 8, v1
	v_or_b32_sdwa v1, v23, v1 dst_sel:WORD_1 dst_unused:UNUSED_PAD src0_sel:DWORD src1_sel:DWORD
	v_and_or_b32 v1, v22, s41, v1
	v_cndmask_b32_e32 v1, v22, v1, vcc
	ds_bpermute_b32 v4, v20, v4
	v_and_b32_sdwa v22, v1, s37 dst_sel:DWORD dst_unused:UNUSED_PAD src0_sel:WORD_1 src1_sel:DWORD
	s_waitcnt lgkmcnt(1)
	v_lshlrev_b16_e32 v2, 8, v2
	v_or_b32_sdwa v2, v22, v2 dst_sel:WORD_1 dst_unused:UNUSED_PAD src0_sel:DWORD src1_sel:DWORD
	v_and_or_b32 v2, v1, s41, v2
	v_cndmask_b32_e64 v1, v1, v2, s[24:25]
	ds_bpermute_b32 v6, v20, v6
	v_and_b32_sdwa v2, v1, s37 dst_sel:DWORD dst_unused:UNUSED_PAD src0_sel:WORD_1 src1_sel:DWORD
	s_waitcnt lgkmcnt(1)
	v_lshlrev_b16_e32 v4, 8, v4
	v_or_b32_sdwa v2, v2, v4 dst_sel:WORD_1 dst_unused:UNUSED_PAD src0_sel:DWORD src1_sel:DWORD
	v_and_or_b32 v2, v1, s41, v2
	v_cndmask_b32_e64 v1, v1, v2, s[22:23]
	v_and_b32_sdwa v2, v1, s37 dst_sel:DWORD dst_unused:UNUSED_PAD src0_sel:WORD_1 src1_sel:DWORD
	s_waitcnt lgkmcnt(0)
	v_lshlrev_b16_e32 v4, 8, v6
	v_or_b32_sdwa v2, v2, v4 dst_sel:WORD_1 dst_unused:UNUSED_PAD src0_sel:DWORD src1_sel:DWORD
	v_and_or_b32 v2, v1, s41, v2
	v_cndmask_b32_e64 v22, v1, v2, s[20:21]
	v_and_b32_e32 v1, 1, v22
	v_add_co_u32_e64 v2, s[30:31], -1, v1
	v_addc_co_u32_e64 v6, s[30:31], 0, -1, s[30:31]
	v_cmp_ne_u32_e64 s[30:31], 0, v1
	v_xor_b32_e32 v1, s31, v6
	v_lshlrev_b32_e32 v6, 30, v22
	v_xor_b32_e32 v2, s30, v2
	v_cmp_gt_i64_e64 s[30:31], 0, v[5:6]
	v_not_b32_e32 v6, v6
	v_ashrrev_i32_e32 v6, 31, v6
	v_and_b32_e32 v2, exec_lo, v2
	v_xor_b32_e32 v23, s31, v6
	v_xor_b32_e32 v6, s30, v6
	v_and_b32_e32 v2, v2, v6
	v_lshlrev_b32_e32 v6, 29, v22
	v_cmp_gt_i64_e64 s[30:31], 0, v[5:6]
	v_not_b32_e32 v6, v6
	v_and_b32_e32 v1, exec_hi, v1
	v_ashrrev_i32_e32 v6, 31, v6
	v_and_b32_e32 v1, v1, v23
	v_xor_b32_e32 v23, s31, v6
	v_xor_b32_e32 v6, s30, v6
	v_and_b32_e32 v2, v2, v6
	v_lshlrev_b32_e32 v6, 28, v22
	v_cmp_gt_i64_e64 s[30:31], 0, v[5:6]
	v_not_b32_e32 v6, v6
	v_ashrrev_i32_e32 v6, 31, v6
	v_and_b32_e32 v1, v1, v23
	v_xor_b32_e32 v23, s31, v6
	v_xor_b32_e32 v6, s30, v6
	v_and_b32_e32 v2, v2, v6
	v_lshlrev_b32_e32 v6, 27, v22
	v_cmp_gt_i64_e64 s[30:31], 0, v[5:6]
	v_not_b32_e32 v6, v6
	v_ashrrev_i32_e32 v6, 31, v6
	v_and_b32_e32 v1, v1, v23
	v_xor_b32_e32 v23, s31, v6
	v_xor_b32_e32 v6, s30, v6
	v_and_b32_e32 v2, v2, v6
	v_lshlrev_b32_e32 v6, 26, v22
	v_cmp_gt_i64_e64 s[30:31], 0, v[5:6]
	v_not_b32_e32 v6, v6
	v_ashrrev_i32_e32 v6, 31, v6
	v_and_b32_e32 v1, v1, v23
	v_xor_b32_e32 v23, s31, v6
	v_xor_b32_e32 v6, s30, v6
	v_and_b32_e32 v2, v2, v6
	v_lshlrev_b32_e32 v6, 25, v22
	v_cmp_gt_i64_e64 s[30:31], 0, v[5:6]
	v_not_b32_e32 v6, v6
	v_ashrrev_i32_e32 v6, 31, v6
	v_and_b32_e32 v1, v1, v23
	v_xor_b32_e32 v23, s31, v6
	v_xor_b32_e32 v6, s30, v6
	v_and_b32_e32 v1, v1, v23
	v_and_b32_e32 v23, v2, v6
	v_lshlrev_b32_e32 v6, 24, v22
	v_cmp_gt_i64_e64 s[30:31], 0, v[5:6]
	v_not_b32_e32 v2, v6
	v_ashrrev_i32_e32 v2, 31, v2
	v_xor_b32_e32 v6, s31, v2
	v_xor_b32_e32 v24, s30, v2
	v_and_b32_e32 v4, 0xff, v3
	v_and_b32_e32 v2, v1, v6
	;; [unrolled: 1-line block ×3, first 2 shown]
	v_bfe_u32 v6, v3, 8, 8
	v_bfe_u32 v23, v3, 16, 8
	v_lshrrev_b32_e32 v3, 24, v3
	ds_bpermute_b32 v39, v16, v4
	ds_bpermute_b32 v36, v18, v4
	;; [unrolled: 1-line block ×16, first 2 shown]
	v_mbcnt_lo_u32_b32 v3, v1, 0
	v_mbcnt_hi_u32_b32 v23, v2, v3
	v_cmp_ne_u64_e64 s[30:31], 0, v[1:2]
	v_cmp_eq_u32_e64 s[34:35], 0, v23
	v_lshlrev_b32_sdwa v3, v11, v22 dst_sel:DWORD dst_unused:UNUSED_PAD src0_sel:DWORD src1_sel:BYTE_0
	s_and_b64 s[34:35], s[30:31], s[34:35]
	v_add_u32_e32 v24, v21, v3
	s_waitcnt lgkmcnt(0)
	s_barrier
	ds_write2_b64 v12, v[7:8], v[9:10] offset0:2 offset1:3
	s_waitcnt lgkmcnt(0)
	s_barrier
	; wave barrier
	s_and_saveexec_b64 s[30:31], s[34:35]
; %bb.3:                                ;   in Loop: Header=BB77_2 Depth=1
	v_bcnt_u32_b32 v1, v1, 0
	v_bcnt_u32_b32 v1, v2, v1
	ds_write_b32 v24, v1 offset:16
; %bb.4:                                ;   in Loop: Header=BB77_2 Depth=1
	s_or_b64 exec, exec, s[30:31]
	v_lshlrev_b32_sdwa v1, v11, v22 dst_sel:DWORD dst_unused:UNUSED_PAD src0_sel:DWORD src1_sel:BYTE_1
	v_add_u32_e32 v31, v21, v1
	v_bfe_u32 v1, v22, 8, 1
	v_add_co_u32_e64 v2, s[30:31], -1, v1
	v_lshrrev_b32_e32 v25, 8, v22
	v_addc_co_u32_e64 v3, s[30:31], 0, -1, s[30:31]
	v_cmp_ne_u32_e64 s[30:31], 0, v1
	v_lshlrev_b32_e32 v6, 30, v25
	v_xor_b32_e32 v1, s31, v3
	v_xor_b32_e32 v2, s30, v2
	v_cmp_gt_i64_e64 s[30:31], 0, v[5:6]
	v_not_b32_e32 v3, v6
	v_ashrrev_i32_e32 v3, 31, v3
	v_and_b32_e32 v2, exec_lo, v2
	v_xor_b32_e32 v4, s31, v3
	v_xor_b32_e32 v3, s30, v3
	v_lshlrev_b32_e32 v6, 29, v25
	v_and_b32_e32 v2, v2, v3
	v_cmp_gt_i64_e64 s[30:31], 0, v[5:6]
	v_not_b32_e32 v3, v6
	v_and_b32_e32 v1, exec_hi, v1
	v_ashrrev_i32_e32 v3, 31, v3
	v_and_b32_e32 v1, v1, v4
	v_xor_b32_e32 v4, s31, v3
	v_xor_b32_e32 v3, s30, v3
	v_lshlrev_b32_e32 v6, 28, v25
	v_and_b32_e32 v2, v2, v3
	v_cmp_gt_i64_e64 s[30:31], 0, v[5:6]
	v_not_b32_e32 v3, v6
	v_ashrrev_i32_e32 v3, 31, v3
	v_and_b32_e32 v1, v1, v4
	v_xor_b32_e32 v4, s31, v3
	v_xor_b32_e32 v3, s30, v3
	v_lshlrev_b32_e32 v6, 27, v25
	v_and_b32_e32 v2, v2, v3
	v_cmp_gt_i64_e64 s[30:31], 0, v[5:6]
	v_not_b32_e32 v3, v6
	;; [unrolled: 8-line block ×5, first 2 shown]
	v_ashrrev_i32_e32 v2, 31, v2
	v_and_b32_e32 v1, v1, v4
	v_xor_b32_e32 v4, s31, v2
	v_xor_b32_e32 v6, s30, v2
	; wave barrier
	ds_read_b32 v30, v31 offset:16
	v_and_b32_e32 v2, v1, v4
	v_and_b32_e32 v1, v3, v6
	v_mbcnt_lo_u32_b32 v3, v1, 0
	v_mbcnt_hi_u32_b32 v44, v2, v3
	v_cmp_ne_u64_e64 s[30:31], 0, v[1:2]
	v_cmp_eq_u32_e64 s[34:35], 0, v44
	s_and_b64 s[34:35], s[30:31], s[34:35]
	; wave barrier
	s_and_saveexec_b64 s[30:31], s[34:35]
	s_cbranch_execz .LBB77_6
; %bb.5:                                ;   in Loop: Header=BB77_2 Depth=1
	v_bcnt_u32_b32 v1, v1, 0
	v_bcnt_u32_b32 v1, v2, v1
	s_waitcnt lgkmcnt(0)
	v_add_u32_e32 v1, v30, v1
	ds_write_b32 v31, v1 offset:16
.LBB77_6:                               ;   in Loop: Header=BB77_2 Depth=1
	s_or_b64 exec, exec, s[30:31]
	v_lshlrev_b32_sdwa v1, v11, v22 dst_sel:DWORD dst_unused:UNUSED_PAD src0_sel:DWORD src1_sel:BYTE_2
	v_add_u32_e32 v47, v21, v1
	v_bfe_u32 v1, v22, 16, 1
	v_add_co_u32_e64 v2, s[30:31], -1, v1
	v_lshrrev_b32_e32 v45, 16, v22
	v_addc_co_u32_e64 v3, s[30:31], 0, -1, s[30:31]
	v_cmp_ne_u32_e64 s[30:31], 0, v1
	v_lshlrev_b32_e32 v6, 30, v45
	v_xor_b32_e32 v1, s31, v3
	v_xor_b32_e32 v2, s30, v2
	v_cmp_gt_i64_e64 s[30:31], 0, v[5:6]
	v_not_b32_e32 v3, v6
	v_ashrrev_i32_e32 v3, 31, v3
	v_and_b32_e32 v2, exec_lo, v2
	v_xor_b32_e32 v4, s31, v3
	v_xor_b32_e32 v3, s30, v3
	v_lshlrev_b32_e32 v6, 29, v45
	v_and_b32_e32 v2, v2, v3
	v_cmp_gt_i64_e64 s[30:31], 0, v[5:6]
	v_not_b32_e32 v3, v6
	v_and_b32_e32 v1, exec_hi, v1
	v_ashrrev_i32_e32 v3, 31, v3
	v_and_b32_e32 v1, v1, v4
	v_xor_b32_e32 v4, s31, v3
	v_xor_b32_e32 v3, s30, v3
	v_lshlrev_b32_e32 v6, 28, v45
	v_and_b32_e32 v2, v2, v3
	v_cmp_gt_i64_e64 s[30:31], 0, v[5:6]
	v_not_b32_e32 v3, v6
	v_ashrrev_i32_e32 v3, 31, v3
	v_and_b32_e32 v1, v1, v4
	v_xor_b32_e32 v4, s31, v3
	v_xor_b32_e32 v3, s30, v3
	v_lshlrev_b32_e32 v6, 27, v45
	v_and_b32_e32 v2, v2, v3
	v_cmp_gt_i64_e64 s[30:31], 0, v[5:6]
	v_not_b32_e32 v3, v6
	;; [unrolled: 8-line block ×5, first 2 shown]
	v_ashrrev_i32_e32 v2, 31, v2
	v_and_b32_e32 v1, v1, v4
	v_xor_b32_e32 v4, s31, v2
	v_xor_b32_e32 v6, s30, v2
	; wave barrier
	ds_read_b32 v46, v47 offset:16
	v_and_b32_e32 v2, v1, v4
	v_and_b32_e32 v1, v3, v6
	v_mbcnt_lo_u32_b32 v3, v1, 0
	v_mbcnt_hi_u32_b32 v48, v2, v3
	v_cmp_ne_u64_e64 s[30:31], 0, v[1:2]
	v_cmp_eq_u32_e64 s[34:35], 0, v48
	s_and_b64 s[34:35], s[30:31], s[34:35]
	; wave barrier
	s_and_saveexec_b64 s[30:31], s[34:35]
	s_cbranch_execz .LBB77_8
; %bb.7:                                ;   in Loop: Header=BB77_2 Depth=1
	v_bcnt_u32_b32 v1, v1, 0
	v_bcnt_u32_b32 v1, v2, v1
	s_waitcnt lgkmcnt(0)
	v_add_u32_e32 v1, v46, v1
	ds_write_b32 v47, v1 offset:16
.LBB77_8:                               ;   in Loop: Header=BB77_2 Depth=1
	s_or_b64 exec, exec, s[30:31]
	v_lshrrev_b32_e32 v49, 24, v22
	v_lshlrev_b32_e32 v1, 4, v49
	v_add_u32_e32 v51, v21, v1
	v_bfe_u32 v1, v22, 24, 1
	v_add_co_u32_e64 v2, s[30:31], -1, v1
	v_addc_co_u32_e64 v3, s[30:31], 0, -1, s[30:31]
	v_cmp_ne_u32_e64 s[30:31], 0, v1
	v_lshlrev_b32_e32 v6, 30, v49
	v_xor_b32_e32 v1, s31, v3
	v_xor_b32_e32 v2, s30, v2
	v_cmp_gt_i64_e64 s[30:31], 0, v[5:6]
	v_not_b32_e32 v3, v6
	v_ashrrev_i32_e32 v3, 31, v3
	v_and_b32_e32 v2, exec_lo, v2
	v_xor_b32_e32 v4, s31, v3
	v_xor_b32_e32 v3, s30, v3
	v_lshlrev_b32_e32 v6, 29, v49
	v_and_b32_e32 v2, v2, v3
	v_cmp_gt_i64_e64 s[30:31], 0, v[5:6]
	v_not_b32_e32 v3, v6
	v_and_b32_e32 v1, exec_hi, v1
	v_ashrrev_i32_e32 v3, 31, v3
	v_and_b32_e32 v1, v1, v4
	v_xor_b32_e32 v4, s31, v3
	v_xor_b32_e32 v3, s30, v3
	v_lshlrev_b32_e32 v6, 28, v49
	v_and_b32_e32 v2, v2, v3
	v_cmp_gt_i64_e64 s[30:31], 0, v[5:6]
	v_not_b32_e32 v3, v6
	v_ashrrev_i32_e32 v3, 31, v3
	v_and_b32_e32 v1, v1, v4
	v_xor_b32_e32 v4, s31, v3
	v_xor_b32_e32 v3, s30, v3
	v_lshlrev_b32_e32 v6, 27, v49
	v_and_b32_e32 v2, v2, v3
	v_cmp_gt_i64_e64 s[30:31], 0, v[5:6]
	v_not_b32_e32 v3, v6
	;; [unrolled: 8-line block ×4, first 2 shown]
	v_ashrrev_i32_e32 v3, 31, v3
	v_and_b32_e32 v1, v1, v4
	v_xor_b32_e32 v4, s31, v3
	v_xor_b32_e32 v3, s30, v3
	v_and_b32_e32 v6, 0xff000000, v22
	v_and_b32_e32 v3, v2, v3
	v_cmp_gt_i64_e64 s[30:31], 0, v[5:6]
	v_not_b32_e32 v2, v6
	v_ashrrev_i32_e32 v2, 31, v2
	v_and_b32_e32 v1, v1, v4
	v_xor_b32_e32 v4, s31, v2
	v_xor_b32_e32 v6, s30, v2
	; wave barrier
	ds_read_b32 v50, v51 offset:16
	v_and_b32_e32 v2, v1, v4
	v_and_b32_e32 v1, v3, v6
	v_mbcnt_lo_u32_b32 v3, v1, 0
	v_mbcnt_hi_u32_b32 v6, v2, v3
	v_cmp_ne_u64_e64 s[30:31], 0, v[1:2]
	v_cmp_eq_u32_e64 s[34:35], 0, v6
	s_and_b64 s[34:35], s[30:31], s[34:35]
	; wave barrier
	s_and_saveexec_b64 s[30:31], s[34:35]
	s_cbranch_execz .LBB77_10
; %bb.9:                                ;   in Loop: Header=BB77_2 Depth=1
	v_bcnt_u32_b32 v1, v1, 0
	v_bcnt_u32_b32 v1, v2, v1
	s_waitcnt lgkmcnt(0)
	v_add_u32_e32 v1, v50, v1
	ds_write_b32 v51, v1 offset:16
.LBB77_10:                              ;   in Loop: Header=BB77_2 Depth=1
	s_or_b64 exec, exec, s[30:31]
	; wave barrier
	s_waitcnt lgkmcnt(0)
	s_barrier
	ds_read2_b64 v[1:4], v12 offset0:2 offset1:3
	s_waitcnt lgkmcnt(0)
	v_add_u32_e32 v52, v2, v1
	v_add3_u32 v4, v52, v3, v4
	s_nop 1
	v_mov_b32_dpp v52, v4 row_shr:1 row_mask:0xf bank_mask:0xf
	v_cndmask_b32_e64 v52, v52, 0, s[12:13]
	v_add_u32_e32 v4, v52, v4
	s_nop 1
	v_mov_b32_dpp v52, v4 row_shr:2 row_mask:0xf bank_mask:0xf
	v_cndmask_b32_e64 v52, 0, v52, s[14:15]
	v_add_u32_e32 v4, v4, v52
	s_nop 1
	v_mov_b32_dpp v52, v4 row_shr:4 row_mask:0xf bank_mask:0xf
	v_cndmask_b32_e64 v52, 0, v52, s[16:17]
	v_add_u32_e32 v4, v4, v52
	s_nop 1
	v_mov_b32_dpp v52, v4 row_shr:8 row_mask:0xf bank_mask:0xf
	v_cndmask_b32_e64 v52, 0, v52, s[18:19]
	v_add_u32_e32 v4, v4, v52
	s_nop 1
	v_mov_b32_dpp v52, v4 row_bcast:15 row_mask:0xf bank_mask:0xf
	v_cndmask_b32_e64 v52, v52, 0, s[26:27]
	v_add_u32_e32 v4, v4, v52
	s_nop 1
	v_mov_b32_dpp v52, v4 row_bcast:31 row_mask:0xf bank_mask:0xf
	v_cndmask_b32_e64 v52, 0, v52, s[8:9]
	v_add_u32_e32 v4, v4, v52
	s_and_saveexec_b64 s[30:31], s[6:7]
; %bb.11:                               ;   in Loop: Header=BB77_2 Depth=1
	ds_write_b32 v13, v4
; %bb.12:                               ;   in Loop: Header=BB77_2 Depth=1
	s_or_b64 exec, exec, s[30:31]
	s_waitcnt lgkmcnt(0)
	s_barrier
	s_and_saveexec_b64 s[30:31], s[0:1]
	s_cbranch_execz .LBB77_14
; %bb.13:                               ;   in Loop: Header=BB77_2 Depth=1
	ds_read_b32 v52, v14
	s_waitcnt lgkmcnt(0)
	s_nop 0
	v_mov_b32_dpp v53, v52 row_shr:1 row_mask:0xf bank_mask:0xf
	v_cndmask_b32_e64 v53, v53, 0, vcc
	v_add_u32_e32 v52, v53, v52
	s_nop 1
	v_mov_b32_dpp v53, v52 row_shr:2 row_mask:0xf bank_mask:0xf
	v_cndmask_b32_e64 v53, 0, v53, s[28:29]
	v_add_u32_e32 v52, v52, v53
	ds_write_b32 v14, v52
.LBB77_14:                              ;   in Loop: Header=BB77_2 Depth=1
	s_or_b64 exec, exec, s[30:31]
	v_mov_b32_e32 v52, 0
	s_waitcnt lgkmcnt(0)
	s_barrier
	s_and_saveexec_b64 s[30:31], s[2:3]
	s_cbranch_execz .LBB77_1
; %bb.15:                               ;   in Loop: Header=BB77_2 Depth=1
	ds_read_b32 v52, v15
	s_branch .LBB77_1
.LBB77_16:
	s_add_u32 s0, s38, s33
	s_waitcnt lgkmcnt(0)
	v_lshrrev_b32_e32 v1, 8, v3
	s_addc_u32 s1, s39, 0
	v_add_u16_e32 v5, v23, v1
	v_mov_b32_e32 v1, s1
	v_add_co_u32_e32 v0, vcc, s0, v0
	v_add_u16_e32 v2, v22, v3
	v_addc_co_u32_e32 v1, vcc, 0, v1, vcc
	v_add_u16_sdwa v4, v4, v3 dst_sel:DWORD dst_unused:UNUSED_PAD src0_sel:DWORD src1_sel:WORD_1
	v_add_u16_sdwa v3, v6, v3 dst_sel:DWORD dst_unused:UNUSED_PAD src0_sel:DWORD src1_sel:BYTE_3
	global_store_byte v[0:1], v2, off
	global_store_byte v[0:1], v5, off offset:256
	global_store_byte v[0:1], v4, off offset:512
	;; [unrolled: 1-line block ×3, first 2 shown]
	s_endpgm
	.section	.rodata,"a",@progbits
	.p2align	6, 0x0
	.amdhsa_kernel _Z17sort_pairs_kernelI22helper_blocked_blockedaLj256ELj4ELj10EEvPKT0_PS1_
		.amdhsa_group_segment_fixed_size 4112
		.amdhsa_private_segment_fixed_size 0
		.amdhsa_kernarg_size 272
		.amdhsa_user_sgpr_count 6
		.amdhsa_user_sgpr_private_segment_buffer 1
		.amdhsa_user_sgpr_dispatch_ptr 0
		.amdhsa_user_sgpr_queue_ptr 0
		.amdhsa_user_sgpr_kernarg_segment_ptr 1
		.amdhsa_user_sgpr_dispatch_id 0
		.amdhsa_user_sgpr_flat_scratch_init 0
		.amdhsa_user_sgpr_private_segment_size 0
		.amdhsa_uses_dynamic_stack 0
		.amdhsa_system_sgpr_private_segment_wavefront_offset 0
		.amdhsa_system_sgpr_workgroup_id_x 1
		.amdhsa_system_sgpr_workgroup_id_y 0
		.amdhsa_system_sgpr_workgroup_id_z 0
		.amdhsa_system_sgpr_workgroup_info 0
		.amdhsa_system_vgpr_workitem_id 2
		.amdhsa_next_free_vgpr 54
		.amdhsa_next_free_sgpr 49
		.amdhsa_reserve_vcc 1
		.amdhsa_reserve_flat_scratch 0
		.amdhsa_float_round_mode_32 0
		.amdhsa_float_round_mode_16_64 0
		.amdhsa_float_denorm_mode_32 3
		.amdhsa_float_denorm_mode_16_64 3
		.amdhsa_dx10_clamp 1
		.amdhsa_ieee_mode 1
		.amdhsa_fp16_overflow 0
		.amdhsa_exception_fp_ieee_invalid_op 0
		.amdhsa_exception_fp_denorm_src 0
		.amdhsa_exception_fp_ieee_div_zero 0
		.amdhsa_exception_fp_ieee_overflow 0
		.amdhsa_exception_fp_ieee_underflow 0
		.amdhsa_exception_fp_ieee_inexact 0
		.amdhsa_exception_int_div_zero 0
	.end_amdhsa_kernel
	.section	.text._Z17sort_pairs_kernelI22helper_blocked_blockedaLj256ELj4ELj10EEvPKT0_PS1_,"axG",@progbits,_Z17sort_pairs_kernelI22helper_blocked_blockedaLj256ELj4ELj10EEvPKT0_PS1_,comdat
.Lfunc_end77:
	.size	_Z17sort_pairs_kernelI22helper_blocked_blockedaLj256ELj4ELj10EEvPKT0_PS1_, .Lfunc_end77-_Z17sort_pairs_kernelI22helper_blocked_blockedaLj256ELj4ELj10EEvPKT0_PS1_
                                        ; -- End function
	.set _Z17sort_pairs_kernelI22helper_blocked_blockedaLj256ELj4ELj10EEvPKT0_PS1_.num_vgpr, 54
	.set _Z17sort_pairs_kernelI22helper_blocked_blockedaLj256ELj4ELj10EEvPKT0_PS1_.num_agpr, 0
	.set _Z17sort_pairs_kernelI22helper_blocked_blockedaLj256ELj4ELj10EEvPKT0_PS1_.numbered_sgpr, 49
	.set _Z17sort_pairs_kernelI22helper_blocked_blockedaLj256ELj4ELj10EEvPKT0_PS1_.num_named_barrier, 0
	.set _Z17sort_pairs_kernelI22helper_blocked_blockedaLj256ELj4ELj10EEvPKT0_PS1_.private_seg_size, 0
	.set _Z17sort_pairs_kernelI22helper_blocked_blockedaLj256ELj4ELj10EEvPKT0_PS1_.uses_vcc, 1
	.set _Z17sort_pairs_kernelI22helper_blocked_blockedaLj256ELj4ELj10EEvPKT0_PS1_.uses_flat_scratch, 0
	.set _Z17sort_pairs_kernelI22helper_blocked_blockedaLj256ELj4ELj10EEvPKT0_PS1_.has_dyn_sized_stack, 0
	.set _Z17sort_pairs_kernelI22helper_blocked_blockedaLj256ELj4ELj10EEvPKT0_PS1_.has_recursion, 0
	.set _Z17sort_pairs_kernelI22helper_blocked_blockedaLj256ELj4ELj10EEvPKT0_PS1_.has_indirect_call, 0
	.section	.AMDGPU.csdata,"",@progbits
; Kernel info:
; codeLenInByte = 4064
; TotalNumSgprs: 53
; NumVgprs: 54
; ScratchSize: 0
; MemoryBound: 0
; FloatMode: 240
; IeeeMode: 1
; LDSByteSize: 4112 bytes/workgroup (compile time only)
; SGPRBlocks: 6
; VGPRBlocks: 13
; NumSGPRsForWavesPerEU: 53
; NumVGPRsForWavesPerEU: 54
; Occupancy: 4
; WaveLimiterHint : 1
; COMPUTE_PGM_RSRC2:SCRATCH_EN: 0
; COMPUTE_PGM_RSRC2:USER_SGPR: 6
; COMPUTE_PGM_RSRC2:TRAP_HANDLER: 0
; COMPUTE_PGM_RSRC2:TGID_X_EN: 1
; COMPUTE_PGM_RSRC2:TGID_Y_EN: 0
; COMPUTE_PGM_RSRC2:TGID_Z_EN: 0
; COMPUTE_PGM_RSRC2:TIDIG_COMP_CNT: 2
	.section	.text._Z16sort_keys_kernelI22helper_blocked_blockedaLj256ELj8ELj10EEvPKT0_PS1_,"axG",@progbits,_Z16sort_keys_kernelI22helper_blocked_blockedaLj256ELj8ELj10EEvPKT0_PS1_,comdat
	.protected	_Z16sort_keys_kernelI22helper_blocked_blockedaLj256ELj8ELj10EEvPKT0_PS1_ ; -- Begin function _Z16sort_keys_kernelI22helper_blocked_blockedaLj256ELj8ELj10EEvPKT0_PS1_
	.globl	_Z16sort_keys_kernelI22helper_blocked_blockedaLj256ELj8ELj10EEvPKT0_PS1_
	.p2align	8
	.type	_Z16sort_keys_kernelI22helper_blocked_blockedaLj256ELj8ELj10EEvPKT0_PS1_,@function
_Z16sort_keys_kernelI22helper_blocked_blockedaLj256ELj8ELj10EEvPKT0_PS1_: ; @_Z16sort_keys_kernelI22helper_blocked_blockedaLj256ELj8ELj10EEvPKT0_PS1_
; %bb.0:
	s_load_dwordx4 s[28:31], s[4:5], 0x0
	s_load_dword s26, s[4:5], 0x1c
	s_lshl_b32 s33, s6, 11
	v_mbcnt_lo_u32_b32 v7, -1, 0
	v_mbcnt_hi_u32_b32 v15, -1, v7
	s_waitcnt lgkmcnt(0)
	s_add_u32 s0, s28, s33
	s_addc_u32 s1, s29, 0
	global_load_ubyte v3, v0, s[0:1] offset:256
	global_load_ubyte v4, v0, s[0:1] offset:512
	;; [unrolled: 1-line block ×5, first 2 shown]
	global_load_ubyte v22, v0, s[0:1]
	global_load_ubyte v23, v0, s[0:1] offset:1024
	global_load_ubyte v24, v0, s[0:1] offset:1536
	v_and_b32_e32 v8, 0xc0, v0
	v_subrev_co_u32_e64 v19, s[4:5], 1, v15
	v_and_b32_e32 v25, 64, v15
	v_or_b32_e32 v18, 63, v8
	v_cmp_lt_i32_e64 s[24:25], v19, v25
	v_cmp_eq_u32_e64 s[18:19], v0, v18
	v_cndmask_b32_e64 v18, v19, v15, s[24:25]
	s_lshr_b32 s24, s26, 16
	s_and_b32 s25, s26, 0xffff
	v_mad_u32_u24 v1, v2, s24, v1
	v_mad_u64_u32 v[1:2], s[24:25], v1, s25, v[0:1]
	s_mov_b32 s8, 0
	s_mov_b32 s27, 0xc0c0004
	v_lshlrev_b32_e32 v7, 3, v0
	v_lshlrev_b32_e32 v11, 4, v0
	v_lshrrev_b32_e32 v9, 4, v0
	v_lshlrev_b32_e32 v10, 2, v0
	s_mov_b32 s10, s8
	v_lshrrev_b32_e32 v1, 4, v1
	s_mov_b32 s9, s8
	s_mov_b32 s11, s8
	v_add_lshl_u32 v12, v15, v8, 3
	v_and_b32_e32 v16, 15, v15
	v_and_b32_e32 v17, 16, v15
	;; [unrolled: 1-line block ×4, first 2 shown]
	v_sub_u32_e32 v13, v11, v7
	v_and_b32_e32 v14, 12, v9
	v_sub_u32_e32 v28, 0, v10
	v_mov_b32_e32 v7, s8
	v_mov_b32_e32 v9, s10
	v_and_b32_e32 v19, 0xffffffc, v1
	v_mov_b32_e32 v5, 0
	s_mov_b32 s28, 10
	s_movk_i32 s29, 0xff00
	s_movk_i32 s34, 0x80
	;; [unrolled: 1-line block ×3, first 2 shown]
	v_cmp_gt_u32_e32 vcc, 4, v0
	v_cmp_lt_u32_e64 s[0:1], 63, v0
	v_cmp_eq_u32_e64 s[2:3], 0, v0
	v_cmp_lt_u32_e64 s[6:7], 31, v15
	v_mov_b32_e32 v8, s9
	v_mov_b32_e32 v10, s11
	v_cmp_eq_u32_e64 s[8:9], 0, v16
	v_cmp_lt_u32_e64 s[10:11], 1, v16
	v_cmp_lt_u32_e64 s[12:13], 3, v16
	;; [unrolled: 1-line block ×3, first 2 shown]
	v_cmp_eq_u32_e64 s[16:17], 0, v17
	v_cmp_eq_u32_e64 s[20:21], 0, v26
	v_cmp_lt_u32_e64 s[22:23], 1, v26
	v_add_u32_e32 v15, v15, v27
	v_add_u32_e32 v16, -4, v14
	v_add_u32_e32 v17, v13, v28
	v_lshlrev_b32_e32 v18, 2, v18
	s_waitcnt vmcnt(3)
	v_perm_b32 v2, v4, v21, s27
	s_waitcnt vmcnt(2)
	v_perm_b32 v1, v22, v3, s27
	;; [unrolled: 2-line block ×4, first 2 shown]
	v_lshl_or_b32 v2, v2, 16, v1
	v_lshl_or_b32 v1, v4, 16, v3
	v_mov_b32_e32 v20, 4
	s_branch .LBB78_2
.LBB78_1:                               ;   in Loop: Header=BB78_2 Depth=1
	s_or_b64 exec, exec, s[24:25]
	s_waitcnt lgkmcnt(0)
	v_add_u32_e32 v4, v51, v4
	ds_bpermute_b32 v4, v18, v4
	s_add_i32 s28, s28, -1
	s_cmp_eq_u32 s28, 0
	s_waitcnt lgkmcnt(0)
	v_cndmask_b32_e64 v4, v4, v51, s[4:5]
	v_cndmask_b32_e64 v51, v4, 0, s[2:3]
	v_add_u32_e32 v52, v51, v1
	v_add_u32_e32 v1, v52, v2
	;; [unrolled: 1-line block ×3, first 2 shown]
	ds_write2_b64 v11, v[51:52], v[1:2] offset0:2 offset1:3
	s_waitcnt lgkmcnt(0)
	s_barrier
	ds_read_b32 v1, v30 offset:16
	ds_read_b32 v2, v32 offset:16
	;; [unrolled: 1-line block ×8, first 2 shown]
	s_waitcnt lgkmcnt(7)
	v_add_u32_e32 v1, v1, v29
	s_waitcnt lgkmcnt(0)
	s_barrier
	ds_write_b8 v1, v28
	v_add3_u32 v1, v33, v31, v2
	ds_write_b8 v1, v27
	v_add3_u32 v1, v36, v34, v3
	;; [unrolled: 2-line block ×7, first 2 shown]
	ds_write_b8 v1, v21
	s_waitcnt lgkmcnt(0)
	s_barrier
	ds_read_b64 v[2:3], v13
	s_waitcnt lgkmcnt(0)
	v_and_b32_e32 v1, 0xffffff00, v2
	v_xor_b32_e32 v4, 0x80, v2
	v_or_b32_sdwa v1, v4, v1 dst_sel:DWORD dst_unused:UNUSED_PAD src0_sel:BYTE_0 src1_sel:DWORD
	v_and_b32_sdwa v4, v2, s29 dst_sel:DWORD dst_unused:UNUSED_PAD src0_sel:WORD_1 src1_sel:DWORD
	v_xor_b32_sdwa v2, v2, s34 dst_sel:DWORD dst_unused:UNUSED_PAD src0_sel:WORD_1 src1_sel:DWORD
	v_or_b32_sdwa v2, v2, v4 dst_sel:DWORD dst_unused:UNUSED_PAD src0_sel:BYTE_0 src1_sel:DWORD
	v_add_u16_e32 v1, 0x8000, v1
	v_add_u16_sdwa v2, v2, s35 dst_sel:WORD_1 dst_unused:UNUSED_PAD src0_sel:DWORD src1_sel:DWORD
	v_or_b32_e32 v2, v1, v2
	v_and_b32_e32 v1, 0xffffff00, v3
	v_xor_b32_e32 v4, 0x80, v3
	v_or_b32_sdwa v1, v4, v1 dst_sel:DWORD dst_unused:UNUSED_PAD src0_sel:BYTE_0 src1_sel:DWORD
	v_and_b32_sdwa v4, v3, s29 dst_sel:DWORD dst_unused:UNUSED_PAD src0_sel:WORD_1 src1_sel:DWORD
	v_xor_b32_sdwa v3, v3, s34 dst_sel:DWORD dst_unused:UNUSED_PAD src0_sel:WORD_1 src1_sel:DWORD
	v_or_b32_sdwa v3, v3, v4 dst_sel:DWORD dst_unused:UNUSED_PAD src0_sel:BYTE_0 src1_sel:DWORD
	v_add_u16_e32 v1, 0x8000, v1
	v_add_u16_sdwa v3, v3, s35 dst_sel:WORD_1 dst_unused:UNUSED_PAD src0_sel:DWORD src1_sel:DWORD
	v_or_b32_e32 v1, v1, v3
	s_cbranch_scc1 .LBB78_24
.LBB78_2:                               ; =>This Inner Loop Header: Depth=1
	v_and_b32_e32 v3, 0xffffff00, v2
	v_xor_b32_e32 v4, 0x80, v2
	v_or_b32_sdwa v3, v4, v3 dst_sel:DWORD dst_unused:UNUSED_PAD src0_sel:BYTE_0 src1_sel:DWORD
	v_and_b32_sdwa v4, v2, s29 dst_sel:DWORD dst_unused:UNUSED_PAD src0_sel:WORD_1 src1_sel:DWORD
	v_xor_b32_sdwa v2, v2, s34 dst_sel:DWORD dst_unused:UNUSED_PAD src0_sel:WORD_1 src1_sel:DWORD
	v_or_b32_sdwa v2, v2, v4 dst_sel:DWORD dst_unused:UNUSED_PAD src0_sel:BYTE_0 src1_sel:DWORD
	v_add_u16_e32 v3, 0x8000, v3
	v_add_u16_sdwa v2, v2, s35 dst_sel:WORD_1 dst_unused:UNUSED_PAD src0_sel:DWORD src1_sel:DWORD
	v_or_b32_e32 v2, v3, v2
	v_and_b32_e32 v3, 0xffffff00, v1
	v_xor_b32_e32 v4, 0x80, v1
	v_or_b32_sdwa v3, v4, v3 dst_sel:DWORD dst_unused:UNUSED_PAD src0_sel:BYTE_0 src1_sel:DWORD
	v_and_b32_sdwa v4, v1, s29 dst_sel:DWORD dst_unused:UNUSED_PAD src0_sel:WORD_1 src1_sel:DWORD
	v_xor_b32_sdwa v1, v1, s34 dst_sel:DWORD dst_unused:UNUSED_PAD src0_sel:WORD_1 src1_sel:DWORD
	v_or_b32_sdwa v1, v1, v4 dst_sel:DWORD dst_unused:UNUSED_PAD src0_sel:BYTE_0 src1_sel:DWORD
	v_add_u16_e32 v3, 0x8000, v3
	v_add_u16_sdwa v1, v1, s35 dst_sel:WORD_1 dst_unused:UNUSED_PAD src0_sel:DWORD src1_sel:DWORD
	v_or_b32_e32 v3, v3, v1
	ds_write_b64 v12, v[2:3]
	; wave barrier
	ds_read_u8 v28, v15
	ds_read_u8 v27, v15 offset:64
	ds_read_u8 v26, v15 offset:128
	;; [unrolled: 1-line block ×7, first 2 shown]
	s_waitcnt lgkmcnt(7)
	v_and_b32_e32 v1, 1, v28
	v_cmp_ne_u32_e64 s[24:25], 0, v1
	v_add_co_u32_e64 v1, s[26:27], -1, v1
	v_addc_co_u32_e64 v2, s[26:27], 0, -1, s[26:27]
	v_lshlrev_b32_e32 v6, 30, v28
	v_cmp_gt_i64_e64 s[26:27], 0, v[5:6]
	v_not_b32_e32 v3, v6
	v_ashrrev_i32_e32 v3, 31, v3
	v_xor_b32_e32 v1, s24, v1
	v_xor_b32_e32 v4, s27, v3
	v_and_b32_e32 v1, exec_lo, v1
	v_xor_b32_e32 v3, s26, v3
	v_lshlrev_b32_e32 v6, 29, v28
	v_xor_b32_e32 v2, s25, v2
	v_and_b32_e32 v1, v1, v3
	v_cmp_gt_i64_e64 s[24:25], 0, v[5:6]
	v_not_b32_e32 v3, v6
	v_and_b32_e32 v2, exec_hi, v2
	v_ashrrev_i32_e32 v3, 31, v3
	v_and_b32_e32 v2, v2, v4
	v_xor_b32_e32 v4, s25, v3
	v_xor_b32_e32 v3, s24, v3
	v_lshlrev_b32_e32 v6, 28, v28
	v_and_b32_e32 v1, v1, v3
	v_cmp_gt_i64_e64 s[24:25], 0, v[5:6]
	v_not_b32_e32 v3, v6
	v_ashrrev_i32_e32 v3, 31, v3
	v_and_b32_e32 v2, v2, v4
	v_xor_b32_e32 v4, s25, v3
	v_xor_b32_e32 v3, s24, v3
	v_lshlrev_b32_e32 v6, 27, v28
	v_and_b32_e32 v1, v1, v3
	v_cmp_gt_i64_e64 s[24:25], 0, v[5:6]
	v_not_b32_e32 v3, v6
	;; [unrolled: 8-line block ×5, first 2 shown]
	v_ashrrev_i32_e32 v3, 31, v3
	v_and_b32_e32 v2, v2, v4
	v_xor_b32_e32 v4, s25, v3
	v_xor_b32_e32 v3, s24, v3
	v_and_b32_e32 v1, v1, v3
	v_and_b32_e32 v2, v2, v4
	v_mbcnt_lo_u32_b32 v3, v1, 0
	v_mbcnt_hi_u32_b32 v29, v2, v3
	v_cmp_ne_u64_e64 s[24:25], 0, v[1:2]
	v_cmp_eq_u32_e64 s[26:27], 0, v29
	v_lshlrev_b32_sdwa v3, v20, v28 dst_sel:DWORD dst_unused:UNUSED_PAD src0_sel:DWORD src1_sel:BYTE_0
	s_and_b64 s[26:27], s[24:25], s[26:27]
	v_add_u32_e32 v30, v19, v3
	; wave barrier
	; wave barrier
	s_waitcnt lgkmcnt(0)
	s_barrier
	ds_write2_b64 v11, v[7:8], v[9:10] offset0:2 offset1:3
	s_waitcnt lgkmcnt(0)
	s_barrier
	; wave barrier
	s_and_saveexec_b64 s[24:25], s[26:27]
; %bb.3:                                ;   in Loop: Header=BB78_2 Depth=1
	v_bcnt_u32_b32 v1, v1, 0
	v_bcnt_u32_b32 v1, v2, v1
	ds_write_b32 v30, v1 offset:16
; %bb.4:                                ;   in Loop: Header=BB78_2 Depth=1
	s_or_b64 exec, exec, s[24:25]
	v_lshlrev_b32_sdwa v1, v20, v27 dst_sel:DWORD dst_unused:UNUSED_PAD src0_sel:DWORD src1_sel:BYTE_0
	v_add_u32_e32 v32, v19, v1
	v_and_b32_e32 v1, 1, v27
	v_add_co_u32_e64 v2, s[24:25], -1, v1
	v_addc_co_u32_e64 v3, s[24:25], 0, -1, s[24:25]
	v_cmp_ne_u32_e64 s[24:25], 0, v1
	v_lshlrev_b32_e32 v6, 30, v27
	v_xor_b32_e32 v1, s25, v3
	v_xor_b32_e32 v2, s24, v2
	v_cmp_gt_i64_e64 s[24:25], 0, v[5:6]
	v_not_b32_e32 v3, v6
	v_ashrrev_i32_e32 v3, 31, v3
	v_and_b32_e32 v2, exec_lo, v2
	v_xor_b32_e32 v4, s25, v3
	v_xor_b32_e32 v3, s24, v3
	v_lshlrev_b32_e32 v6, 29, v27
	v_and_b32_e32 v2, v2, v3
	v_cmp_gt_i64_e64 s[24:25], 0, v[5:6]
	v_not_b32_e32 v3, v6
	v_and_b32_e32 v1, exec_hi, v1
	v_ashrrev_i32_e32 v3, 31, v3
	v_and_b32_e32 v1, v1, v4
	v_xor_b32_e32 v4, s25, v3
	v_xor_b32_e32 v3, s24, v3
	v_lshlrev_b32_e32 v6, 28, v27
	v_and_b32_e32 v2, v2, v3
	v_cmp_gt_i64_e64 s[24:25], 0, v[5:6]
	v_not_b32_e32 v3, v6
	v_ashrrev_i32_e32 v3, 31, v3
	v_and_b32_e32 v1, v1, v4
	v_xor_b32_e32 v4, s25, v3
	v_xor_b32_e32 v3, s24, v3
	v_lshlrev_b32_e32 v6, 27, v27
	v_and_b32_e32 v2, v2, v3
	v_cmp_gt_i64_e64 s[24:25], 0, v[5:6]
	v_not_b32_e32 v3, v6
	;; [unrolled: 8-line block ×5, first 2 shown]
	v_ashrrev_i32_e32 v2, 31, v2
	v_and_b32_e32 v1, v1, v4
	v_xor_b32_e32 v4, s25, v2
	v_xor_b32_e32 v6, s24, v2
	; wave barrier
	ds_read_b32 v31, v32 offset:16
	v_and_b32_e32 v2, v1, v4
	v_and_b32_e32 v1, v3, v6
	v_mbcnt_lo_u32_b32 v3, v1, 0
	v_mbcnt_hi_u32_b32 v33, v2, v3
	v_cmp_ne_u64_e64 s[24:25], 0, v[1:2]
	v_cmp_eq_u32_e64 s[26:27], 0, v33
	s_and_b64 s[26:27], s[24:25], s[26:27]
	; wave barrier
	s_and_saveexec_b64 s[24:25], s[26:27]
	s_cbranch_execz .LBB78_6
; %bb.5:                                ;   in Loop: Header=BB78_2 Depth=1
	v_bcnt_u32_b32 v1, v1, 0
	v_bcnt_u32_b32 v1, v2, v1
	s_waitcnt lgkmcnt(0)
	v_add_u32_e32 v1, v31, v1
	ds_write_b32 v32, v1 offset:16
.LBB78_6:                               ;   in Loop: Header=BB78_2 Depth=1
	s_or_b64 exec, exec, s[24:25]
	v_lshlrev_b32_sdwa v1, v20, v26 dst_sel:DWORD dst_unused:UNUSED_PAD src0_sel:DWORD src1_sel:BYTE_0
	v_add_u32_e32 v35, v19, v1
	v_and_b32_e32 v1, 1, v26
	v_add_co_u32_e64 v2, s[24:25], -1, v1
	v_addc_co_u32_e64 v3, s[24:25], 0, -1, s[24:25]
	v_cmp_ne_u32_e64 s[24:25], 0, v1
	v_lshlrev_b32_e32 v6, 30, v26
	v_xor_b32_e32 v1, s25, v3
	v_xor_b32_e32 v2, s24, v2
	v_cmp_gt_i64_e64 s[24:25], 0, v[5:6]
	v_not_b32_e32 v3, v6
	v_ashrrev_i32_e32 v3, 31, v3
	v_and_b32_e32 v2, exec_lo, v2
	v_xor_b32_e32 v4, s25, v3
	v_xor_b32_e32 v3, s24, v3
	v_lshlrev_b32_e32 v6, 29, v26
	v_and_b32_e32 v2, v2, v3
	v_cmp_gt_i64_e64 s[24:25], 0, v[5:6]
	v_not_b32_e32 v3, v6
	v_and_b32_e32 v1, exec_hi, v1
	v_ashrrev_i32_e32 v3, 31, v3
	v_and_b32_e32 v1, v1, v4
	v_xor_b32_e32 v4, s25, v3
	v_xor_b32_e32 v3, s24, v3
	v_lshlrev_b32_e32 v6, 28, v26
	v_and_b32_e32 v2, v2, v3
	v_cmp_gt_i64_e64 s[24:25], 0, v[5:6]
	v_not_b32_e32 v3, v6
	v_ashrrev_i32_e32 v3, 31, v3
	v_and_b32_e32 v1, v1, v4
	v_xor_b32_e32 v4, s25, v3
	v_xor_b32_e32 v3, s24, v3
	v_lshlrev_b32_e32 v6, 27, v26
	v_and_b32_e32 v2, v2, v3
	v_cmp_gt_i64_e64 s[24:25], 0, v[5:6]
	v_not_b32_e32 v3, v6
	;; [unrolled: 8-line block ×5, first 2 shown]
	v_ashrrev_i32_e32 v2, 31, v2
	v_and_b32_e32 v1, v1, v4
	v_xor_b32_e32 v4, s25, v2
	v_xor_b32_e32 v6, s24, v2
	; wave barrier
	ds_read_b32 v34, v35 offset:16
	v_and_b32_e32 v2, v1, v4
	v_and_b32_e32 v1, v3, v6
	v_mbcnt_lo_u32_b32 v3, v1, 0
	v_mbcnt_hi_u32_b32 v36, v2, v3
	v_cmp_ne_u64_e64 s[24:25], 0, v[1:2]
	v_cmp_eq_u32_e64 s[26:27], 0, v36
	s_and_b64 s[26:27], s[24:25], s[26:27]
	; wave barrier
	s_and_saveexec_b64 s[24:25], s[26:27]
	s_cbranch_execz .LBB78_8
; %bb.7:                                ;   in Loop: Header=BB78_2 Depth=1
	v_bcnt_u32_b32 v1, v1, 0
	v_bcnt_u32_b32 v1, v2, v1
	s_waitcnt lgkmcnt(0)
	v_add_u32_e32 v1, v34, v1
	ds_write_b32 v35, v1 offset:16
.LBB78_8:                               ;   in Loop: Header=BB78_2 Depth=1
	s_or_b64 exec, exec, s[24:25]
	v_lshlrev_b32_sdwa v1, v20, v25 dst_sel:DWORD dst_unused:UNUSED_PAD src0_sel:DWORD src1_sel:BYTE_0
	v_add_u32_e32 v38, v19, v1
	v_and_b32_e32 v1, 1, v25
	v_add_co_u32_e64 v2, s[24:25], -1, v1
	v_addc_co_u32_e64 v3, s[24:25], 0, -1, s[24:25]
	v_cmp_ne_u32_e64 s[24:25], 0, v1
	v_lshlrev_b32_e32 v6, 30, v25
	v_xor_b32_e32 v1, s25, v3
	v_xor_b32_e32 v2, s24, v2
	v_cmp_gt_i64_e64 s[24:25], 0, v[5:6]
	v_not_b32_e32 v3, v6
	v_ashrrev_i32_e32 v3, 31, v3
	v_and_b32_e32 v2, exec_lo, v2
	v_xor_b32_e32 v4, s25, v3
	v_xor_b32_e32 v3, s24, v3
	v_lshlrev_b32_e32 v6, 29, v25
	v_and_b32_e32 v2, v2, v3
	v_cmp_gt_i64_e64 s[24:25], 0, v[5:6]
	v_not_b32_e32 v3, v6
	v_and_b32_e32 v1, exec_hi, v1
	v_ashrrev_i32_e32 v3, 31, v3
	v_and_b32_e32 v1, v1, v4
	v_xor_b32_e32 v4, s25, v3
	v_xor_b32_e32 v3, s24, v3
	v_lshlrev_b32_e32 v6, 28, v25
	v_and_b32_e32 v2, v2, v3
	v_cmp_gt_i64_e64 s[24:25], 0, v[5:6]
	v_not_b32_e32 v3, v6
	v_ashrrev_i32_e32 v3, 31, v3
	v_and_b32_e32 v1, v1, v4
	v_xor_b32_e32 v4, s25, v3
	v_xor_b32_e32 v3, s24, v3
	v_lshlrev_b32_e32 v6, 27, v25
	v_and_b32_e32 v2, v2, v3
	v_cmp_gt_i64_e64 s[24:25], 0, v[5:6]
	v_not_b32_e32 v3, v6
	v_ashrrev_i32_e32 v3, 31, v3
	v_and_b32_e32 v1, v1, v4
	v_xor_b32_e32 v4, s25, v3
	v_xor_b32_e32 v3, s24, v3
	v_lshlrev_b32_e32 v6, 26, v25
	v_and_b32_e32 v2, v2, v3
	v_cmp_gt_i64_e64 s[24:25], 0, v[5:6]
	v_not_b32_e32 v3, v6
	v_ashrrev_i32_e32 v3, 31, v3
	v_and_b32_e32 v1, v1, v4
	v_xor_b32_e32 v4, s25, v3
	v_xor_b32_e32 v3, s24, v3
	v_lshlrev_b32_e32 v6, 25, v25
	v_and_b32_e32 v2, v2, v3
	v_cmp_gt_i64_e64 s[24:25], 0, v[5:6]
	v_not_b32_e32 v3, v6
	v_ashrrev_i32_e32 v3, 31, v3
	v_and_b32_e32 v1, v1, v4
	v_xor_b32_e32 v4, s25, v3
	v_xor_b32_e32 v3, s24, v3
	v_lshlrev_b32_e32 v6, 24, v25
	v_and_b32_e32 v3, v2, v3
	v_cmp_gt_i64_e64 s[24:25], 0, v[5:6]
	v_not_b32_e32 v2, v6
	v_ashrrev_i32_e32 v2, 31, v2
	v_and_b32_e32 v1, v1, v4
	v_xor_b32_e32 v4, s25, v2
	v_xor_b32_e32 v6, s24, v2
	; wave barrier
	ds_read_b32 v37, v38 offset:16
	v_and_b32_e32 v2, v1, v4
	v_and_b32_e32 v1, v3, v6
	v_mbcnt_lo_u32_b32 v3, v1, 0
	v_mbcnt_hi_u32_b32 v39, v2, v3
	v_cmp_ne_u64_e64 s[24:25], 0, v[1:2]
	v_cmp_eq_u32_e64 s[26:27], 0, v39
	s_and_b64 s[26:27], s[24:25], s[26:27]
	; wave barrier
	s_and_saveexec_b64 s[24:25], s[26:27]
	s_cbranch_execz .LBB78_10
; %bb.9:                                ;   in Loop: Header=BB78_2 Depth=1
	v_bcnt_u32_b32 v1, v1, 0
	v_bcnt_u32_b32 v1, v2, v1
	s_waitcnt lgkmcnt(0)
	v_add_u32_e32 v1, v37, v1
	ds_write_b32 v38, v1 offset:16
.LBB78_10:                              ;   in Loop: Header=BB78_2 Depth=1
	s_or_b64 exec, exec, s[24:25]
	v_lshlrev_b32_sdwa v1, v20, v24 dst_sel:DWORD dst_unused:UNUSED_PAD src0_sel:DWORD src1_sel:BYTE_0
	v_add_u32_e32 v41, v19, v1
	v_and_b32_e32 v1, 1, v24
	v_add_co_u32_e64 v2, s[24:25], -1, v1
	v_addc_co_u32_e64 v3, s[24:25], 0, -1, s[24:25]
	v_cmp_ne_u32_e64 s[24:25], 0, v1
	v_lshlrev_b32_e32 v6, 30, v24
	v_xor_b32_e32 v1, s25, v3
	v_xor_b32_e32 v2, s24, v2
	v_cmp_gt_i64_e64 s[24:25], 0, v[5:6]
	v_not_b32_e32 v3, v6
	v_ashrrev_i32_e32 v3, 31, v3
	v_and_b32_e32 v2, exec_lo, v2
	v_xor_b32_e32 v4, s25, v3
	v_xor_b32_e32 v3, s24, v3
	v_lshlrev_b32_e32 v6, 29, v24
	v_and_b32_e32 v2, v2, v3
	v_cmp_gt_i64_e64 s[24:25], 0, v[5:6]
	v_not_b32_e32 v3, v6
	v_and_b32_e32 v1, exec_hi, v1
	v_ashrrev_i32_e32 v3, 31, v3
	v_and_b32_e32 v1, v1, v4
	v_xor_b32_e32 v4, s25, v3
	v_xor_b32_e32 v3, s24, v3
	v_lshlrev_b32_e32 v6, 28, v24
	v_and_b32_e32 v2, v2, v3
	v_cmp_gt_i64_e64 s[24:25], 0, v[5:6]
	v_not_b32_e32 v3, v6
	v_ashrrev_i32_e32 v3, 31, v3
	v_and_b32_e32 v1, v1, v4
	v_xor_b32_e32 v4, s25, v3
	v_xor_b32_e32 v3, s24, v3
	v_lshlrev_b32_e32 v6, 27, v24
	v_and_b32_e32 v2, v2, v3
	v_cmp_gt_i64_e64 s[24:25], 0, v[5:6]
	v_not_b32_e32 v3, v6
	;; [unrolled: 8-line block ×5, first 2 shown]
	v_ashrrev_i32_e32 v2, 31, v2
	v_and_b32_e32 v1, v1, v4
	v_xor_b32_e32 v4, s25, v2
	v_xor_b32_e32 v6, s24, v2
	; wave barrier
	ds_read_b32 v40, v41 offset:16
	v_and_b32_e32 v2, v1, v4
	v_and_b32_e32 v1, v3, v6
	v_mbcnt_lo_u32_b32 v3, v1, 0
	v_mbcnt_hi_u32_b32 v42, v2, v3
	v_cmp_ne_u64_e64 s[24:25], 0, v[1:2]
	v_cmp_eq_u32_e64 s[26:27], 0, v42
	s_and_b64 s[26:27], s[24:25], s[26:27]
	; wave barrier
	s_and_saveexec_b64 s[24:25], s[26:27]
	s_cbranch_execz .LBB78_12
; %bb.11:                               ;   in Loop: Header=BB78_2 Depth=1
	v_bcnt_u32_b32 v1, v1, 0
	v_bcnt_u32_b32 v1, v2, v1
	s_waitcnt lgkmcnt(0)
	v_add_u32_e32 v1, v40, v1
	ds_write_b32 v41, v1 offset:16
.LBB78_12:                              ;   in Loop: Header=BB78_2 Depth=1
	s_or_b64 exec, exec, s[24:25]
	v_lshlrev_b32_sdwa v1, v20, v23 dst_sel:DWORD dst_unused:UNUSED_PAD src0_sel:DWORD src1_sel:BYTE_0
	v_add_u32_e32 v44, v19, v1
	v_and_b32_e32 v1, 1, v23
	v_add_co_u32_e64 v2, s[24:25], -1, v1
	v_addc_co_u32_e64 v3, s[24:25], 0, -1, s[24:25]
	v_cmp_ne_u32_e64 s[24:25], 0, v1
	v_lshlrev_b32_e32 v6, 30, v23
	v_xor_b32_e32 v1, s25, v3
	v_xor_b32_e32 v2, s24, v2
	v_cmp_gt_i64_e64 s[24:25], 0, v[5:6]
	v_not_b32_e32 v3, v6
	v_ashrrev_i32_e32 v3, 31, v3
	v_and_b32_e32 v2, exec_lo, v2
	v_xor_b32_e32 v4, s25, v3
	v_xor_b32_e32 v3, s24, v3
	v_lshlrev_b32_e32 v6, 29, v23
	v_and_b32_e32 v2, v2, v3
	v_cmp_gt_i64_e64 s[24:25], 0, v[5:6]
	v_not_b32_e32 v3, v6
	v_and_b32_e32 v1, exec_hi, v1
	v_ashrrev_i32_e32 v3, 31, v3
	v_and_b32_e32 v1, v1, v4
	v_xor_b32_e32 v4, s25, v3
	v_xor_b32_e32 v3, s24, v3
	v_lshlrev_b32_e32 v6, 28, v23
	v_and_b32_e32 v2, v2, v3
	v_cmp_gt_i64_e64 s[24:25], 0, v[5:6]
	v_not_b32_e32 v3, v6
	v_ashrrev_i32_e32 v3, 31, v3
	v_and_b32_e32 v1, v1, v4
	v_xor_b32_e32 v4, s25, v3
	v_xor_b32_e32 v3, s24, v3
	v_lshlrev_b32_e32 v6, 27, v23
	v_and_b32_e32 v2, v2, v3
	v_cmp_gt_i64_e64 s[24:25], 0, v[5:6]
	v_not_b32_e32 v3, v6
	;; [unrolled: 8-line block ×5, first 2 shown]
	v_ashrrev_i32_e32 v2, 31, v2
	v_and_b32_e32 v1, v1, v4
	v_xor_b32_e32 v4, s25, v2
	v_xor_b32_e32 v6, s24, v2
	; wave barrier
	ds_read_b32 v43, v44 offset:16
	v_and_b32_e32 v2, v1, v4
	v_and_b32_e32 v1, v3, v6
	v_mbcnt_lo_u32_b32 v3, v1, 0
	v_mbcnt_hi_u32_b32 v45, v2, v3
	v_cmp_ne_u64_e64 s[24:25], 0, v[1:2]
	v_cmp_eq_u32_e64 s[26:27], 0, v45
	s_and_b64 s[26:27], s[24:25], s[26:27]
	; wave barrier
	s_and_saveexec_b64 s[24:25], s[26:27]
	s_cbranch_execz .LBB78_14
; %bb.13:                               ;   in Loop: Header=BB78_2 Depth=1
	v_bcnt_u32_b32 v1, v1, 0
	v_bcnt_u32_b32 v1, v2, v1
	s_waitcnt lgkmcnt(0)
	v_add_u32_e32 v1, v43, v1
	ds_write_b32 v44, v1 offset:16
.LBB78_14:                              ;   in Loop: Header=BB78_2 Depth=1
	s_or_b64 exec, exec, s[24:25]
	v_lshlrev_b32_sdwa v1, v20, v22 dst_sel:DWORD dst_unused:UNUSED_PAD src0_sel:DWORD src1_sel:BYTE_0
	v_add_u32_e32 v47, v19, v1
	v_and_b32_e32 v1, 1, v22
	v_add_co_u32_e64 v2, s[24:25], -1, v1
	v_addc_co_u32_e64 v3, s[24:25], 0, -1, s[24:25]
	v_cmp_ne_u32_e64 s[24:25], 0, v1
	v_lshlrev_b32_e32 v6, 30, v22
	v_xor_b32_e32 v1, s25, v3
	v_xor_b32_e32 v2, s24, v2
	v_cmp_gt_i64_e64 s[24:25], 0, v[5:6]
	v_not_b32_e32 v3, v6
	v_ashrrev_i32_e32 v3, 31, v3
	v_and_b32_e32 v2, exec_lo, v2
	v_xor_b32_e32 v4, s25, v3
	v_xor_b32_e32 v3, s24, v3
	v_lshlrev_b32_e32 v6, 29, v22
	v_and_b32_e32 v2, v2, v3
	v_cmp_gt_i64_e64 s[24:25], 0, v[5:6]
	v_not_b32_e32 v3, v6
	v_and_b32_e32 v1, exec_hi, v1
	v_ashrrev_i32_e32 v3, 31, v3
	v_and_b32_e32 v1, v1, v4
	v_xor_b32_e32 v4, s25, v3
	v_xor_b32_e32 v3, s24, v3
	v_lshlrev_b32_e32 v6, 28, v22
	v_and_b32_e32 v2, v2, v3
	v_cmp_gt_i64_e64 s[24:25], 0, v[5:6]
	v_not_b32_e32 v3, v6
	v_ashrrev_i32_e32 v3, 31, v3
	v_and_b32_e32 v1, v1, v4
	v_xor_b32_e32 v4, s25, v3
	v_xor_b32_e32 v3, s24, v3
	v_lshlrev_b32_e32 v6, 27, v22
	v_and_b32_e32 v2, v2, v3
	v_cmp_gt_i64_e64 s[24:25], 0, v[5:6]
	v_not_b32_e32 v3, v6
	;; [unrolled: 8-line block ×5, first 2 shown]
	v_ashrrev_i32_e32 v2, 31, v2
	v_and_b32_e32 v1, v1, v4
	v_xor_b32_e32 v4, s25, v2
	v_xor_b32_e32 v6, s24, v2
	; wave barrier
	ds_read_b32 v46, v47 offset:16
	v_and_b32_e32 v2, v1, v4
	v_and_b32_e32 v1, v3, v6
	v_mbcnt_lo_u32_b32 v3, v1, 0
	v_mbcnt_hi_u32_b32 v48, v2, v3
	v_cmp_ne_u64_e64 s[24:25], 0, v[1:2]
	v_cmp_eq_u32_e64 s[26:27], 0, v48
	s_and_b64 s[26:27], s[24:25], s[26:27]
	; wave barrier
	s_and_saveexec_b64 s[24:25], s[26:27]
	s_cbranch_execz .LBB78_16
; %bb.15:                               ;   in Loop: Header=BB78_2 Depth=1
	v_bcnt_u32_b32 v1, v1, 0
	v_bcnt_u32_b32 v1, v2, v1
	s_waitcnt lgkmcnt(0)
	v_add_u32_e32 v1, v46, v1
	ds_write_b32 v47, v1 offset:16
.LBB78_16:                              ;   in Loop: Header=BB78_2 Depth=1
	s_or_b64 exec, exec, s[24:25]
	v_lshlrev_b32_sdwa v1, v20, v21 dst_sel:DWORD dst_unused:UNUSED_PAD src0_sel:DWORD src1_sel:BYTE_0
	v_add_u32_e32 v50, v19, v1
	v_and_b32_e32 v1, 1, v21
	v_add_co_u32_e64 v2, s[24:25], -1, v1
	v_addc_co_u32_e64 v3, s[24:25], 0, -1, s[24:25]
	v_cmp_ne_u32_e64 s[24:25], 0, v1
	v_lshlrev_b32_e32 v6, 30, v21
	v_xor_b32_e32 v1, s25, v3
	v_xor_b32_e32 v2, s24, v2
	v_cmp_gt_i64_e64 s[24:25], 0, v[5:6]
	v_not_b32_e32 v3, v6
	v_ashrrev_i32_e32 v3, 31, v3
	v_and_b32_e32 v2, exec_lo, v2
	v_xor_b32_e32 v4, s25, v3
	v_xor_b32_e32 v3, s24, v3
	v_lshlrev_b32_e32 v6, 29, v21
	v_and_b32_e32 v2, v2, v3
	v_cmp_gt_i64_e64 s[24:25], 0, v[5:6]
	v_not_b32_e32 v3, v6
	v_and_b32_e32 v1, exec_hi, v1
	v_ashrrev_i32_e32 v3, 31, v3
	v_and_b32_e32 v1, v1, v4
	v_xor_b32_e32 v4, s25, v3
	v_xor_b32_e32 v3, s24, v3
	v_lshlrev_b32_e32 v6, 28, v21
	v_and_b32_e32 v2, v2, v3
	v_cmp_gt_i64_e64 s[24:25], 0, v[5:6]
	v_not_b32_e32 v3, v6
	v_ashrrev_i32_e32 v3, 31, v3
	v_and_b32_e32 v1, v1, v4
	v_xor_b32_e32 v4, s25, v3
	v_xor_b32_e32 v3, s24, v3
	v_lshlrev_b32_e32 v6, 27, v21
	v_and_b32_e32 v2, v2, v3
	v_cmp_gt_i64_e64 s[24:25], 0, v[5:6]
	v_not_b32_e32 v3, v6
	;; [unrolled: 8-line block ×5, first 2 shown]
	v_ashrrev_i32_e32 v2, 31, v2
	v_and_b32_e32 v1, v1, v4
	v_xor_b32_e32 v4, s25, v2
	v_xor_b32_e32 v6, s24, v2
	; wave barrier
	ds_read_b32 v49, v50 offset:16
	v_and_b32_e32 v2, v1, v4
	v_and_b32_e32 v1, v3, v6
	v_mbcnt_lo_u32_b32 v3, v1, 0
	v_mbcnt_hi_u32_b32 v6, v2, v3
	v_cmp_ne_u64_e64 s[24:25], 0, v[1:2]
	v_cmp_eq_u32_e64 s[26:27], 0, v6
	s_and_b64 s[26:27], s[24:25], s[26:27]
	; wave barrier
	s_and_saveexec_b64 s[24:25], s[26:27]
	s_cbranch_execz .LBB78_18
; %bb.17:                               ;   in Loop: Header=BB78_2 Depth=1
	v_bcnt_u32_b32 v1, v1, 0
	v_bcnt_u32_b32 v1, v2, v1
	s_waitcnt lgkmcnt(0)
	v_add_u32_e32 v1, v49, v1
	ds_write_b32 v50, v1 offset:16
.LBB78_18:                              ;   in Loop: Header=BB78_2 Depth=1
	s_or_b64 exec, exec, s[24:25]
	; wave barrier
	s_waitcnt lgkmcnt(0)
	s_barrier
	ds_read2_b64 v[1:4], v11 offset0:2 offset1:3
	s_waitcnt lgkmcnt(0)
	v_add_u32_e32 v51, v2, v1
	v_add3_u32 v4, v51, v3, v4
	s_nop 1
	v_mov_b32_dpp v51, v4 row_shr:1 row_mask:0xf bank_mask:0xf
	v_cndmask_b32_e64 v51, v51, 0, s[8:9]
	v_add_u32_e32 v4, v51, v4
	s_nop 1
	v_mov_b32_dpp v51, v4 row_shr:2 row_mask:0xf bank_mask:0xf
	v_cndmask_b32_e64 v51, 0, v51, s[10:11]
	v_add_u32_e32 v4, v4, v51
	;; [unrolled: 4-line block ×4, first 2 shown]
	s_nop 1
	v_mov_b32_dpp v51, v4 row_bcast:15 row_mask:0xf bank_mask:0xf
	v_cndmask_b32_e64 v51, v51, 0, s[16:17]
	v_add_u32_e32 v4, v4, v51
	s_nop 1
	v_mov_b32_dpp v51, v4 row_bcast:31 row_mask:0xf bank_mask:0xf
	v_cndmask_b32_e64 v51, 0, v51, s[6:7]
	v_add_u32_e32 v4, v4, v51
	s_and_saveexec_b64 s[24:25], s[18:19]
; %bb.19:                               ;   in Loop: Header=BB78_2 Depth=1
	ds_write_b32 v14, v4
; %bb.20:                               ;   in Loop: Header=BB78_2 Depth=1
	s_or_b64 exec, exec, s[24:25]
	s_waitcnt lgkmcnt(0)
	s_barrier
	s_and_saveexec_b64 s[24:25], vcc
	s_cbranch_execz .LBB78_22
; %bb.21:                               ;   in Loop: Header=BB78_2 Depth=1
	ds_read_b32 v51, v17
	s_waitcnt lgkmcnt(0)
	s_nop 0
	v_mov_b32_dpp v52, v51 row_shr:1 row_mask:0xf bank_mask:0xf
	v_cndmask_b32_e64 v52, v52, 0, s[20:21]
	v_add_u32_e32 v51, v52, v51
	s_nop 1
	v_mov_b32_dpp v52, v51 row_shr:2 row_mask:0xf bank_mask:0xf
	v_cndmask_b32_e64 v52, 0, v52, s[22:23]
	v_add_u32_e32 v51, v51, v52
	ds_write_b32 v17, v51
.LBB78_22:                              ;   in Loop: Header=BB78_2 Depth=1
	s_or_b64 exec, exec, s[24:25]
	v_mov_b32_e32 v51, 0
	s_waitcnt lgkmcnt(0)
	s_barrier
	s_and_saveexec_b64 s[24:25], s[0:1]
	s_cbranch_execz .LBB78_1
; %bb.23:                               ;   in Loop: Header=BB78_2 Depth=1
	ds_read_b32 v51, v16
	s_branch .LBB78_1
.LBB78_24:
	s_add_u32 s0, s30, s33
	s_addc_u32 s1, s31, 0
	v_mov_b32_e32 v4, s1
	v_add_co_u32_e32 v3, vcc, s0, v0
	v_addc_co_u32_e32 v4, vcc, 0, v4, vcc
	v_lshrrev_b32_e32 v0, 8, v2
	global_store_byte v[3:4], v2, off
	global_store_byte v[3:4], v0, off offset:256
	global_store_byte_d16_hi v[3:4], v2, off offset:512
	v_lshrrev_b32_e32 v0, 24, v2
	global_store_byte v[3:4], v0, off offset:768
	global_store_byte v[3:4], v1, off offset:1024
	v_lshrrev_b32_e32 v0, 8, v1
	global_store_byte v[3:4], v0, off offset:1280
	global_store_byte_d16_hi v[3:4], v1, off offset:1536
	v_lshrrev_b32_e32 v0, 24, v1
	global_store_byte v[3:4], v0, off offset:1792
	s_endpgm
	.section	.rodata,"a",@progbits
	.p2align	6, 0x0
	.amdhsa_kernel _Z16sort_keys_kernelI22helper_blocked_blockedaLj256ELj8ELj10EEvPKT0_PS1_
		.amdhsa_group_segment_fixed_size 4112
		.amdhsa_private_segment_fixed_size 0
		.amdhsa_kernarg_size 272
		.amdhsa_user_sgpr_count 6
		.amdhsa_user_sgpr_private_segment_buffer 1
		.amdhsa_user_sgpr_dispatch_ptr 0
		.amdhsa_user_sgpr_queue_ptr 0
		.amdhsa_user_sgpr_kernarg_segment_ptr 1
		.amdhsa_user_sgpr_dispatch_id 0
		.amdhsa_user_sgpr_flat_scratch_init 0
		.amdhsa_user_sgpr_private_segment_size 0
		.amdhsa_uses_dynamic_stack 0
		.amdhsa_system_sgpr_private_segment_wavefront_offset 0
		.amdhsa_system_sgpr_workgroup_id_x 1
		.amdhsa_system_sgpr_workgroup_id_y 0
		.amdhsa_system_sgpr_workgroup_id_z 0
		.amdhsa_system_sgpr_workgroup_info 0
		.amdhsa_system_vgpr_workitem_id 2
		.amdhsa_next_free_vgpr 53
		.amdhsa_next_free_sgpr 36
		.amdhsa_reserve_vcc 1
		.amdhsa_reserve_flat_scratch 0
		.amdhsa_float_round_mode_32 0
		.amdhsa_float_round_mode_16_64 0
		.amdhsa_float_denorm_mode_32 3
		.amdhsa_float_denorm_mode_16_64 3
		.amdhsa_dx10_clamp 1
		.amdhsa_ieee_mode 1
		.amdhsa_fp16_overflow 0
		.amdhsa_exception_fp_ieee_invalid_op 0
		.amdhsa_exception_fp_denorm_src 0
		.amdhsa_exception_fp_ieee_div_zero 0
		.amdhsa_exception_fp_ieee_overflow 0
		.amdhsa_exception_fp_ieee_underflow 0
		.amdhsa_exception_fp_ieee_inexact 0
		.amdhsa_exception_int_div_zero 0
	.end_amdhsa_kernel
	.section	.text._Z16sort_keys_kernelI22helper_blocked_blockedaLj256ELj8ELj10EEvPKT0_PS1_,"axG",@progbits,_Z16sort_keys_kernelI22helper_blocked_blockedaLj256ELj8ELj10EEvPKT0_PS1_,comdat
.Lfunc_end78:
	.size	_Z16sort_keys_kernelI22helper_blocked_blockedaLj256ELj8ELj10EEvPKT0_PS1_, .Lfunc_end78-_Z16sort_keys_kernelI22helper_blocked_blockedaLj256ELj8ELj10EEvPKT0_PS1_
                                        ; -- End function
	.set _Z16sort_keys_kernelI22helper_blocked_blockedaLj256ELj8ELj10EEvPKT0_PS1_.num_vgpr, 53
	.set _Z16sort_keys_kernelI22helper_blocked_blockedaLj256ELj8ELj10EEvPKT0_PS1_.num_agpr, 0
	.set _Z16sort_keys_kernelI22helper_blocked_blockedaLj256ELj8ELj10EEvPKT0_PS1_.numbered_sgpr, 36
	.set _Z16sort_keys_kernelI22helper_blocked_blockedaLj256ELj8ELj10EEvPKT0_PS1_.num_named_barrier, 0
	.set _Z16sort_keys_kernelI22helper_blocked_blockedaLj256ELj8ELj10EEvPKT0_PS1_.private_seg_size, 0
	.set _Z16sort_keys_kernelI22helper_blocked_blockedaLj256ELj8ELj10EEvPKT0_PS1_.uses_vcc, 1
	.set _Z16sort_keys_kernelI22helper_blocked_blockedaLj256ELj8ELj10EEvPKT0_PS1_.uses_flat_scratch, 0
	.set _Z16sort_keys_kernelI22helper_blocked_blockedaLj256ELj8ELj10EEvPKT0_PS1_.has_dyn_sized_stack, 0
	.set _Z16sort_keys_kernelI22helper_blocked_blockedaLj256ELj8ELj10EEvPKT0_PS1_.has_recursion, 0
	.set _Z16sort_keys_kernelI22helper_blocked_blockedaLj256ELj8ELj10EEvPKT0_PS1_.has_indirect_call, 0
	.section	.AMDGPU.csdata,"",@progbits
; Kernel info:
; codeLenInByte = 4724
; TotalNumSgprs: 40
; NumVgprs: 53
; ScratchSize: 0
; MemoryBound: 0
; FloatMode: 240
; IeeeMode: 1
; LDSByteSize: 4112 bytes/workgroup (compile time only)
; SGPRBlocks: 4
; VGPRBlocks: 13
; NumSGPRsForWavesPerEU: 40
; NumVGPRsForWavesPerEU: 53
; Occupancy: 4
; WaveLimiterHint : 1
; COMPUTE_PGM_RSRC2:SCRATCH_EN: 0
; COMPUTE_PGM_RSRC2:USER_SGPR: 6
; COMPUTE_PGM_RSRC2:TRAP_HANDLER: 0
; COMPUTE_PGM_RSRC2:TGID_X_EN: 1
; COMPUTE_PGM_RSRC2:TGID_Y_EN: 0
; COMPUTE_PGM_RSRC2:TGID_Z_EN: 0
; COMPUTE_PGM_RSRC2:TIDIG_COMP_CNT: 2
	.section	.text._Z17sort_pairs_kernelI22helper_blocked_blockedaLj256ELj8ELj10EEvPKT0_PS1_,"axG",@progbits,_Z17sort_pairs_kernelI22helper_blocked_blockedaLj256ELj8ELj10EEvPKT0_PS1_,comdat
	.protected	_Z17sort_pairs_kernelI22helper_blocked_blockedaLj256ELj8ELj10EEvPKT0_PS1_ ; -- Begin function _Z17sort_pairs_kernelI22helper_blocked_blockedaLj256ELj8ELj10EEvPKT0_PS1_
	.globl	_Z17sort_pairs_kernelI22helper_blocked_blockedaLj256ELj8ELj10EEvPKT0_PS1_
	.p2align	8
	.type	_Z17sort_pairs_kernelI22helper_blocked_blockedaLj256ELj8ELj10EEvPKT0_PS1_,@function
_Z17sort_pairs_kernelI22helper_blocked_blockedaLj256ELj8ELj10EEvPKT0_PS1_: ; @_Z17sort_pairs_kernelI22helper_blocked_blockedaLj256ELj8ELj10EEvPKT0_PS1_
; %bb.0:
	s_load_dwordx4 s[28:31], s[4:5], 0x0
	s_load_dword s24, s[4:5], 0x1c
	s_lshl_b32 s33, s6, 11
	v_mbcnt_lo_u32_b32 v11, -1, 0
	v_mbcnt_hi_u32_b32 v19, -1, v11
	s_waitcnt lgkmcnt(0)
	s_add_u32 s0, s28, s33
	s_addc_u32 s1, s29, 0
	global_load_ubyte v3, v0, s[0:1]
	global_load_ubyte v4, v0, s[0:1] offset:256
	global_load_ubyte v6, v0, s[0:1] offset:512
	;; [unrolled: 1-line block ×7, first 2 shown]
	s_lshr_b32 s25, s24, 16
	s_and_b32 s24, s24, 0xffff
	v_mad_u32_u24 v1, v2, s25, v1
	v_mad_u64_u32 v[1:2], s[24:25], v1, s24, v[0:1]
	v_subrev_co_u32_e64 v21, s[4:5], 1, v19
	v_and_b32_e32 v22, 64, v19
	v_and_b32_e32 v12, 0xc0, v0
	v_cmp_lt_i32_e64 s[24:25], v21, v22
	s_mov_b32 s27, 0xc0c0004
	v_and_b32_e32 v16, 15, v19
	v_and_b32_e32 v17, 16, v19
	v_or_b32_e32 v20, 63, v12
	v_and_b32_e32 v23, 3, v19
	v_cndmask_b32_e64 v2, v21, v19, s[24:25]
	v_lshrrev_b32_e32 v1, 4, v1
	v_cmp_eq_u32_e64 s[8:9], 0, v16
	v_cmp_lt_u32_e64 s[10:11], 1, v16
	v_cmp_lt_u32_e64 s[12:13], 3, v16
	;; [unrolled: 1-line block ×3, first 2 shown]
	v_cmp_eq_u32_e64 s[16:17], 0, v17
	v_cmp_eq_u32_e64 s[18:19], v0, v20
	;; [unrolled: 1-line block ×3, first 2 shown]
	v_cmp_lt_u32_e64 s[22:23], 1, v23
	v_lshlrev_b32_e32 v16, 2, v2
	v_and_b32_e32 v17, 0xffffffc, v1
	s_mov_b32 s26, 0
	s_movk_i32 s36, 0x100
	v_lshlrev_b32_e32 v13, 3, v0
	v_lshlrev_b32_e32 v11, 4, v0
	v_lshrrev_b32_e32 v14, 4, v0
	v_lshlrev_b32_e32 v15, 2, v0
	s_mov_b32 s24, s26
	v_and_b32_e32 v24, 0x600, v13
	v_sub_u32_e32 v13, v11, v13
	v_and_b32_e32 v14, 12, v14
	v_sub_u32_e32 v25, 0, v15
	s_mov_b32 s25, s26
	v_mov_b32_e32 v5, 0
	s_mov_b32 s28, 10
	s_movk_i32 s29, 0xff00
	s_movk_i32 s34, 0x80
	;; [unrolled: 1-line block ×3, first 2 shown]
	v_cmp_gt_u32_e32 vcc, 4, v0
	v_cmp_lt_u32_e64 s[0:1], 63, v0
	v_cmp_eq_u32_e64 s[2:3], 0, v0
	v_add_lshl_u32 v12, v19, v12, 3
	v_cmp_lt_u32_e64 s[6:7], 31, v19
	v_add_u32_e32 v15, -4, v14
	s_waitcnt vmcnt(7)
	v_add_u16_e32 v22, 1, v3
	s_waitcnt vmcnt(6)
	v_perm_b32 v1, v3, v4, s27
	v_lshlrev_b16_e32 v23, 8, v4
	s_waitcnt vmcnt(4)
	v_perm_b32 v2, v6, v7, s27
	v_add_u16_e32 v6, 1, v6
	s_waitcnt vmcnt(2)
	v_perm_b32 v20, v8, v9, s27
	v_lshlrev_b16_e32 v7, 8, v7
	s_waitcnt vmcnt(0)
	v_perm_b32 v21, v10, v18, s27
	v_add_u16_e32 v8, 1, v8
	v_lshlrev_b16_e32 v9, 8, v9
	v_add_u16_e32 v10, 1, v10
	v_lshlrev_b16_e32 v18, 8, v18
	v_lshl_or_b32 v3, v2, 16, v1
	v_or_b32_sdwa v1, v23, v22 dst_sel:DWORD dst_unused:UNUSED_PAD src0_sel:DWORD src1_sel:BYTE_0
	v_or_b32_sdwa v2, v7, v6 dst_sel:DWORD dst_unused:UNUSED_PAD src0_sel:DWORD src1_sel:BYTE_0
	;; [unrolled: 1-line block ×4, first 2 shown]
	v_add_u16_e32 v1, 0x100, v1
	v_add_u16_sdwa v2, v2, s36 dst_sel:WORD_1 dst_unused:UNUSED_PAD src0_sel:DWORD src1_sel:DWORD
	v_add_u16_e32 v6, 0x100, v6
	v_add_u16_sdwa v7, v7, s36 dst_sel:WORD_1 dst_unused:UNUSED_PAD src0_sel:DWORD src1_sel:DWORD
	v_or_b32_e32 v1, v1, v2
	v_or_b32_e32 v2, v6, v7
	s_mov_b32 s27, s26
	v_mov_b32_e32 v7, s26
	v_mov_b32_e32 v9, s24
	v_lshl_or_b32 v4, v21, 16, v20
	v_add_u32_e32 v18, v19, v24
	v_mov_b32_e32 v8, s27
	v_add_u32_e32 v19, v13, v25
	v_mov_b32_e32 v20, 4
	v_mov_b32_e32 v10, s25
	s_branch .LBB79_2
.LBB79_1:                               ;   in Loop: Header=BB79_2 Depth=1
	s_or_b64 exec, exec, s[24:25]
	s_waitcnt lgkmcnt(0)
	v_add_u32_e32 v4, v59, v4
	ds_bpermute_b32 v4, v16, v4
	s_add_i32 s28, s28, -1
	s_cmp_eq_u32 s28, 0
	s_waitcnt lgkmcnt(0)
	v_cndmask_b32_e64 v4, v4, v59, s[4:5]
	v_cndmask_b32_e64 v59, v4, 0, s[2:3]
	v_add_u32_e32 v60, v59, v1
	v_add_u32_e32 v1, v60, v2
	;; [unrolled: 1-line block ×3, first 2 shown]
	ds_write2_b64 v11, v[59:60], v[1:2] offset0:2 offset1:3
	s_waitcnt lgkmcnt(0)
	s_barrier
	ds_read_b32 v1, v38 offset:16
	ds_read_b32 v2, v40 offset:16
	;; [unrolled: 1-line block ×8, first 2 shown]
	s_waitcnt lgkmcnt(7)
	v_add_u32_e32 v1, v1, v37
	s_waitcnt lgkmcnt(6)
	v_add3_u32 v2, v41, v39, v2
	s_waitcnt lgkmcnt(0)
	s_barrier
	ds_write_b8 v1, v28
	ds_write_b8 v2, v27
	v_add3_u32 v27, v44, v42, v3
	ds_write_b8 v27, v26
	v_add3_u32 v26, v47, v45, v4
	ds_write_b8 v26, v25
	v_add3_u32 v25, v50, v48, v38
	ds_write_b8 v25, v24
	v_add3_u32 v24, v53, v51, v40
	ds_write_b8 v24, v23
	v_add3_u32 v23, v56, v54, v43
	v_add3_u32 v6, v6, v57, v46
	ds_write_b8 v23, v22
	ds_write_b8 v6, v21
	s_waitcnt lgkmcnt(0)
	s_barrier
	ds_read_b64 v[3:4], v13
	s_waitcnt lgkmcnt(0)
	s_barrier
	ds_write_b8 v1, v29
	ds_write_b8 v2, v30
	;; [unrolled: 1-line block ×8, first 2 shown]
	v_and_b32_e32 v21, 0xffffff00, v3
	v_xor_b32_e32 v22, 0x80, v3
	v_or_b32_sdwa v21, v22, v21 dst_sel:DWORD dst_unused:UNUSED_PAD src0_sel:BYTE_0 src1_sel:DWORD
	v_and_b32_sdwa v22, v3, s29 dst_sel:DWORD dst_unused:UNUSED_PAD src0_sel:WORD_1 src1_sel:DWORD
	v_xor_b32_sdwa v3, v3, s34 dst_sel:DWORD dst_unused:UNUSED_PAD src0_sel:WORD_1 src1_sel:DWORD
	v_or_b32_sdwa v3, v3, v22 dst_sel:DWORD dst_unused:UNUSED_PAD src0_sel:BYTE_0 src1_sel:DWORD
	v_add_u16_e32 v21, 0x8000, v21
	v_add_u16_sdwa v3, v3, s35 dst_sel:WORD_1 dst_unused:UNUSED_PAD src0_sel:DWORD src1_sel:DWORD
	v_or_b32_e32 v3, v21, v3
	s_waitcnt lgkmcnt(0)
	s_barrier
	ds_read_b64 v[1:2], v13
	v_and_b32_e32 v6, 0xffffff00, v4
	v_xor_b32_e32 v21, 0x80, v4
	v_or_b32_sdwa v6, v21, v6 dst_sel:DWORD dst_unused:UNUSED_PAD src0_sel:BYTE_0 src1_sel:DWORD
	v_and_b32_sdwa v21, v4, s29 dst_sel:DWORD dst_unused:UNUSED_PAD src0_sel:WORD_1 src1_sel:DWORD
	v_xor_b32_sdwa v4, v4, s34 dst_sel:DWORD dst_unused:UNUSED_PAD src0_sel:WORD_1 src1_sel:DWORD
	v_or_b32_sdwa v4, v4, v21 dst_sel:DWORD dst_unused:UNUSED_PAD src0_sel:BYTE_0 src1_sel:DWORD
	v_add_u16_e32 v6, 0x8000, v6
	v_add_u16_sdwa v4, v4, s35 dst_sel:WORD_1 dst_unused:UNUSED_PAD src0_sel:DWORD src1_sel:DWORD
	v_or_b32_e32 v4, v6, v4
	s_cbranch_scc1 .LBB79_24
.LBB79_2:                               ; =>This Inner Loop Header: Depth=1
	v_and_b32_e32 v6, 0xffffff00, v3
	v_xor_b32_e32 v21, 0x80, v3
	v_or_b32_sdwa v6, v21, v6 dst_sel:DWORD dst_unused:UNUSED_PAD src0_sel:BYTE_0 src1_sel:DWORD
	v_and_b32_sdwa v21, v3, s29 dst_sel:DWORD dst_unused:UNUSED_PAD src0_sel:WORD_1 src1_sel:DWORD
	v_xor_b32_sdwa v3, v3, s34 dst_sel:DWORD dst_unused:UNUSED_PAD src0_sel:WORD_1 src1_sel:DWORD
	v_or_b32_sdwa v3, v3, v21 dst_sel:DWORD dst_unused:UNUSED_PAD src0_sel:BYTE_0 src1_sel:DWORD
	v_add_u16_e32 v6, 0x8000, v6
	v_add_u16_sdwa v3, v3, s35 dst_sel:WORD_1 dst_unused:UNUSED_PAD src0_sel:DWORD src1_sel:DWORD
	v_or_b32_e32 v3, v6, v3
	v_and_b32_e32 v6, 0xffffff00, v4
	v_xor_b32_e32 v21, 0x80, v4
	v_or_b32_sdwa v6, v21, v6 dst_sel:DWORD dst_unused:UNUSED_PAD src0_sel:BYTE_0 src1_sel:DWORD
	v_and_b32_sdwa v21, v4, s29 dst_sel:DWORD dst_unused:UNUSED_PAD src0_sel:WORD_1 src1_sel:DWORD
	v_xor_b32_sdwa v4, v4, s34 dst_sel:DWORD dst_unused:UNUSED_PAD src0_sel:WORD_1 src1_sel:DWORD
	v_or_b32_sdwa v4, v4, v21 dst_sel:DWORD dst_unused:UNUSED_PAD src0_sel:BYTE_0 src1_sel:DWORD
	v_add_u16_e32 v6, 0x8000, v6
	v_add_u16_sdwa v4, v4, s35 dst_sel:WORD_1 dst_unused:UNUSED_PAD src0_sel:DWORD src1_sel:DWORD
	v_or_b32_e32 v4, v6, v4
	ds_write_b64 v12, v[3:4]
	; wave barrier
	ds_read_u8 v28, v18
	ds_read_u8 v27, v18 offset:64
	ds_read_u8 v26, v18 offset:128
	ds_read_u8 v25, v18 offset:192
	ds_read_u8 v24, v18 offset:256
	ds_read_u8 v23, v18 offset:320
	ds_read_u8 v22, v18 offset:384
	ds_read_u8 v21, v18 offset:448
	; wave barrier
	s_waitcnt lgkmcnt(9)
	ds_write_b64 v12, v[1:2]
	s_waitcnt lgkmcnt(8)
	v_and_b32_e32 v1, 1, v28
	v_cmp_ne_u32_e64 s[24:25], 0, v1
	v_add_co_u32_e64 v1, s[26:27], -1, v1
	v_addc_co_u32_e64 v2, s[26:27], 0, -1, s[26:27]
	v_lshlrev_b32_e32 v6, 30, v28
	v_cmp_gt_i64_e64 s[26:27], 0, v[5:6]
	v_not_b32_e32 v3, v6
	v_ashrrev_i32_e32 v3, 31, v3
	v_xor_b32_e32 v1, s24, v1
	v_xor_b32_e32 v4, s27, v3
	v_and_b32_e32 v1, exec_lo, v1
	v_xor_b32_e32 v3, s26, v3
	v_lshlrev_b32_e32 v6, 29, v28
	v_xor_b32_e32 v2, s25, v2
	v_and_b32_e32 v1, v1, v3
	v_cmp_gt_i64_e64 s[24:25], 0, v[5:6]
	v_not_b32_e32 v3, v6
	v_and_b32_e32 v2, exec_hi, v2
	v_ashrrev_i32_e32 v3, 31, v3
	v_and_b32_e32 v2, v2, v4
	v_xor_b32_e32 v4, s25, v3
	v_xor_b32_e32 v3, s24, v3
	v_lshlrev_b32_e32 v6, 28, v28
	v_and_b32_e32 v1, v1, v3
	v_cmp_gt_i64_e64 s[24:25], 0, v[5:6]
	v_not_b32_e32 v3, v6
	v_ashrrev_i32_e32 v3, 31, v3
	v_and_b32_e32 v2, v2, v4
	v_xor_b32_e32 v4, s25, v3
	v_xor_b32_e32 v3, s24, v3
	v_lshlrev_b32_e32 v6, 27, v28
	v_and_b32_e32 v1, v1, v3
	v_cmp_gt_i64_e64 s[24:25], 0, v[5:6]
	v_not_b32_e32 v3, v6
	;; [unrolled: 8-line block ×4, first 2 shown]
	; wave barrier
	ds_read_u8 v29, v18
	ds_read_u8 v30, v18 offset:64
	ds_read_u8 v31, v18 offset:128
	;; [unrolled: 1-line block ×7, first 2 shown]
	v_ashrrev_i32_e32 v3, 31, v3
	v_and_b32_e32 v2, v2, v4
	v_xor_b32_e32 v4, s25, v3
	v_xor_b32_e32 v3, s24, v3
	v_lshlrev_b32_e32 v6, 24, v28
	v_and_b32_e32 v1, v1, v3
	v_cmp_gt_i64_e64 s[24:25], 0, v[5:6]
	v_not_b32_e32 v3, v6
	v_ashrrev_i32_e32 v3, 31, v3
	v_and_b32_e32 v2, v2, v4
	v_xor_b32_e32 v4, s25, v3
	v_xor_b32_e32 v3, s24, v3
	v_and_b32_e32 v1, v1, v3
	v_and_b32_e32 v2, v2, v4
	v_mbcnt_lo_u32_b32 v3, v1, 0
	v_mbcnt_hi_u32_b32 v37, v2, v3
	v_cmp_ne_u64_e64 s[24:25], 0, v[1:2]
	v_cmp_eq_u32_e64 s[26:27], 0, v37
	v_lshlrev_b32_sdwa v3, v20, v28 dst_sel:DWORD dst_unused:UNUSED_PAD src0_sel:DWORD src1_sel:BYTE_0
	s_and_b64 s[26:27], s[24:25], s[26:27]
	v_add_u32_e32 v38, v17, v3
	s_waitcnt lgkmcnt(0)
	s_barrier
	ds_write2_b64 v11, v[7:8], v[9:10] offset0:2 offset1:3
	s_waitcnt lgkmcnt(0)
	s_barrier
	; wave barrier
	s_and_saveexec_b64 s[24:25], s[26:27]
; %bb.3:                                ;   in Loop: Header=BB79_2 Depth=1
	v_bcnt_u32_b32 v1, v1, 0
	v_bcnt_u32_b32 v1, v2, v1
	ds_write_b32 v38, v1 offset:16
; %bb.4:                                ;   in Loop: Header=BB79_2 Depth=1
	s_or_b64 exec, exec, s[24:25]
	v_lshlrev_b32_sdwa v1, v20, v27 dst_sel:DWORD dst_unused:UNUSED_PAD src0_sel:DWORD src1_sel:BYTE_0
	v_add_u32_e32 v40, v17, v1
	v_and_b32_e32 v1, 1, v27
	v_add_co_u32_e64 v2, s[24:25], -1, v1
	v_addc_co_u32_e64 v3, s[24:25], 0, -1, s[24:25]
	v_cmp_ne_u32_e64 s[24:25], 0, v1
	v_lshlrev_b32_e32 v6, 30, v27
	v_xor_b32_e32 v1, s25, v3
	v_xor_b32_e32 v2, s24, v2
	v_cmp_gt_i64_e64 s[24:25], 0, v[5:6]
	v_not_b32_e32 v3, v6
	v_ashrrev_i32_e32 v3, 31, v3
	v_and_b32_e32 v2, exec_lo, v2
	v_xor_b32_e32 v4, s25, v3
	v_xor_b32_e32 v3, s24, v3
	v_lshlrev_b32_e32 v6, 29, v27
	v_and_b32_e32 v2, v2, v3
	v_cmp_gt_i64_e64 s[24:25], 0, v[5:6]
	v_not_b32_e32 v3, v6
	v_and_b32_e32 v1, exec_hi, v1
	v_ashrrev_i32_e32 v3, 31, v3
	v_and_b32_e32 v1, v1, v4
	v_xor_b32_e32 v4, s25, v3
	v_xor_b32_e32 v3, s24, v3
	v_lshlrev_b32_e32 v6, 28, v27
	v_and_b32_e32 v2, v2, v3
	v_cmp_gt_i64_e64 s[24:25], 0, v[5:6]
	v_not_b32_e32 v3, v6
	v_ashrrev_i32_e32 v3, 31, v3
	v_and_b32_e32 v1, v1, v4
	v_xor_b32_e32 v4, s25, v3
	v_xor_b32_e32 v3, s24, v3
	v_lshlrev_b32_e32 v6, 27, v27
	v_and_b32_e32 v2, v2, v3
	v_cmp_gt_i64_e64 s[24:25], 0, v[5:6]
	v_not_b32_e32 v3, v6
	;; [unrolled: 8-line block ×5, first 2 shown]
	v_ashrrev_i32_e32 v2, 31, v2
	v_and_b32_e32 v1, v1, v4
	v_xor_b32_e32 v4, s25, v2
	v_xor_b32_e32 v6, s24, v2
	; wave barrier
	ds_read_b32 v39, v40 offset:16
	v_and_b32_e32 v2, v1, v4
	v_and_b32_e32 v1, v3, v6
	v_mbcnt_lo_u32_b32 v3, v1, 0
	v_mbcnt_hi_u32_b32 v41, v2, v3
	v_cmp_ne_u64_e64 s[24:25], 0, v[1:2]
	v_cmp_eq_u32_e64 s[26:27], 0, v41
	s_and_b64 s[26:27], s[24:25], s[26:27]
	; wave barrier
	s_and_saveexec_b64 s[24:25], s[26:27]
	s_cbranch_execz .LBB79_6
; %bb.5:                                ;   in Loop: Header=BB79_2 Depth=1
	v_bcnt_u32_b32 v1, v1, 0
	v_bcnt_u32_b32 v1, v2, v1
	s_waitcnt lgkmcnt(0)
	v_add_u32_e32 v1, v39, v1
	ds_write_b32 v40, v1 offset:16
.LBB79_6:                               ;   in Loop: Header=BB79_2 Depth=1
	s_or_b64 exec, exec, s[24:25]
	v_lshlrev_b32_sdwa v1, v20, v26 dst_sel:DWORD dst_unused:UNUSED_PAD src0_sel:DWORD src1_sel:BYTE_0
	v_add_u32_e32 v43, v17, v1
	v_and_b32_e32 v1, 1, v26
	v_add_co_u32_e64 v2, s[24:25], -1, v1
	v_addc_co_u32_e64 v3, s[24:25], 0, -1, s[24:25]
	v_cmp_ne_u32_e64 s[24:25], 0, v1
	v_lshlrev_b32_e32 v6, 30, v26
	v_xor_b32_e32 v1, s25, v3
	v_xor_b32_e32 v2, s24, v2
	v_cmp_gt_i64_e64 s[24:25], 0, v[5:6]
	v_not_b32_e32 v3, v6
	v_ashrrev_i32_e32 v3, 31, v3
	v_and_b32_e32 v2, exec_lo, v2
	v_xor_b32_e32 v4, s25, v3
	v_xor_b32_e32 v3, s24, v3
	v_lshlrev_b32_e32 v6, 29, v26
	v_and_b32_e32 v2, v2, v3
	v_cmp_gt_i64_e64 s[24:25], 0, v[5:6]
	v_not_b32_e32 v3, v6
	v_and_b32_e32 v1, exec_hi, v1
	v_ashrrev_i32_e32 v3, 31, v3
	v_and_b32_e32 v1, v1, v4
	v_xor_b32_e32 v4, s25, v3
	v_xor_b32_e32 v3, s24, v3
	v_lshlrev_b32_e32 v6, 28, v26
	v_and_b32_e32 v2, v2, v3
	v_cmp_gt_i64_e64 s[24:25], 0, v[5:6]
	v_not_b32_e32 v3, v6
	v_ashrrev_i32_e32 v3, 31, v3
	v_and_b32_e32 v1, v1, v4
	v_xor_b32_e32 v4, s25, v3
	v_xor_b32_e32 v3, s24, v3
	v_lshlrev_b32_e32 v6, 27, v26
	v_and_b32_e32 v2, v2, v3
	v_cmp_gt_i64_e64 s[24:25], 0, v[5:6]
	v_not_b32_e32 v3, v6
	;; [unrolled: 8-line block ×5, first 2 shown]
	v_ashrrev_i32_e32 v2, 31, v2
	v_and_b32_e32 v1, v1, v4
	v_xor_b32_e32 v4, s25, v2
	v_xor_b32_e32 v6, s24, v2
	; wave barrier
	ds_read_b32 v42, v43 offset:16
	v_and_b32_e32 v2, v1, v4
	v_and_b32_e32 v1, v3, v6
	v_mbcnt_lo_u32_b32 v3, v1, 0
	v_mbcnt_hi_u32_b32 v44, v2, v3
	v_cmp_ne_u64_e64 s[24:25], 0, v[1:2]
	v_cmp_eq_u32_e64 s[26:27], 0, v44
	s_and_b64 s[26:27], s[24:25], s[26:27]
	; wave barrier
	s_and_saveexec_b64 s[24:25], s[26:27]
	s_cbranch_execz .LBB79_8
; %bb.7:                                ;   in Loop: Header=BB79_2 Depth=1
	v_bcnt_u32_b32 v1, v1, 0
	v_bcnt_u32_b32 v1, v2, v1
	s_waitcnt lgkmcnt(0)
	v_add_u32_e32 v1, v42, v1
	ds_write_b32 v43, v1 offset:16
.LBB79_8:                               ;   in Loop: Header=BB79_2 Depth=1
	s_or_b64 exec, exec, s[24:25]
	v_lshlrev_b32_sdwa v1, v20, v25 dst_sel:DWORD dst_unused:UNUSED_PAD src0_sel:DWORD src1_sel:BYTE_0
	v_add_u32_e32 v46, v17, v1
	v_and_b32_e32 v1, 1, v25
	v_add_co_u32_e64 v2, s[24:25], -1, v1
	v_addc_co_u32_e64 v3, s[24:25], 0, -1, s[24:25]
	v_cmp_ne_u32_e64 s[24:25], 0, v1
	v_lshlrev_b32_e32 v6, 30, v25
	v_xor_b32_e32 v1, s25, v3
	v_xor_b32_e32 v2, s24, v2
	v_cmp_gt_i64_e64 s[24:25], 0, v[5:6]
	v_not_b32_e32 v3, v6
	v_ashrrev_i32_e32 v3, 31, v3
	v_and_b32_e32 v2, exec_lo, v2
	v_xor_b32_e32 v4, s25, v3
	v_xor_b32_e32 v3, s24, v3
	v_lshlrev_b32_e32 v6, 29, v25
	v_and_b32_e32 v2, v2, v3
	v_cmp_gt_i64_e64 s[24:25], 0, v[5:6]
	v_not_b32_e32 v3, v6
	v_and_b32_e32 v1, exec_hi, v1
	v_ashrrev_i32_e32 v3, 31, v3
	v_and_b32_e32 v1, v1, v4
	v_xor_b32_e32 v4, s25, v3
	v_xor_b32_e32 v3, s24, v3
	v_lshlrev_b32_e32 v6, 28, v25
	v_and_b32_e32 v2, v2, v3
	v_cmp_gt_i64_e64 s[24:25], 0, v[5:6]
	v_not_b32_e32 v3, v6
	v_ashrrev_i32_e32 v3, 31, v3
	v_and_b32_e32 v1, v1, v4
	v_xor_b32_e32 v4, s25, v3
	v_xor_b32_e32 v3, s24, v3
	v_lshlrev_b32_e32 v6, 27, v25
	v_and_b32_e32 v2, v2, v3
	v_cmp_gt_i64_e64 s[24:25], 0, v[5:6]
	v_not_b32_e32 v3, v6
	;; [unrolled: 8-line block ×5, first 2 shown]
	v_ashrrev_i32_e32 v2, 31, v2
	v_and_b32_e32 v1, v1, v4
	v_xor_b32_e32 v4, s25, v2
	v_xor_b32_e32 v6, s24, v2
	; wave barrier
	ds_read_b32 v45, v46 offset:16
	v_and_b32_e32 v2, v1, v4
	v_and_b32_e32 v1, v3, v6
	v_mbcnt_lo_u32_b32 v3, v1, 0
	v_mbcnt_hi_u32_b32 v47, v2, v3
	v_cmp_ne_u64_e64 s[24:25], 0, v[1:2]
	v_cmp_eq_u32_e64 s[26:27], 0, v47
	s_and_b64 s[26:27], s[24:25], s[26:27]
	; wave barrier
	s_and_saveexec_b64 s[24:25], s[26:27]
	s_cbranch_execz .LBB79_10
; %bb.9:                                ;   in Loop: Header=BB79_2 Depth=1
	v_bcnt_u32_b32 v1, v1, 0
	v_bcnt_u32_b32 v1, v2, v1
	s_waitcnt lgkmcnt(0)
	v_add_u32_e32 v1, v45, v1
	ds_write_b32 v46, v1 offset:16
.LBB79_10:                              ;   in Loop: Header=BB79_2 Depth=1
	s_or_b64 exec, exec, s[24:25]
	v_lshlrev_b32_sdwa v1, v20, v24 dst_sel:DWORD dst_unused:UNUSED_PAD src0_sel:DWORD src1_sel:BYTE_0
	v_add_u32_e32 v49, v17, v1
	v_and_b32_e32 v1, 1, v24
	v_add_co_u32_e64 v2, s[24:25], -1, v1
	v_addc_co_u32_e64 v3, s[24:25], 0, -1, s[24:25]
	v_cmp_ne_u32_e64 s[24:25], 0, v1
	v_lshlrev_b32_e32 v6, 30, v24
	v_xor_b32_e32 v1, s25, v3
	v_xor_b32_e32 v2, s24, v2
	v_cmp_gt_i64_e64 s[24:25], 0, v[5:6]
	v_not_b32_e32 v3, v6
	v_ashrrev_i32_e32 v3, 31, v3
	v_and_b32_e32 v2, exec_lo, v2
	v_xor_b32_e32 v4, s25, v3
	v_xor_b32_e32 v3, s24, v3
	v_lshlrev_b32_e32 v6, 29, v24
	v_and_b32_e32 v2, v2, v3
	v_cmp_gt_i64_e64 s[24:25], 0, v[5:6]
	v_not_b32_e32 v3, v6
	v_and_b32_e32 v1, exec_hi, v1
	v_ashrrev_i32_e32 v3, 31, v3
	v_and_b32_e32 v1, v1, v4
	v_xor_b32_e32 v4, s25, v3
	v_xor_b32_e32 v3, s24, v3
	v_lshlrev_b32_e32 v6, 28, v24
	v_and_b32_e32 v2, v2, v3
	v_cmp_gt_i64_e64 s[24:25], 0, v[5:6]
	v_not_b32_e32 v3, v6
	v_ashrrev_i32_e32 v3, 31, v3
	v_and_b32_e32 v1, v1, v4
	v_xor_b32_e32 v4, s25, v3
	v_xor_b32_e32 v3, s24, v3
	v_lshlrev_b32_e32 v6, 27, v24
	v_and_b32_e32 v2, v2, v3
	v_cmp_gt_i64_e64 s[24:25], 0, v[5:6]
	v_not_b32_e32 v3, v6
	;; [unrolled: 8-line block ×5, first 2 shown]
	v_ashrrev_i32_e32 v2, 31, v2
	v_and_b32_e32 v1, v1, v4
	v_xor_b32_e32 v4, s25, v2
	v_xor_b32_e32 v6, s24, v2
	; wave barrier
	ds_read_b32 v48, v49 offset:16
	v_and_b32_e32 v2, v1, v4
	v_and_b32_e32 v1, v3, v6
	v_mbcnt_lo_u32_b32 v3, v1, 0
	v_mbcnt_hi_u32_b32 v50, v2, v3
	v_cmp_ne_u64_e64 s[24:25], 0, v[1:2]
	v_cmp_eq_u32_e64 s[26:27], 0, v50
	s_and_b64 s[26:27], s[24:25], s[26:27]
	; wave barrier
	s_and_saveexec_b64 s[24:25], s[26:27]
	s_cbranch_execz .LBB79_12
; %bb.11:                               ;   in Loop: Header=BB79_2 Depth=1
	v_bcnt_u32_b32 v1, v1, 0
	v_bcnt_u32_b32 v1, v2, v1
	s_waitcnt lgkmcnt(0)
	v_add_u32_e32 v1, v48, v1
	ds_write_b32 v49, v1 offset:16
.LBB79_12:                              ;   in Loop: Header=BB79_2 Depth=1
	s_or_b64 exec, exec, s[24:25]
	v_lshlrev_b32_sdwa v1, v20, v23 dst_sel:DWORD dst_unused:UNUSED_PAD src0_sel:DWORD src1_sel:BYTE_0
	v_add_u32_e32 v52, v17, v1
	v_and_b32_e32 v1, 1, v23
	v_add_co_u32_e64 v2, s[24:25], -1, v1
	v_addc_co_u32_e64 v3, s[24:25], 0, -1, s[24:25]
	v_cmp_ne_u32_e64 s[24:25], 0, v1
	v_lshlrev_b32_e32 v6, 30, v23
	v_xor_b32_e32 v1, s25, v3
	v_xor_b32_e32 v2, s24, v2
	v_cmp_gt_i64_e64 s[24:25], 0, v[5:6]
	v_not_b32_e32 v3, v6
	v_ashrrev_i32_e32 v3, 31, v3
	v_and_b32_e32 v2, exec_lo, v2
	v_xor_b32_e32 v4, s25, v3
	v_xor_b32_e32 v3, s24, v3
	v_lshlrev_b32_e32 v6, 29, v23
	v_and_b32_e32 v2, v2, v3
	v_cmp_gt_i64_e64 s[24:25], 0, v[5:6]
	v_not_b32_e32 v3, v6
	v_and_b32_e32 v1, exec_hi, v1
	v_ashrrev_i32_e32 v3, 31, v3
	v_and_b32_e32 v1, v1, v4
	v_xor_b32_e32 v4, s25, v3
	v_xor_b32_e32 v3, s24, v3
	v_lshlrev_b32_e32 v6, 28, v23
	v_and_b32_e32 v2, v2, v3
	v_cmp_gt_i64_e64 s[24:25], 0, v[5:6]
	v_not_b32_e32 v3, v6
	v_ashrrev_i32_e32 v3, 31, v3
	v_and_b32_e32 v1, v1, v4
	v_xor_b32_e32 v4, s25, v3
	v_xor_b32_e32 v3, s24, v3
	v_lshlrev_b32_e32 v6, 27, v23
	v_and_b32_e32 v2, v2, v3
	v_cmp_gt_i64_e64 s[24:25], 0, v[5:6]
	v_not_b32_e32 v3, v6
	;; [unrolled: 8-line block ×5, first 2 shown]
	v_ashrrev_i32_e32 v2, 31, v2
	v_and_b32_e32 v1, v1, v4
	v_xor_b32_e32 v4, s25, v2
	v_xor_b32_e32 v6, s24, v2
	; wave barrier
	ds_read_b32 v51, v52 offset:16
	v_and_b32_e32 v2, v1, v4
	v_and_b32_e32 v1, v3, v6
	v_mbcnt_lo_u32_b32 v3, v1, 0
	v_mbcnt_hi_u32_b32 v53, v2, v3
	v_cmp_ne_u64_e64 s[24:25], 0, v[1:2]
	v_cmp_eq_u32_e64 s[26:27], 0, v53
	s_and_b64 s[26:27], s[24:25], s[26:27]
	; wave barrier
	s_and_saveexec_b64 s[24:25], s[26:27]
	s_cbranch_execz .LBB79_14
; %bb.13:                               ;   in Loop: Header=BB79_2 Depth=1
	v_bcnt_u32_b32 v1, v1, 0
	v_bcnt_u32_b32 v1, v2, v1
	s_waitcnt lgkmcnt(0)
	v_add_u32_e32 v1, v51, v1
	ds_write_b32 v52, v1 offset:16
.LBB79_14:                              ;   in Loop: Header=BB79_2 Depth=1
	s_or_b64 exec, exec, s[24:25]
	v_lshlrev_b32_sdwa v1, v20, v22 dst_sel:DWORD dst_unused:UNUSED_PAD src0_sel:DWORD src1_sel:BYTE_0
	v_add_u32_e32 v55, v17, v1
	v_and_b32_e32 v1, 1, v22
	v_add_co_u32_e64 v2, s[24:25], -1, v1
	v_addc_co_u32_e64 v3, s[24:25], 0, -1, s[24:25]
	v_cmp_ne_u32_e64 s[24:25], 0, v1
	v_lshlrev_b32_e32 v6, 30, v22
	v_xor_b32_e32 v1, s25, v3
	v_xor_b32_e32 v2, s24, v2
	v_cmp_gt_i64_e64 s[24:25], 0, v[5:6]
	v_not_b32_e32 v3, v6
	v_ashrrev_i32_e32 v3, 31, v3
	v_and_b32_e32 v2, exec_lo, v2
	v_xor_b32_e32 v4, s25, v3
	v_xor_b32_e32 v3, s24, v3
	v_lshlrev_b32_e32 v6, 29, v22
	v_and_b32_e32 v2, v2, v3
	v_cmp_gt_i64_e64 s[24:25], 0, v[5:6]
	v_not_b32_e32 v3, v6
	v_and_b32_e32 v1, exec_hi, v1
	v_ashrrev_i32_e32 v3, 31, v3
	v_and_b32_e32 v1, v1, v4
	v_xor_b32_e32 v4, s25, v3
	v_xor_b32_e32 v3, s24, v3
	v_lshlrev_b32_e32 v6, 28, v22
	v_and_b32_e32 v2, v2, v3
	v_cmp_gt_i64_e64 s[24:25], 0, v[5:6]
	v_not_b32_e32 v3, v6
	v_ashrrev_i32_e32 v3, 31, v3
	v_and_b32_e32 v1, v1, v4
	v_xor_b32_e32 v4, s25, v3
	v_xor_b32_e32 v3, s24, v3
	v_lshlrev_b32_e32 v6, 27, v22
	v_and_b32_e32 v2, v2, v3
	v_cmp_gt_i64_e64 s[24:25], 0, v[5:6]
	v_not_b32_e32 v3, v6
	;; [unrolled: 8-line block ×5, first 2 shown]
	v_ashrrev_i32_e32 v2, 31, v2
	v_and_b32_e32 v1, v1, v4
	v_xor_b32_e32 v4, s25, v2
	v_xor_b32_e32 v6, s24, v2
	; wave barrier
	ds_read_b32 v54, v55 offset:16
	v_and_b32_e32 v2, v1, v4
	v_and_b32_e32 v1, v3, v6
	v_mbcnt_lo_u32_b32 v3, v1, 0
	v_mbcnt_hi_u32_b32 v56, v2, v3
	v_cmp_ne_u64_e64 s[24:25], 0, v[1:2]
	v_cmp_eq_u32_e64 s[26:27], 0, v56
	s_and_b64 s[26:27], s[24:25], s[26:27]
	; wave barrier
	s_and_saveexec_b64 s[24:25], s[26:27]
	s_cbranch_execz .LBB79_16
; %bb.15:                               ;   in Loop: Header=BB79_2 Depth=1
	v_bcnt_u32_b32 v1, v1, 0
	v_bcnt_u32_b32 v1, v2, v1
	s_waitcnt lgkmcnt(0)
	v_add_u32_e32 v1, v54, v1
	ds_write_b32 v55, v1 offset:16
.LBB79_16:                              ;   in Loop: Header=BB79_2 Depth=1
	s_or_b64 exec, exec, s[24:25]
	v_lshlrev_b32_sdwa v1, v20, v21 dst_sel:DWORD dst_unused:UNUSED_PAD src0_sel:DWORD src1_sel:BYTE_0
	v_add_u32_e32 v58, v17, v1
	v_and_b32_e32 v1, 1, v21
	v_add_co_u32_e64 v2, s[24:25], -1, v1
	v_addc_co_u32_e64 v3, s[24:25], 0, -1, s[24:25]
	v_cmp_ne_u32_e64 s[24:25], 0, v1
	v_lshlrev_b32_e32 v6, 30, v21
	v_xor_b32_e32 v1, s25, v3
	v_xor_b32_e32 v2, s24, v2
	v_cmp_gt_i64_e64 s[24:25], 0, v[5:6]
	v_not_b32_e32 v3, v6
	v_ashrrev_i32_e32 v3, 31, v3
	v_and_b32_e32 v2, exec_lo, v2
	v_xor_b32_e32 v4, s25, v3
	v_xor_b32_e32 v3, s24, v3
	v_lshlrev_b32_e32 v6, 29, v21
	v_and_b32_e32 v2, v2, v3
	v_cmp_gt_i64_e64 s[24:25], 0, v[5:6]
	v_not_b32_e32 v3, v6
	v_and_b32_e32 v1, exec_hi, v1
	v_ashrrev_i32_e32 v3, 31, v3
	v_and_b32_e32 v1, v1, v4
	v_xor_b32_e32 v4, s25, v3
	v_xor_b32_e32 v3, s24, v3
	v_lshlrev_b32_e32 v6, 28, v21
	v_and_b32_e32 v2, v2, v3
	v_cmp_gt_i64_e64 s[24:25], 0, v[5:6]
	v_not_b32_e32 v3, v6
	v_ashrrev_i32_e32 v3, 31, v3
	v_and_b32_e32 v1, v1, v4
	v_xor_b32_e32 v4, s25, v3
	v_xor_b32_e32 v3, s24, v3
	v_lshlrev_b32_e32 v6, 27, v21
	v_and_b32_e32 v2, v2, v3
	v_cmp_gt_i64_e64 s[24:25], 0, v[5:6]
	v_not_b32_e32 v3, v6
	;; [unrolled: 8-line block ×5, first 2 shown]
	v_ashrrev_i32_e32 v2, 31, v2
	v_and_b32_e32 v1, v1, v4
	v_xor_b32_e32 v4, s25, v2
	v_xor_b32_e32 v6, s24, v2
	; wave barrier
	ds_read_b32 v57, v58 offset:16
	v_and_b32_e32 v2, v1, v4
	v_and_b32_e32 v1, v3, v6
	v_mbcnt_lo_u32_b32 v3, v1, 0
	v_mbcnt_hi_u32_b32 v6, v2, v3
	v_cmp_ne_u64_e64 s[24:25], 0, v[1:2]
	v_cmp_eq_u32_e64 s[26:27], 0, v6
	s_and_b64 s[26:27], s[24:25], s[26:27]
	; wave barrier
	s_and_saveexec_b64 s[24:25], s[26:27]
	s_cbranch_execz .LBB79_18
; %bb.17:                               ;   in Loop: Header=BB79_2 Depth=1
	v_bcnt_u32_b32 v1, v1, 0
	v_bcnt_u32_b32 v1, v2, v1
	s_waitcnt lgkmcnt(0)
	v_add_u32_e32 v1, v57, v1
	ds_write_b32 v58, v1 offset:16
.LBB79_18:                              ;   in Loop: Header=BB79_2 Depth=1
	s_or_b64 exec, exec, s[24:25]
	; wave barrier
	s_waitcnt lgkmcnt(0)
	s_barrier
	ds_read2_b64 v[1:4], v11 offset0:2 offset1:3
	s_waitcnt lgkmcnt(0)
	v_add_u32_e32 v59, v2, v1
	v_add3_u32 v4, v59, v3, v4
	s_nop 1
	v_mov_b32_dpp v59, v4 row_shr:1 row_mask:0xf bank_mask:0xf
	v_cndmask_b32_e64 v59, v59, 0, s[8:9]
	v_add_u32_e32 v4, v59, v4
	s_nop 1
	v_mov_b32_dpp v59, v4 row_shr:2 row_mask:0xf bank_mask:0xf
	v_cndmask_b32_e64 v59, 0, v59, s[10:11]
	v_add_u32_e32 v4, v4, v59
	;; [unrolled: 4-line block ×4, first 2 shown]
	s_nop 1
	v_mov_b32_dpp v59, v4 row_bcast:15 row_mask:0xf bank_mask:0xf
	v_cndmask_b32_e64 v59, v59, 0, s[16:17]
	v_add_u32_e32 v4, v4, v59
	s_nop 1
	v_mov_b32_dpp v59, v4 row_bcast:31 row_mask:0xf bank_mask:0xf
	v_cndmask_b32_e64 v59, 0, v59, s[6:7]
	v_add_u32_e32 v4, v4, v59
	s_and_saveexec_b64 s[24:25], s[18:19]
; %bb.19:                               ;   in Loop: Header=BB79_2 Depth=1
	ds_write_b32 v14, v4
; %bb.20:                               ;   in Loop: Header=BB79_2 Depth=1
	s_or_b64 exec, exec, s[24:25]
	s_waitcnt lgkmcnt(0)
	s_barrier
	s_and_saveexec_b64 s[24:25], vcc
	s_cbranch_execz .LBB79_22
; %bb.21:                               ;   in Loop: Header=BB79_2 Depth=1
	ds_read_b32 v59, v19
	s_waitcnt lgkmcnt(0)
	s_nop 0
	v_mov_b32_dpp v60, v59 row_shr:1 row_mask:0xf bank_mask:0xf
	v_cndmask_b32_e64 v60, v60, 0, s[20:21]
	v_add_u32_e32 v59, v60, v59
	s_nop 1
	v_mov_b32_dpp v60, v59 row_shr:2 row_mask:0xf bank_mask:0xf
	v_cndmask_b32_e64 v60, 0, v60, s[22:23]
	v_add_u32_e32 v59, v59, v60
	ds_write_b32 v19, v59
.LBB79_22:                              ;   in Loop: Header=BB79_2 Depth=1
	s_or_b64 exec, exec, s[24:25]
	v_mov_b32_e32 v59, 0
	s_waitcnt lgkmcnt(0)
	s_barrier
	s_and_saveexec_b64 s[24:25], s[0:1]
	s_cbranch_execz .LBB79_1
; %bb.23:                               ;   in Loop: Header=BB79_2 Depth=1
	ds_read_b32 v59, v15
	s_branch .LBB79_1
.LBB79_24:
	v_lshrrev_b32_e32 v6, 8, v3
	s_waitcnt lgkmcnt(0)
	v_lshrrev_b32_e32 v7, 8, v1
	s_add_u32 s0, s30, s33
	v_add_u16_e32 v5, v3, v1
	v_add_u16_e32 v6, v6, v7
	v_add_u16_sdwa v7, v3, v1 dst_sel:DWORD dst_unused:UNUSED_PAD src0_sel:WORD_1 src1_sel:WORD_1
	v_add_u16_sdwa v3, v3, v1 dst_sel:DWORD dst_unused:UNUSED_PAD src0_sel:BYTE_3 src1_sel:BYTE_3
	v_lshrrev_b32_e32 v1, 8, v4
	v_lshrrev_b32_e32 v9, 8, v2
	s_addc_u32 s1, s31, 0
	v_add_u16_e32 v9, v1, v9
	v_mov_b32_e32 v1, s1
	v_add_co_u32_e32 v0, vcc, s0, v0
	v_addc_co_u32_e32 v1, vcc, 0, v1, vcc
	v_add_u16_e32 v8, v4, v2
	v_add_u16_sdwa v10, v4, v2 dst_sel:DWORD dst_unused:UNUSED_PAD src0_sel:WORD_1 src1_sel:WORD_1
	v_add_u16_sdwa v2, v4, v2 dst_sel:DWORD dst_unused:UNUSED_PAD src0_sel:BYTE_3 src1_sel:BYTE_3
	global_store_byte v[0:1], v5, off
	global_store_byte v[0:1], v6, off offset:256
	global_store_byte v[0:1], v7, off offset:512
	;; [unrolled: 1-line block ×7, first 2 shown]
	s_endpgm
	.section	.rodata,"a",@progbits
	.p2align	6, 0x0
	.amdhsa_kernel _Z17sort_pairs_kernelI22helper_blocked_blockedaLj256ELj8ELj10EEvPKT0_PS1_
		.amdhsa_group_segment_fixed_size 4112
		.amdhsa_private_segment_fixed_size 0
		.amdhsa_kernarg_size 272
		.amdhsa_user_sgpr_count 6
		.amdhsa_user_sgpr_private_segment_buffer 1
		.amdhsa_user_sgpr_dispatch_ptr 0
		.amdhsa_user_sgpr_queue_ptr 0
		.amdhsa_user_sgpr_kernarg_segment_ptr 1
		.amdhsa_user_sgpr_dispatch_id 0
		.amdhsa_user_sgpr_flat_scratch_init 0
		.amdhsa_user_sgpr_private_segment_size 0
		.amdhsa_uses_dynamic_stack 0
		.amdhsa_system_sgpr_private_segment_wavefront_offset 0
		.amdhsa_system_sgpr_workgroup_id_x 1
		.amdhsa_system_sgpr_workgroup_id_y 0
		.amdhsa_system_sgpr_workgroup_id_z 0
		.amdhsa_system_sgpr_workgroup_info 0
		.amdhsa_system_vgpr_workitem_id 2
		.amdhsa_next_free_vgpr 61
		.amdhsa_next_free_sgpr 37
		.amdhsa_reserve_vcc 1
		.amdhsa_reserve_flat_scratch 0
		.amdhsa_float_round_mode_32 0
		.amdhsa_float_round_mode_16_64 0
		.amdhsa_float_denorm_mode_32 3
		.amdhsa_float_denorm_mode_16_64 3
		.amdhsa_dx10_clamp 1
		.amdhsa_ieee_mode 1
		.amdhsa_fp16_overflow 0
		.amdhsa_exception_fp_ieee_invalid_op 0
		.amdhsa_exception_fp_denorm_src 0
		.amdhsa_exception_fp_ieee_div_zero 0
		.amdhsa_exception_fp_ieee_overflow 0
		.amdhsa_exception_fp_ieee_underflow 0
		.amdhsa_exception_fp_ieee_inexact 0
		.amdhsa_exception_int_div_zero 0
	.end_amdhsa_kernel
	.section	.text._Z17sort_pairs_kernelI22helper_blocked_blockedaLj256ELj8ELj10EEvPKT0_PS1_,"axG",@progbits,_Z17sort_pairs_kernelI22helper_blocked_blockedaLj256ELj8ELj10EEvPKT0_PS1_,comdat
.Lfunc_end79:
	.size	_Z17sort_pairs_kernelI22helper_blocked_blockedaLj256ELj8ELj10EEvPKT0_PS1_, .Lfunc_end79-_Z17sort_pairs_kernelI22helper_blocked_blockedaLj256ELj8ELj10EEvPKT0_PS1_
                                        ; -- End function
	.set _Z17sort_pairs_kernelI22helper_blocked_blockedaLj256ELj8ELj10EEvPKT0_PS1_.num_vgpr, 61
	.set _Z17sort_pairs_kernelI22helper_blocked_blockedaLj256ELj8ELj10EEvPKT0_PS1_.num_agpr, 0
	.set _Z17sort_pairs_kernelI22helper_blocked_blockedaLj256ELj8ELj10EEvPKT0_PS1_.numbered_sgpr, 37
	.set _Z17sort_pairs_kernelI22helper_blocked_blockedaLj256ELj8ELj10EEvPKT0_PS1_.num_named_barrier, 0
	.set _Z17sort_pairs_kernelI22helper_blocked_blockedaLj256ELj8ELj10EEvPKT0_PS1_.private_seg_size, 0
	.set _Z17sort_pairs_kernelI22helper_blocked_blockedaLj256ELj8ELj10EEvPKT0_PS1_.uses_vcc, 1
	.set _Z17sort_pairs_kernelI22helper_blocked_blockedaLj256ELj8ELj10EEvPKT0_PS1_.uses_flat_scratch, 0
	.set _Z17sort_pairs_kernelI22helper_blocked_blockedaLj256ELj8ELj10EEvPKT0_PS1_.has_dyn_sized_stack, 0
	.set _Z17sort_pairs_kernelI22helper_blocked_blockedaLj256ELj8ELj10EEvPKT0_PS1_.has_recursion, 0
	.set _Z17sort_pairs_kernelI22helper_blocked_blockedaLj256ELj8ELj10EEvPKT0_PS1_.has_indirect_call, 0
	.section	.AMDGPU.csdata,"",@progbits
; Kernel info:
; codeLenInByte = 5052
; TotalNumSgprs: 41
; NumVgprs: 61
; ScratchSize: 0
; MemoryBound: 0
; FloatMode: 240
; IeeeMode: 1
; LDSByteSize: 4112 bytes/workgroup (compile time only)
; SGPRBlocks: 5
; VGPRBlocks: 15
; NumSGPRsForWavesPerEU: 41
; NumVGPRsForWavesPerEU: 61
; Occupancy: 4
; WaveLimiterHint : 1
; COMPUTE_PGM_RSRC2:SCRATCH_EN: 0
; COMPUTE_PGM_RSRC2:USER_SGPR: 6
; COMPUTE_PGM_RSRC2:TRAP_HANDLER: 0
; COMPUTE_PGM_RSRC2:TGID_X_EN: 1
; COMPUTE_PGM_RSRC2:TGID_Y_EN: 0
; COMPUTE_PGM_RSRC2:TGID_Z_EN: 0
; COMPUTE_PGM_RSRC2:TIDIG_COMP_CNT: 2
	.section	.text._Z16sort_keys_kernelI22helper_blocked_blockedaLj320ELj1ELj10EEvPKT0_PS1_,"axG",@progbits,_Z16sort_keys_kernelI22helper_blocked_blockedaLj320ELj1ELj10EEvPKT0_PS1_,comdat
	.protected	_Z16sort_keys_kernelI22helper_blocked_blockedaLj320ELj1ELj10EEvPKT0_PS1_ ; -- Begin function _Z16sort_keys_kernelI22helper_blocked_blockedaLj320ELj1ELj10EEvPKT0_PS1_
	.globl	_Z16sort_keys_kernelI22helper_blocked_blockedaLj320ELj1ELj10EEvPKT0_PS1_
	.p2align	8
	.type	_Z16sort_keys_kernelI22helper_blocked_blockedaLj320ELj1ELj10EEvPKT0_PS1_,@function
_Z16sort_keys_kernelI22helper_blocked_blockedaLj320ELj1ELj10EEvPKT0_PS1_: ; @_Z16sort_keys_kernelI22helper_blocked_blockedaLj320ELj1ELj10EEvPKT0_PS1_
; %bb.0:
	s_load_dwordx4 s[28:31], s[4:5], 0x0
	s_load_dword s24, s[4:5], 0x1c
	s_mul_i32 s33, s6, 0x140
	v_mbcnt_lo_u32_b32 v5, -1, 0
	v_mbcnt_hi_u32_b32 v5, -1, v5
	s_waitcnt lgkmcnt(0)
	s_add_u32 s0, s28, s33
	s_addc_u32 s1, s29, 0
	global_load_ubyte v4, v0, s[0:1]
	s_lshr_b32 s25, s24, 16
	s_and_b32 s24, s24, 0xffff
	v_mad_u32_u24 v1, v2, s25, v1
	v_mad_u64_u32 v[1:2], s[24:25], v1, s24, v[0:1]
	v_and_b32_e32 v7, 0x1c0, v0
	v_subrev_co_u32_e64 v13, s[6:7], 1, v5
	v_and_b32_e32 v14, 64, v5
	v_lshrrev_b32_e32 v8, 4, v0
	v_and_b32_e32 v10, 15, v5
	v_min_u32_e32 v12, 0x100, v7
	v_cmp_lt_i32_e64 s[18:19], v13, v14
	v_mul_u32_u24_e32 v9, 3, v0
	v_and_b32_e32 v11, 16, v5
	v_cmp_lt_u32_e64 s[4:5], 31, v5
	v_and_b32_e32 v7, 28, v8
	v_and_b32_e32 v15, 7, v5
	v_cmp_eq_u32_e64 s[8:9], 0, v10
	v_cmp_lt_u32_e64 s[10:11], 1, v10
	v_cmp_lt_u32_e64 s[12:13], 3, v10
	;; [unrolled: 1-line block ×3, first 2 shown]
	v_or_b32_e32 v10, 63, v12
	v_cndmask_b32_e64 v5, v13, v5, s[18:19]
	v_lshrrev_b32_e32 v1, 4, v1
	v_mov_b32_e32 v3, 0
	s_mov_b32 s34, 10
	v_lshlrev_b32_e32 v6, 4, v0
	v_cmp_gt_u32_e32 vcc, 5, v0
	v_cmp_lt_u32_e64 s[0:1], 63, v0
	v_cmp_eq_u32_e64 s[2:3], 0, v0
	v_add_u32_e32 v8, v0, v9
	v_cmp_eq_u32_e64 s[16:17], 0, v11
	v_cmp_eq_u32_e64 s[18:19], 0, v15
	v_cmp_lt_u32_e64 s[20:21], 1, v15
	v_cmp_lt_u32_e64 s[22:23], 3, v15
	v_add_u32_e32 v9, -4, v7
	v_cmp_eq_u32_e64 s[24:25], v0, v10
	v_lshlrev_b32_e32 v10, 2, v5
	v_and_b32_e32 v11, 0xffffffc, v1
	v_mov_b32_e32 v12, 20
	s_waitcnt vmcnt(0)
	v_xor_b32_e32 v13, 0xffffff80, v4
	s_branch .LBB80_2
.LBB80_1:                               ;   in Loop: Header=BB80_2 Depth=1
	s_or_b64 exec, exec, s[26:27]
	s_waitcnt lgkmcnt(0)
	v_add_u32_e32 v2, v16, v2
	ds_bpermute_b32 v2, v10, v2
	s_add_i32 s34, s34, -1
	s_cmp_eq_u32 s34, 0
	s_waitcnt lgkmcnt(0)
	v_cndmask_b32_e64 v2, v2, v16, s[6:7]
	v_cndmask_b32_e64 v2, v2, 0, s[2:3]
	v_add_u32_e32 v4, v2, v4
	v_add_u32_e32 v5, v4, v5
	;; [unrolled: 1-line block ×3, first 2 shown]
	ds_write2_b32 v6, v2, v4 offset0:5 offset1:6
	ds_write2_b32 v6, v5, v1 offset0:7 offset1:8
	s_waitcnt lgkmcnt(0)
	s_barrier
	ds_read_b32 v1, v15 offset:20
	s_waitcnt lgkmcnt(0)
	s_barrier
	v_add_u32_e32 v1, v1, v14
	ds_write_b8 v1, v13
	s_waitcnt lgkmcnt(0)
	s_barrier
	ds_read_u8 v13, v0
	s_cbranch_scc1 .LBB80_10
.LBB80_2:                               ; =>This Inner Loop Header: Depth=1
	s_waitcnt lgkmcnt(0)
	v_and_b32_e32 v1, 1, v13
	v_add_co_u32_e64 v2, s[26:27], -1, v1
	v_addc_co_u32_e64 v4, s[26:27], 0, -1, s[26:27]
	v_cmp_ne_u32_e64 s[26:27], 0, v1
	v_xor_b32_e32 v1, s27, v4
	v_lshlrev_b32_e32 v4, 30, v13
	v_xor_b32_e32 v2, s26, v2
	v_cmp_gt_i64_e64 s[26:27], 0, v[3:4]
	v_not_b32_e32 v4, v4
	v_ashrrev_i32_e32 v4, 31, v4
	v_and_b32_e32 v2, exec_lo, v2
	v_xor_b32_e32 v14, s27, v4
	v_xor_b32_e32 v4, s26, v4
	v_and_b32_e32 v2, v2, v4
	v_lshlrev_b32_e32 v4, 29, v13
	v_cmp_gt_i64_e64 s[26:27], 0, v[3:4]
	v_not_b32_e32 v4, v4
	v_and_b32_e32 v1, exec_hi, v1
	v_ashrrev_i32_e32 v4, 31, v4
	v_and_b32_e32 v1, v1, v14
	v_xor_b32_e32 v14, s27, v4
	v_xor_b32_e32 v4, s26, v4
	v_and_b32_e32 v2, v2, v4
	v_lshlrev_b32_e32 v4, 28, v13
	v_cmp_gt_i64_e64 s[26:27], 0, v[3:4]
	v_not_b32_e32 v4, v4
	v_ashrrev_i32_e32 v4, 31, v4
	v_and_b32_e32 v1, v1, v14
	v_xor_b32_e32 v14, s27, v4
	v_xor_b32_e32 v4, s26, v4
	v_and_b32_e32 v2, v2, v4
	v_lshlrev_b32_e32 v4, 27, v13
	v_cmp_gt_i64_e64 s[26:27], 0, v[3:4]
	v_not_b32_e32 v4, v4
	;; [unrolled: 8-line block ×4, first 2 shown]
	v_ashrrev_i32_e32 v4, 31, v4
	v_and_b32_e32 v1, v1, v14
	v_xor_b32_e32 v14, s27, v4
	v_xor_b32_e32 v4, s26, v4
	v_and_b32_e32 v1, v1, v14
	v_and_b32_e32 v14, v2, v4
	v_lshlrev_b32_e32 v4, 24, v13
	v_cmp_gt_i64_e64 s[26:27], 0, v[3:4]
	v_not_b32_e32 v2, v4
	v_ashrrev_i32_e32 v2, 31, v2
	v_xor_b32_e32 v4, s27, v2
	v_xor_b32_e32 v15, s26, v2
	v_and_b32_e32 v2, v1, v4
	v_and_b32_e32 v1, v14, v15
	v_mbcnt_lo_u32_b32 v4, v1, 0
	v_mbcnt_hi_u32_b32 v14, v2, v4
	v_cmp_ne_u64_e64 s[26:27], 0, v[1:2]
	v_mul_u32_u24_sdwa v5, v13, v12 dst_sel:DWORD dst_unused:UNUSED_PAD src0_sel:BYTE_0 src1_sel:DWORD
	v_cmp_eq_u32_e64 s[28:29], 0, v14
	s_and_b64 s[28:29], s[26:27], s[28:29]
	v_add_u32_e32 v15, v11, v5
	ds_write2_b32 v6, v3, v3 offset0:5 offset1:6
	ds_write2_b32 v6, v3, v3 offset0:7 offset1:8
	s_waitcnt lgkmcnt(0)
	s_barrier
	; wave barrier
	s_and_saveexec_b64 s[26:27], s[28:29]
; %bb.3:                                ;   in Loop: Header=BB80_2 Depth=1
	v_bcnt_u32_b32 v1, v1, 0
	v_bcnt_u32_b32 v1, v2, v1
	ds_write_b32 v15, v1 offset:20
; %bb.4:                                ;   in Loop: Header=BB80_2 Depth=1
	s_or_b64 exec, exec, s[26:27]
	; wave barrier
	s_waitcnt lgkmcnt(0)
	s_barrier
	ds_read2_b32 v[4:5], v6 offset0:5 offset1:6
	ds_read2_b32 v[1:2], v6 offset0:7 offset1:8
	s_waitcnt lgkmcnt(1)
	v_add_u32_e32 v16, v5, v4
	s_waitcnt lgkmcnt(0)
	v_add3_u32 v2, v16, v1, v2
	s_nop 1
	v_mov_b32_dpp v16, v2 row_shr:1 row_mask:0xf bank_mask:0xf
	v_cndmask_b32_e64 v16, v16, 0, s[8:9]
	v_add_u32_e32 v2, v16, v2
	s_nop 1
	v_mov_b32_dpp v16, v2 row_shr:2 row_mask:0xf bank_mask:0xf
	v_cndmask_b32_e64 v16, 0, v16, s[10:11]
	v_add_u32_e32 v2, v2, v16
	;; [unrolled: 4-line block ×4, first 2 shown]
	s_nop 1
	v_mov_b32_dpp v16, v2 row_bcast:15 row_mask:0xf bank_mask:0xf
	v_cndmask_b32_e64 v16, v16, 0, s[16:17]
	v_add_u32_e32 v2, v2, v16
	s_nop 1
	v_mov_b32_dpp v16, v2 row_bcast:31 row_mask:0xf bank_mask:0xf
	v_cndmask_b32_e64 v16, 0, v16, s[4:5]
	v_add_u32_e32 v2, v2, v16
	s_and_saveexec_b64 s[26:27], s[24:25]
; %bb.5:                                ;   in Loop: Header=BB80_2 Depth=1
	ds_write_b32 v7, v2
; %bb.6:                                ;   in Loop: Header=BB80_2 Depth=1
	s_or_b64 exec, exec, s[26:27]
	s_waitcnt lgkmcnt(0)
	s_barrier
	s_and_saveexec_b64 s[26:27], vcc
	s_cbranch_execz .LBB80_8
; %bb.7:                                ;   in Loop: Header=BB80_2 Depth=1
	ds_read_b32 v16, v8
	s_waitcnt lgkmcnt(0)
	s_nop 0
	v_mov_b32_dpp v17, v16 row_shr:1 row_mask:0xf bank_mask:0xf
	v_cndmask_b32_e64 v17, v17, 0, s[18:19]
	v_add_u32_e32 v16, v17, v16
	s_nop 1
	v_mov_b32_dpp v17, v16 row_shr:2 row_mask:0xf bank_mask:0xf
	v_cndmask_b32_e64 v17, 0, v17, s[20:21]
	v_add_u32_e32 v16, v16, v17
	;; [unrolled: 4-line block ×3, first 2 shown]
	ds_write_b32 v8, v16
.LBB80_8:                               ;   in Loop: Header=BB80_2 Depth=1
	s_or_b64 exec, exec, s[26:27]
	v_mov_b32_e32 v16, 0
	s_waitcnt lgkmcnt(0)
	s_barrier
	s_and_saveexec_b64 s[26:27], s[0:1]
	s_cbranch_execz .LBB80_1
; %bb.9:                                ;   in Loop: Header=BB80_2 Depth=1
	ds_read_b32 v16, v9
	s_branch .LBB80_1
.LBB80_10:
	s_add_u32 s0, s30, s33
	s_addc_u32 s1, s31, 0
	v_mov_b32_e32 v1, s1
	v_add_co_u32_e32 v0, vcc, s0, v0
	s_waitcnt lgkmcnt(0)
	v_xor_b32_e32 v2, 0x80, v13
	v_addc_co_u32_e32 v1, vcc, 0, v1, vcc
	global_store_byte v[0:1], v2, off
	s_endpgm
	.section	.rodata,"a",@progbits
	.p2align	6, 0x0
	.amdhsa_kernel _Z16sort_keys_kernelI22helper_blocked_blockedaLj320ELj1ELj10EEvPKT0_PS1_
		.amdhsa_group_segment_fixed_size 5152
		.amdhsa_private_segment_fixed_size 0
		.amdhsa_kernarg_size 272
		.amdhsa_user_sgpr_count 6
		.amdhsa_user_sgpr_private_segment_buffer 1
		.amdhsa_user_sgpr_dispatch_ptr 0
		.amdhsa_user_sgpr_queue_ptr 0
		.amdhsa_user_sgpr_kernarg_segment_ptr 1
		.amdhsa_user_sgpr_dispatch_id 0
		.amdhsa_user_sgpr_flat_scratch_init 0
		.amdhsa_user_sgpr_private_segment_size 0
		.amdhsa_uses_dynamic_stack 0
		.amdhsa_system_sgpr_private_segment_wavefront_offset 0
		.amdhsa_system_sgpr_workgroup_id_x 1
		.amdhsa_system_sgpr_workgroup_id_y 0
		.amdhsa_system_sgpr_workgroup_id_z 0
		.amdhsa_system_sgpr_workgroup_info 0
		.amdhsa_system_vgpr_workitem_id 2
		.amdhsa_next_free_vgpr 18
		.amdhsa_next_free_sgpr 35
		.amdhsa_reserve_vcc 1
		.amdhsa_reserve_flat_scratch 0
		.amdhsa_float_round_mode_32 0
		.amdhsa_float_round_mode_16_64 0
		.amdhsa_float_denorm_mode_32 3
		.amdhsa_float_denorm_mode_16_64 3
		.amdhsa_dx10_clamp 1
		.amdhsa_ieee_mode 1
		.amdhsa_fp16_overflow 0
		.amdhsa_exception_fp_ieee_invalid_op 0
		.amdhsa_exception_fp_denorm_src 0
		.amdhsa_exception_fp_ieee_div_zero 0
		.amdhsa_exception_fp_ieee_overflow 0
		.amdhsa_exception_fp_ieee_underflow 0
		.amdhsa_exception_fp_ieee_inexact 0
		.amdhsa_exception_int_div_zero 0
	.end_amdhsa_kernel
	.section	.text._Z16sort_keys_kernelI22helper_blocked_blockedaLj320ELj1ELj10EEvPKT0_PS1_,"axG",@progbits,_Z16sort_keys_kernelI22helper_blocked_blockedaLj320ELj1ELj10EEvPKT0_PS1_,comdat
.Lfunc_end80:
	.size	_Z16sort_keys_kernelI22helper_blocked_blockedaLj320ELj1ELj10EEvPKT0_PS1_, .Lfunc_end80-_Z16sort_keys_kernelI22helper_blocked_blockedaLj320ELj1ELj10EEvPKT0_PS1_
                                        ; -- End function
	.set _Z16sort_keys_kernelI22helper_blocked_blockedaLj320ELj1ELj10EEvPKT0_PS1_.num_vgpr, 18
	.set _Z16sort_keys_kernelI22helper_blocked_blockedaLj320ELj1ELj10EEvPKT0_PS1_.num_agpr, 0
	.set _Z16sort_keys_kernelI22helper_blocked_blockedaLj320ELj1ELj10EEvPKT0_PS1_.numbered_sgpr, 35
	.set _Z16sort_keys_kernelI22helper_blocked_blockedaLj320ELj1ELj10EEvPKT0_PS1_.num_named_barrier, 0
	.set _Z16sort_keys_kernelI22helper_blocked_blockedaLj320ELj1ELj10EEvPKT0_PS1_.private_seg_size, 0
	.set _Z16sort_keys_kernelI22helper_blocked_blockedaLj320ELj1ELj10EEvPKT0_PS1_.uses_vcc, 1
	.set _Z16sort_keys_kernelI22helper_blocked_blockedaLj320ELj1ELj10EEvPKT0_PS1_.uses_flat_scratch, 0
	.set _Z16sort_keys_kernelI22helper_blocked_blockedaLj320ELj1ELj10EEvPKT0_PS1_.has_dyn_sized_stack, 0
	.set _Z16sort_keys_kernelI22helper_blocked_blockedaLj320ELj1ELj10EEvPKT0_PS1_.has_recursion, 0
	.set _Z16sort_keys_kernelI22helper_blocked_blockedaLj320ELj1ELj10EEvPKT0_PS1_.has_indirect_call, 0
	.section	.AMDGPU.csdata,"",@progbits
; Kernel info:
; codeLenInByte = 1244
; TotalNumSgprs: 39
; NumVgprs: 18
; ScratchSize: 0
; MemoryBound: 0
; FloatMode: 240
; IeeeMode: 1
; LDSByteSize: 5152 bytes/workgroup (compile time only)
; SGPRBlocks: 4
; VGPRBlocks: 4
; NumSGPRsForWavesPerEU: 39
; NumVGPRsForWavesPerEU: 18
; Occupancy: 10
; WaveLimiterHint : 0
; COMPUTE_PGM_RSRC2:SCRATCH_EN: 0
; COMPUTE_PGM_RSRC2:USER_SGPR: 6
; COMPUTE_PGM_RSRC2:TRAP_HANDLER: 0
; COMPUTE_PGM_RSRC2:TGID_X_EN: 1
; COMPUTE_PGM_RSRC2:TGID_Y_EN: 0
; COMPUTE_PGM_RSRC2:TGID_Z_EN: 0
; COMPUTE_PGM_RSRC2:TIDIG_COMP_CNT: 2
	.section	.text._Z17sort_pairs_kernelI22helper_blocked_blockedaLj320ELj1ELj10EEvPKT0_PS1_,"axG",@progbits,_Z17sort_pairs_kernelI22helper_blocked_blockedaLj320ELj1ELj10EEvPKT0_PS1_,comdat
	.protected	_Z17sort_pairs_kernelI22helper_blocked_blockedaLj320ELj1ELj10EEvPKT0_PS1_ ; -- Begin function _Z17sort_pairs_kernelI22helper_blocked_blockedaLj320ELj1ELj10EEvPKT0_PS1_
	.globl	_Z17sort_pairs_kernelI22helper_blocked_blockedaLj320ELj1ELj10EEvPKT0_PS1_
	.p2align	8
	.type	_Z17sort_pairs_kernelI22helper_blocked_blockedaLj320ELj1ELj10EEvPKT0_PS1_,@function
_Z17sort_pairs_kernelI22helper_blocked_blockedaLj320ELj1ELj10EEvPKT0_PS1_: ; @_Z17sort_pairs_kernelI22helper_blocked_blockedaLj320ELj1ELj10EEvPKT0_PS1_
; %bb.0:
	s_load_dwordx4 s[28:31], s[4:5], 0x0
	s_load_dword s24, s[4:5], 0x1c
	s_mul_i32 s33, s6, 0x140
	v_mbcnt_lo_u32_b32 v5, -1, 0
	v_mbcnt_hi_u32_b32 v5, -1, v5
	s_waitcnt lgkmcnt(0)
	s_add_u32 s0, s28, s33
	s_addc_u32 s1, s29, 0
	global_load_ubyte v4, v0, s[0:1]
	s_lshr_b32 s25, s24, 16
	s_and_b32 s24, s24, 0xffff
	v_mad_u32_u24 v1, v2, s25, v1
	v_mad_u64_u32 v[1:2], s[24:25], v1, s24, v[0:1]
	v_and_b32_e32 v7, 0x1c0, v0
	v_subrev_co_u32_e64 v13, s[6:7], 1, v5
	v_and_b32_e32 v14, 64, v5
	v_lshrrev_b32_e32 v8, 4, v0
	v_and_b32_e32 v10, 15, v5
	v_min_u32_e32 v12, 0x100, v7
	v_cmp_lt_i32_e64 s[18:19], v13, v14
	v_mul_u32_u24_e32 v9, 3, v0
	v_and_b32_e32 v11, 16, v5
	v_cmp_lt_u32_e64 s[4:5], 31, v5
	v_and_b32_e32 v7, 28, v8
	v_and_b32_e32 v15, 7, v5
	v_cmp_eq_u32_e64 s[8:9], 0, v10
	v_cmp_lt_u32_e64 s[10:11], 1, v10
	v_cmp_lt_u32_e64 s[12:13], 3, v10
	;; [unrolled: 1-line block ×3, first 2 shown]
	v_or_b32_e32 v10, 63, v12
	v_cndmask_b32_e64 v5, v13, v5, s[18:19]
	v_lshrrev_b32_e32 v1, 4, v1
	v_mov_b32_e32 v3, 0
	s_mov_b32 s34, 10
	v_lshlrev_b32_e32 v6, 4, v0
	v_cmp_gt_u32_e32 vcc, 5, v0
	v_cmp_lt_u32_e64 s[0:1], 63, v0
	v_cmp_eq_u32_e64 s[2:3], 0, v0
	v_add_u32_e32 v8, v0, v9
	v_cmp_eq_u32_e64 s[16:17], 0, v11
	v_cmp_eq_u32_e64 s[18:19], 0, v15
	v_cmp_lt_u32_e64 s[20:21], 1, v15
	v_cmp_lt_u32_e64 s[22:23], 3, v15
	v_add_u32_e32 v9, -4, v7
	v_cmp_eq_u32_e64 s[24:25], v0, v10
	v_lshlrev_b32_e32 v10, 2, v5
	v_and_b32_e32 v11, 0xffffffc, v1
	v_mov_b32_e32 v12, 20
	s_waitcnt vmcnt(0)
	v_add_u16_e32 v13, 1, v4
	v_xor_b32_e32 v14, 0xffffff80, v4
	s_branch .LBB81_2
.LBB81_1:                               ;   in Loop: Header=BB81_2 Depth=1
	s_or_b64 exec, exec, s[26:27]
	s_waitcnt lgkmcnt(0)
	v_add_u32_e32 v2, v17, v2
	ds_bpermute_b32 v2, v10, v2
	s_add_i32 s34, s34, -1
	s_cmp_eq_u32 s34, 0
	s_waitcnt lgkmcnt(0)
	v_cndmask_b32_e64 v2, v2, v17, s[6:7]
	v_cndmask_b32_e64 v2, v2, 0, s[2:3]
	v_add_u32_e32 v4, v2, v4
	v_add_u32_e32 v5, v4, v5
	;; [unrolled: 1-line block ×3, first 2 shown]
	ds_write2_b32 v6, v2, v4 offset0:5 offset1:6
	ds_write2_b32 v6, v5, v1 offset0:7 offset1:8
	s_waitcnt lgkmcnt(0)
	s_barrier
	ds_read_b32 v1, v16 offset:20
	s_waitcnt lgkmcnt(0)
	s_barrier
	v_add_u32_e32 v1, v1, v15
	ds_write_b8 v1, v14
	s_waitcnt lgkmcnt(0)
	s_barrier
	ds_read_u8 v14, v0
	s_waitcnt lgkmcnt(0)
	s_barrier
	ds_write_b8 v1, v13
	s_waitcnt lgkmcnt(0)
	s_barrier
	ds_read_u8 v13, v0
	s_cbranch_scc1 .LBB81_10
.LBB81_2:                               ; =>This Inner Loop Header: Depth=1
	v_and_b32_e32 v1, 1, v14
	v_add_co_u32_e64 v2, s[26:27], -1, v1
	v_addc_co_u32_e64 v4, s[26:27], 0, -1, s[26:27]
	v_cmp_ne_u32_e64 s[26:27], 0, v1
	v_xor_b32_e32 v1, s27, v4
	v_lshlrev_b32_e32 v4, 30, v14
	v_xor_b32_e32 v2, s26, v2
	v_cmp_gt_i64_e64 s[26:27], 0, v[3:4]
	v_not_b32_e32 v4, v4
	v_ashrrev_i32_e32 v4, 31, v4
	v_and_b32_e32 v2, exec_lo, v2
	v_xor_b32_e32 v15, s27, v4
	v_xor_b32_e32 v4, s26, v4
	v_and_b32_e32 v2, v2, v4
	v_lshlrev_b32_e32 v4, 29, v14
	v_cmp_gt_i64_e64 s[26:27], 0, v[3:4]
	v_not_b32_e32 v4, v4
	v_and_b32_e32 v1, exec_hi, v1
	v_ashrrev_i32_e32 v4, 31, v4
	v_and_b32_e32 v1, v1, v15
	v_xor_b32_e32 v15, s27, v4
	v_xor_b32_e32 v4, s26, v4
	v_and_b32_e32 v2, v2, v4
	v_lshlrev_b32_e32 v4, 28, v14
	v_cmp_gt_i64_e64 s[26:27], 0, v[3:4]
	v_not_b32_e32 v4, v4
	v_ashrrev_i32_e32 v4, 31, v4
	v_and_b32_e32 v1, v1, v15
	v_xor_b32_e32 v15, s27, v4
	v_xor_b32_e32 v4, s26, v4
	v_and_b32_e32 v2, v2, v4
	v_lshlrev_b32_e32 v4, 27, v14
	v_cmp_gt_i64_e64 s[26:27], 0, v[3:4]
	v_not_b32_e32 v4, v4
	;; [unrolled: 8-line block ×4, first 2 shown]
	v_ashrrev_i32_e32 v4, 31, v4
	v_and_b32_e32 v1, v1, v15
	v_xor_b32_e32 v15, s27, v4
	v_xor_b32_e32 v4, s26, v4
	v_and_b32_e32 v1, v1, v15
	v_and_b32_e32 v15, v2, v4
	v_lshlrev_b32_e32 v4, 24, v14
	v_cmp_gt_i64_e64 s[26:27], 0, v[3:4]
	v_not_b32_e32 v2, v4
	v_ashrrev_i32_e32 v2, 31, v2
	v_xor_b32_e32 v4, s27, v2
	v_xor_b32_e32 v16, s26, v2
	v_and_b32_e32 v2, v1, v4
	v_and_b32_e32 v1, v15, v16
	v_mbcnt_lo_u32_b32 v4, v1, 0
	v_mbcnt_hi_u32_b32 v15, v2, v4
	v_cmp_ne_u64_e64 s[26:27], 0, v[1:2]
	v_mul_u32_u24_sdwa v5, v14, v12 dst_sel:DWORD dst_unused:UNUSED_PAD src0_sel:BYTE_0 src1_sel:DWORD
	v_cmp_eq_u32_e64 s[28:29], 0, v15
	s_and_b64 s[28:29], s[26:27], s[28:29]
	v_add_u32_e32 v16, v11, v5
	ds_write2_b32 v6, v3, v3 offset0:5 offset1:6
	ds_write2_b32 v6, v3, v3 offset0:7 offset1:8
	s_waitcnt lgkmcnt(0)
	s_barrier
	; wave barrier
	s_and_saveexec_b64 s[26:27], s[28:29]
; %bb.3:                                ;   in Loop: Header=BB81_2 Depth=1
	v_bcnt_u32_b32 v1, v1, 0
	v_bcnt_u32_b32 v1, v2, v1
	ds_write_b32 v16, v1 offset:20
; %bb.4:                                ;   in Loop: Header=BB81_2 Depth=1
	s_or_b64 exec, exec, s[26:27]
	; wave barrier
	s_waitcnt lgkmcnt(0)
	s_barrier
	ds_read2_b32 v[4:5], v6 offset0:5 offset1:6
	ds_read2_b32 v[1:2], v6 offset0:7 offset1:8
	s_waitcnt lgkmcnt(1)
	v_add_u32_e32 v17, v5, v4
	s_waitcnt lgkmcnt(0)
	v_add3_u32 v2, v17, v1, v2
	s_nop 1
	v_mov_b32_dpp v17, v2 row_shr:1 row_mask:0xf bank_mask:0xf
	v_cndmask_b32_e64 v17, v17, 0, s[8:9]
	v_add_u32_e32 v2, v17, v2
	s_nop 1
	v_mov_b32_dpp v17, v2 row_shr:2 row_mask:0xf bank_mask:0xf
	v_cndmask_b32_e64 v17, 0, v17, s[10:11]
	v_add_u32_e32 v2, v2, v17
	s_nop 1
	v_mov_b32_dpp v17, v2 row_shr:4 row_mask:0xf bank_mask:0xf
	v_cndmask_b32_e64 v17, 0, v17, s[12:13]
	v_add_u32_e32 v2, v2, v17
	s_nop 1
	v_mov_b32_dpp v17, v2 row_shr:8 row_mask:0xf bank_mask:0xf
	v_cndmask_b32_e64 v17, 0, v17, s[14:15]
	v_add_u32_e32 v2, v2, v17
	s_nop 1
	v_mov_b32_dpp v17, v2 row_bcast:15 row_mask:0xf bank_mask:0xf
	v_cndmask_b32_e64 v17, v17, 0, s[16:17]
	v_add_u32_e32 v2, v2, v17
	s_nop 1
	v_mov_b32_dpp v17, v2 row_bcast:31 row_mask:0xf bank_mask:0xf
	v_cndmask_b32_e64 v17, 0, v17, s[4:5]
	v_add_u32_e32 v2, v2, v17
	s_and_saveexec_b64 s[26:27], s[24:25]
; %bb.5:                                ;   in Loop: Header=BB81_2 Depth=1
	ds_write_b32 v7, v2
; %bb.6:                                ;   in Loop: Header=BB81_2 Depth=1
	s_or_b64 exec, exec, s[26:27]
	s_waitcnt lgkmcnt(0)
	s_barrier
	s_and_saveexec_b64 s[26:27], vcc
	s_cbranch_execz .LBB81_8
; %bb.7:                                ;   in Loop: Header=BB81_2 Depth=1
	ds_read_b32 v17, v8
	s_waitcnt lgkmcnt(0)
	s_nop 0
	v_mov_b32_dpp v18, v17 row_shr:1 row_mask:0xf bank_mask:0xf
	v_cndmask_b32_e64 v18, v18, 0, s[18:19]
	v_add_u32_e32 v17, v18, v17
	s_nop 1
	v_mov_b32_dpp v18, v17 row_shr:2 row_mask:0xf bank_mask:0xf
	v_cndmask_b32_e64 v18, 0, v18, s[20:21]
	v_add_u32_e32 v17, v17, v18
	;; [unrolled: 4-line block ×3, first 2 shown]
	ds_write_b32 v8, v17
.LBB81_8:                               ;   in Loop: Header=BB81_2 Depth=1
	s_or_b64 exec, exec, s[26:27]
	v_mov_b32_e32 v17, 0
	s_waitcnt lgkmcnt(0)
	s_barrier
	s_and_saveexec_b64 s[26:27], s[0:1]
	s_cbranch_execz .LBB81_1
; %bb.9:                                ;   in Loop: Header=BB81_2 Depth=1
	ds_read_b32 v17, v9
	s_branch .LBB81_1
.LBB81_10:
	s_add_u32 s0, s30, s33
	s_waitcnt lgkmcnt(0)
	v_add_u16_e32 v1, v13, v14
	s_addc_u32 s1, s31, 0
	v_add_u16_e32 v2, 0xff80, v1
	v_mov_b32_e32 v1, s1
	v_add_co_u32_e32 v0, vcc, s0, v0
	v_addc_co_u32_e32 v1, vcc, 0, v1, vcc
	global_store_byte v[0:1], v2, off
	s_endpgm
	.section	.rodata,"a",@progbits
	.p2align	6, 0x0
	.amdhsa_kernel _Z17sort_pairs_kernelI22helper_blocked_blockedaLj320ELj1ELj10EEvPKT0_PS1_
		.amdhsa_group_segment_fixed_size 5152
		.amdhsa_private_segment_fixed_size 0
		.amdhsa_kernarg_size 272
		.amdhsa_user_sgpr_count 6
		.amdhsa_user_sgpr_private_segment_buffer 1
		.amdhsa_user_sgpr_dispatch_ptr 0
		.amdhsa_user_sgpr_queue_ptr 0
		.amdhsa_user_sgpr_kernarg_segment_ptr 1
		.amdhsa_user_sgpr_dispatch_id 0
		.amdhsa_user_sgpr_flat_scratch_init 0
		.amdhsa_user_sgpr_private_segment_size 0
		.amdhsa_uses_dynamic_stack 0
		.amdhsa_system_sgpr_private_segment_wavefront_offset 0
		.amdhsa_system_sgpr_workgroup_id_x 1
		.amdhsa_system_sgpr_workgroup_id_y 0
		.amdhsa_system_sgpr_workgroup_id_z 0
		.amdhsa_system_sgpr_workgroup_info 0
		.amdhsa_system_vgpr_workitem_id 2
		.amdhsa_next_free_vgpr 19
		.amdhsa_next_free_sgpr 35
		.amdhsa_reserve_vcc 1
		.amdhsa_reserve_flat_scratch 0
		.amdhsa_float_round_mode_32 0
		.amdhsa_float_round_mode_16_64 0
		.amdhsa_float_denorm_mode_32 3
		.amdhsa_float_denorm_mode_16_64 3
		.amdhsa_dx10_clamp 1
		.amdhsa_ieee_mode 1
		.amdhsa_fp16_overflow 0
		.amdhsa_exception_fp_ieee_invalid_op 0
		.amdhsa_exception_fp_denorm_src 0
		.amdhsa_exception_fp_ieee_div_zero 0
		.amdhsa_exception_fp_ieee_overflow 0
		.amdhsa_exception_fp_ieee_underflow 0
		.amdhsa_exception_fp_ieee_inexact 0
		.amdhsa_exception_int_div_zero 0
	.end_amdhsa_kernel
	.section	.text._Z17sort_pairs_kernelI22helper_blocked_blockedaLj320ELj1ELj10EEvPKT0_PS1_,"axG",@progbits,_Z17sort_pairs_kernelI22helper_blocked_blockedaLj320ELj1ELj10EEvPKT0_PS1_,comdat
.Lfunc_end81:
	.size	_Z17sort_pairs_kernelI22helper_blocked_blockedaLj320ELj1ELj10EEvPKT0_PS1_, .Lfunc_end81-_Z17sort_pairs_kernelI22helper_blocked_blockedaLj320ELj1ELj10EEvPKT0_PS1_
                                        ; -- End function
	.set _Z17sort_pairs_kernelI22helper_blocked_blockedaLj320ELj1ELj10EEvPKT0_PS1_.num_vgpr, 19
	.set _Z17sort_pairs_kernelI22helper_blocked_blockedaLj320ELj1ELj10EEvPKT0_PS1_.num_agpr, 0
	.set _Z17sort_pairs_kernelI22helper_blocked_blockedaLj320ELj1ELj10EEvPKT0_PS1_.numbered_sgpr, 35
	.set _Z17sort_pairs_kernelI22helper_blocked_blockedaLj320ELj1ELj10EEvPKT0_PS1_.num_named_barrier, 0
	.set _Z17sort_pairs_kernelI22helper_blocked_blockedaLj320ELj1ELj10EEvPKT0_PS1_.private_seg_size, 0
	.set _Z17sort_pairs_kernelI22helper_blocked_blockedaLj320ELj1ELj10EEvPKT0_PS1_.uses_vcc, 1
	.set _Z17sort_pairs_kernelI22helper_blocked_blockedaLj320ELj1ELj10EEvPKT0_PS1_.uses_flat_scratch, 0
	.set _Z17sort_pairs_kernelI22helper_blocked_blockedaLj320ELj1ELj10EEvPKT0_PS1_.has_dyn_sized_stack, 0
	.set _Z17sort_pairs_kernelI22helper_blocked_blockedaLj320ELj1ELj10EEvPKT0_PS1_.has_recursion, 0
	.set _Z17sort_pairs_kernelI22helper_blocked_blockedaLj320ELj1ELj10EEvPKT0_PS1_.has_indirect_call, 0
	.section	.AMDGPU.csdata,"",@progbits
; Kernel info:
; codeLenInByte = 1280
; TotalNumSgprs: 39
; NumVgprs: 19
; ScratchSize: 0
; MemoryBound: 0
; FloatMode: 240
; IeeeMode: 1
; LDSByteSize: 5152 bytes/workgroup (compile time only)
; SGPRBlocks: 4
; VGPRBlocks: 4
; NumSGPRsForWavesPerEU: 39
; NumVGPRsForWavesPerEU: 19
; Occupancy: 10
; WaveLimiterHint : 0
; COMPUTE_PGM_RSRC2:SCRATCH_EN: 0
; COMPUTE_PGM_RSRC2:USER_SGPR: 6
; COMPUTE_PGM_RSRC2:TRAP_HANDLER: 0
; COMPUTE_PGM_RSRC2:TGID_X_EN: 1
; COMPUTE_PGM_RSRC2:TGID_Y_EN: 0
; COMPUTE_PGM_RSRC2:TGID_Z_EN: 0
; COMPUTE_PGM_RSRC2:TIDIG_COMP_CNT: 2
	.section	.text._Z16sort_keys_kernelI22helper_blocked_blockedaLj320ELj3ELj10EEvPKT0_PS1_,"axG",@progbits,_Z16sort_keys_kernelI22helper_blocked_blockedaLj320ELj3ELj10EEvPKT0_PS1_,comdat
	.protected	_Z16sort_keys_kernelI22helper_blocked_blockedaLj320ELj3ELj10EEvPKT0_PS1_ ; -- Begin function _Z16sort_keys_kernelI22helper_blocked_blockedaLj320ELj3ELj10EEvPKT0_PS1_
	.globl	_Z16sort_keys_kernelI22helper_blocked_blockedaLj320ELj3ELj10EEvPKT0_PS1_
	.p2align	8
	.type	_Z16sort_keys_kernelI22helper_blocked_blockedaLj320ELj3ELj10EEvPKT0_PS1_,@function
_Z16sort_keys_kernelI22helper_blocked_blockedaLj320ELj3ELj10EEvPKT0_PS1_: ; @_Z16sort_keys_kernelI22helper_blocked_blockedaLj320ELj3ELj10EEvPKT0_PS1_
; %bb.0:
	s_load_dwordx4 s[28:31], s[4:5], 0x0
	s_load_dword s2, s[4:5], 0x1c
	s_mul_i32 s33, s6, 0x3c0
	v_mbcnt_lo_u32_b32 v6, -1, 0
	v_mbcnt_hi_u32_b32 v12, -1, v6
	s_waitcnt lgkmcnt(0)
	s_add_u32 s0, s28, s33
	s_addc_u32 s1, s29, 0
	global_load_ubyte v13, v0, s[0:1] offset:640
	global_load_ubyte v5, v0, s[0:1] offset:320
	global_load_ubyte v4, v0, s[0:1]
	s_lshr_b32 s0, s2, 16
	s_and_b32 s1, s2, 0xffff
	v_mad_u32_u24 v1, v2, s0, v1
	v_mad_u64_u32 v[1:2], s[0:1], v1, s1, v[0:1]
	v_and_b32_e32 v8, 64, v12
	v_lshrrev_b32_e32 v10, 6, v0
	v_lshrrev_b32_e32 v1, 4, v1
	v_and_b32_e32 v7, 0xffffffc, v1
	v_and_b32_e32 v1, 15, v12
	v_cmp_eq_u32_e32 vcc, 0, v1
	v_cmp_lt_u32_e64 s[0:1], 1, v1
	v_cmp_lt_u32_e64 s[2:3], 3, v1
	;; [unrolled: 1-line block ×3, first 2 shown]
	v_and_b32_e32 v1, 16, v12
	v_cmp_eq_u32_e64 s[6:7], 0, v1
	v_and_b32_e32 v1, 0x1c0, v0
	v_min_u32_e32 v1, 0x100, v1
	v_or_b32_e32 v1, 63, v1
	v_cmp_eq_u32_e64 s[10:11], v0, v1
	v_subrev_co_u32_e64 v1, s[16:17], 1, v12
	v_cmp_lt_i32_e64 s[18:19], v1, v8
	v_cndmask_b32_e64 v1, v1, v12, s[18:19]
	v_mul_u32_u24_e32 v2, 0xc0, v10
	v_mul_u32_u24_e32 v11, 3, v12
	v_lshlrev_b32_e32 v6, 4, v0
	v_lshlrev_b32_e32 v8, 2, v1
	v_and_b32_e32 v1, 7, v12
	v_mov_b32_e32 v3, 0
	v_cmp_lt_u32_e64 s[8:9], 31, v12
	v_cmp_gt_u32_e64 s[12:13], 5, v0
	v_cmp_lt_u32_e64 s[14:15], 63, v0
	v_cmp_eq_u32_e64 s[18:19], 0, v0
	v_mad_i32_i24 v9, v0, -13, v6
	v_lshlrev_b32_e32 v10, 2, v10
	v_cmp_eq_u32_e64 s[20:21], 0, v1
	v_cmp_lt_u32_e64 s[22:23], 1, v1
	v_cmp_lt_u32_e64 s[24:25], 3, v1
	s_mov_b32 s34, 10
	v_add_u32_e32 v11, v11, v2
	v_add_u32_e32 v12, v12, v2
	s_branch .LBB82_2
.LBB82_1:                               ;   in Loop: Header=BB82_2 Depth=1
	s_or_b64 exec, exec, s[26:27]
	s_waitcnt lgkmcnt(0)
	v_add_u32_e32 v2, v24, v2
	ds_bpermute_b32 v2, v8, v2
	s_add_i32 s34, s34, -1
	s_cmp_eq_u32 s34, 0
	s_waitcnt lgkmcnt(0)
	v_cndmask_b32_e64 v2, v2, v24, s[16:17]
	v_cndmask_b32_e64 v2, v2, 0, s[18:19]
	v_add_u32_e32 v4, v2, v4
	v_add_u32_e32 v5, v4, v5
	;; [unrolled: 1-line block ×3, first 2 shown]
	ds_write2_b32 v6, v2, v4 offset0:5 offset1:6
	ds_write2_b32 v6, v5, v1 offset0:7 offset1:8
	s_waitcnt lgkmcnt(0)
	s_barrier
	ds_read_b32 v1, v17 offset:20
	ds_read_b32 v2, v20 offset:20
	;; [unrolled: 1-line block ×3, first 2 shown]
	s_waitcnt lgkmcnt(0)
	s_barrier
	v_add_u32_e32 v1, v1, v16
	ds_write_b8 v1, v15
	v_add3_u32 v1, v19, v18, v2
	ds_write_b8 v1, v14
	v_add3_u32 v1, v22, v21, v4
	ds_write_b8 v1, v13
	s_waitcnt lgkmcnt(0)
	s_barrier
	ds_read_u8 v1, v9
	ds_read_u16 v2, v9 offset:1
	s_waitcnt lgkmcnt(1)
	v_xor_b32_e32 v4, 0xffffff80, v1
	s_waitcnt lgkmcnt(0)
	v_and_b32_e32 v1, 0xffffff00, v2
	v_xor_b32_e32 v1, 0xffff8000, v1
	v_xor_b32_e32 v2, 0x80, v2
	v_or_b32_sdwa v5, v2, v1 dst_sel:DWORD dst_unused:UNUSED_PAD src0_sel:BYTE_0 src1_sel:DWORD
	v_lshrrev_b16_e32 v13, 8, v1
	s_cbranch_scc1 .LBB82_14
.LBB82_2:                               ; =>This Inner Loop Header: Depth=1
	s_waitcnt vmcnt(0)
	v_xor_b32_e32 v1, 0x80, v4
	v_xor_b32_e32 v2, 0x80, v5
	;; [unrolled: 1-line block ×3, first 2 shown]
	ds_write_b8 v11, v1
	ds_write_b8 v11, v2 offset:1
	ds_write_b8 v11, v4 offset:2
	; wave barrier
	ds_read_u8 v15, v12
	ds_read_u8 v14, v12 offset:64
	ds_read_u8 v13, v12 offset:128
	v_mov_b32_e32 v1, 20
	s_waitcnt lgkmcnt(2)
	v_mul_u32_u24_sdwa v5, v15, v1 dst_sel:DWORD dst_unused:UNUSED_PAD src0_sel:BYTE_0 src1_sel:DWORD
	v_and_b32_e32 v1, 1, v15
	v_add_co_u32_e64 v2, s[26:27], -1, v1
	v_addc_co_u32_e64 v4, s[26:27], 0, -1, s[26:27]
	v_cmp_ne_u32_e64 s[26:27], 0, v1
	v_xor_b32_e32 v1, s27, v4
	v_lshlrev_b32_e32 v4, 30, v15
	v_xor_b32_e32 v2, s26, v2
	v_cmp_gt_i64_e64 s[26:27], 0, v[3:4]
	v_not_b32_e32 v4, v4
	v_ashrrev_i32_e32 v4, 31, v4
	v_and_b32_e32 v2, exec_lo, v2
	v_xor_b32_e32 v16, s27, v4
	v_xor_b32_e32 v4, s26, v4
	v_and_b32_e32 v2, v2, v4
	v_lshlrev_b32_e32 v4, 29, v15
	v_cmp_gt_i64_e64 s[26:27], 0, v[3:4]
	v_not_b32_e32 v4, v4
	v_and_b32_e32 v1, exec_hi, v1
	v_ashrrev_i32_e32 v4, 31, v4
	v_and_b32_e32 v1, v1, v16
	v_xor_b32_e32 v16, s27, v4
	v_xor_b32_e32 v4, s26, v4
	v_and_b32_e32 v2, v2, v4
	v_lshlrev_b32_e32 v4, 28, v15
	v_cmp_gt_i64_e64 s[26:27], 0, v[3:4]
	v_not_b32_e32 v4, v4
	v_ashrrev_i32_e32 v4, 31, v4
	v_and_b32_e32 v1, v1, v16
	v_xor_b32_e32 v16, s27, v4
	v_xor_b32_e32 v4, s26, v4
	v_and_b32_e32 v2, v2, v4
	v_lshlrev_b32_e32 v4, 27, v15
	v_cmp_gt_i64_e64 s[26:27], 0, v[3:4]
	v_not_b32_e32 v4, v4
	;; [unrolled: 8-line block ×4, first 2 shown]
	v_ashrrev_i32_e32 v4, 31, v4
	v_and_b32_e32 v1, v1, v16
	v_xor_b32_e32 v16, s27, v4
	v_xor_b32_e32 v4, s26, v4
	v_and_b32_e32 v1, v1, v16
	v_and_b32_e32 v16, v2, v4
	v_lshlrev_b32_e32 v4, 24, v15
	v_cmp_gt_i64_e64 s[26:27], 0, v[3:4]
	v_not_b32_e32 v2, v4
	v_ashrrev_i32_e32 v2, 31, v2
	v_xor_b32_e32 v4, s27, v2
	v_xor_b32_e32 v17, s26, v2
	v_and_b32_e32 v2, v1, v4
	v_and_b32_e32 v1, v16, v17
	v_mbcnt_lo_u32_b32 v4, v1, 0
	v_mbcnt_hi_u32_b32 v16, v2, v4
	v_cmp_ne_u64_e64 s[26:27], 0, v[1:2]
	v_cmp_eq_u32_e64 s[28:29], 0, v16
	s_and_b64 s[28:29], s[26:27], s[28:29]
	v_add_u32_e32 v17, v7, v5
	; wave barrier
	; wave barrier
	s_waitcnt lgkmcnt(0)
	s_barrier
	ds_write2_b32 v6, v3, v3 offset0:5 offset1:6
	ds_write2_b32 v6, v3, v3 offset0:7 offset1:8
	s_waitcnt lgkmcnt(0)
	s_barrier
	; wave barrier
	s_and_saveexec_b64 s[26:27], s[28:29]
; %bb.3:                                ;   in Loop: Header=BB82_2 Depth=1
	v_bcnt_u32_b32 v1, v1, 0
	v_bcnt_u32_b32 v1, v2, v1
	ds_write_b32 v17, v1 offset:20
; %bb.4:                                ;   in Loop: Header=BB82_2 Depth=1
	s_or_b64 exec, exec, s[26:27]
	v_and_b32_e32 v1, 0xff, v14
	v_mul_u32_u24_e32 v5, 20, v1
	v_mad_u32_u24 v1, v1, 20, v7
	; wave barrier
	ds_read_b32 v18, v1 offset:20
	v_and_b32_e32 v1, 1, v14
	v_add_co_u32_e64 v2, s[26:27], -1, v1
	v_addc_co_u32_e64 v4, s[26:27], 0, -1, s[26:27]
	v_cmp_ne_u32_e64 s[26:27], 0, v1
	v_xor_b32_e32 v1, s27, v4
	v_lshlrev_b32_e32 v4, 30, v14
	v_xor_b32_e32 v2, s26, v2
	v_cmp_gt_i64_e64 s[26:27], 0, v[3:4]
	v_not_b32_e32 v4, v4
	v_ashrrev_i32_e32 v4, 31, v4
	v_and_b32_e32 v2, exec_lo, v2
	v_xor_b32_e32 v19, s27, v4
	v_xor_b32_e32 v4, s26, v4
	v_and_b32_e32 v2, v2, v4
	v_lshlrev_b32_e32 v4, 29, v14
	v_cmp_gt_i64_e64 s[26:27], 0, v[3:4]
	v_not_b32_e32 v4, v4
	v_and_b32_e32 v1, exec_hi, v1
	v_ashrrev_i32_e32 v4, 31, v4
	v_and_b32_e32 v1, v1, v19
	v_xor_b32_e32 v19, s27, v4
	v_xor_b32_e32 v4, s26, v4
	v_and_b32_e32 v2, v2, v4
	v_lshlrev_b32_e32 v4, 28, v14
	v_cmp_gt_i64_e64 s[26:27], 0, v[3:4]
	v_not_b32_e32 v4, v4
	v_ashrrev_i32_e32 v4, 31, v4
	v_and_b32_e32 v1, v1, v19
	v_xor_b32_e32 v19, s27, v4
	v_xor_b32_e32 v4, s26, v4
	v_and_b32_e32 v2, v2, v4
	v_lshlrev_b32_e32 v4, 27, v14
	v_cmp_gt_i64_e64 s[26:27], 0, v[3:4]
	v_not_b32_e32 v4, v4
	;; [unrolled: 8-line block ×4, first 2 shown]
	v_ashrrev_i32_e32 v4, 31, v4
	v_and_b32_e32 v1, v1, v19
	v_xor_b32_e32 v19, s27, v4
	v_xor_b32_e32 v4, s26, v4
	v_and_b32_e32 v1, v1, v19
	v_and_b32_e32 v19, v2, v4
	v_lshlrev_b32_e32 v4, 24, v14
	v_cmp_gt_i64_e64 s[26:27], 0, v[3:4]
	v_not_b32_e32 v2, v4
	v_ashrrev_i32_e32 v2, 31, v2
	v_xor_b32_e32 v4, s27, v2
	v_xor_b32_e32 v20, s26, v2
	v_and_b32_e32 v2, v1, v4
	v_and_b32_e32 v1, v19, v20
	v_mbcnt_lo_u32_b32 v4, v1, 0
	v_mbcnt_hi_u32_b32 v19, v2, v4
	v_cmp_ne_u64_e64 s[26:27], 0, v[1:2]
	v_cmp_eq_u32_e64 s[28:29], 0, v19
	s_and_b64 s[28:29], s[26:27], s[28:29]
	v_add_u32_e32 v20, v7, v5
	; wave barrier
	s_and_saveexec_b64 s[26:27], s[28:29]
	s_cbranch_execz .LBB82_6
; %bb.5:                                ;   in Loop: Header=BB82_2 Depth=1
	v_bcnt_u32_b32 v1, v1, 0
	v_bcnt_u32_b32 v1, v2, v1
	s_waitcnt lgkmcnt(0)
	v_add_u32_e32 v1, v18, v1
	ds_write_b32 v20, v1 offset:20
.LBB82_6:                               ;   in Loop: Header=BB82_2 Depth=1
	s_or_b64 exec, exec, s[26:27]
	v_and_b32_e32 v1, 0xff, v13
	v_mul_u32_u24_e32 v5, 20, v1
	v_mad_u32_u24 v1, v1, 20, v7
	; wave barrier
	ds_read_b32 v21, v1 offset:20
	v_and_b32_e32 v1, 1, v13
	v_add_co_u32_e64 v2, s[26:27], -1, v1
	v_addc_co_u32_e64 v4, s[26:27], 0, -1, s[26:27]
	v_cmp_ne_u32_e64 s[26:27], 0, v1
	v_xor_b32_e32 v1, s27, v4
	v_lshlrev_b32_e32 v4, 30, v13
	v_xor_b32_e32 v2, s26, v2
	v_cmp_gt_i64_e64 s[26:27], 0, v[3:4]
	v_not_b32_e32 v4, v4
	v_ashrrev_i32_e32 v4, 31, v4
	v_and_b32_e32 v2, exec_lo, v2
	v_xor_b32_e32 v22, s27, v4
	v_xor_b32_e32 v4, s26, v4
	v_and_b32_e32 v2, v2, v4
	v_lshlrev_b32_e32 v4, 29, v13
	v_cmp_gt_i64_e64 s[26:27], 0, v[3:4]
	v_not_b32_e32 v4, v4
	v_and_b32_e32 v1, exec_hi, v1
	v_ashrrev_i32_e32 v4, 31, v4
	v_and_b32_e32 v1, v1, v22
	v_xor_b32_e32 v22, s27, v4
	v_xor_b32_e32 v4, s26, v4
	v_and_b32_e32 v2, v2, v4
	v_lshlrev_b32_e32 v4, 28, v13
	v_cmp_gt_i64_e64 s[26:27], 0, v[3:4]
	v_not_b32_e32 v4, v4
	v_ashrrev_i32_e32 v4, 31, v4
	v_and_b32_e32 v1, v1, v22
	v_xor_b32_e32 v22, s27, v4
	v_xor_b32_e32 v4, s26, v4
	v_and_b32_e32 v2, v2, v4
	v_lshlrev_b32_e32 v4, 27, v13
	v_cmp_gt_i64_e64 s[26:27], 0, v[3:4]
	v_not_b32_e32 v4, v4
	;; [unrolled: 8-line block ×4, first 2 shown]
	v_ashrrev_i32_e32 v4, 31, v4
	v_and_b32_e32 v1, v1, v22
	v_xor_b32_e32 v22, s27, v4
	v_xor_b32_e32 v4, s26, v4
	v_and_b32_e32 v1, v1, v22
	v_and_b32_e32 v22, v2, v4
	v_lshlrev_b32_e32 v4, 24, v13
	v_cmp_gt_i64_e64 s[26:27], 0, v[3:4]
	v_not_b32_e32 v2, v4
	v_ashrrev_i32_e32 v2, 31, v2
	v_xor_b32_e32 v4, s27, v2
	v_xor_b32_e32 v23, s26, v2
	v_and_b32_e32 v2, v1, v4
	v_and_b32_e32 v1, v22, v23
	v_mbcnt_lo_u32_b32 v4, v1, 0
	v_mbcnt_hi_u32_b32 v22, v2, v4
	v_cmp_ne_u64_e64 s[26:27], 0, v[1:2]
	v_cmp_eq_u32_e64 s[28:29], 0, v22
	s_and_b64 s[28:29], s[26:27], s[28:29]
	v_add_u32_e32 v23, v7, v5
	; wave barrier
	s_and_saveexec_b64 s[26:27], s[28:29]
	s_cbranch_execz .LBB82_8
; %bb.7:                                ;   in Loop: Header=BB82_2 Depth=1
	v_bcnt_u32_b32 v1, v1, 0
	v_bcnt_u32_b32 v1, v2, v1
	s_waitcnt lgkmcnt(0)
	v_add_u32_e32 v1, v21, v1
	ds_write_b32 v23, v1 offset:20
.LBB82_8:                               ;   in Loop: Header=BB82_2 Depth=1
	s_or_b64 exec, exec, s[26:27]
	; wave barrier
	s_waitcnt lgkmcnt(0)
	s_barrier
	ds_read2_b32 v[4:5], v6 offset0:5 offset1:6
	ds_read2_b32 v[1:2], v6 offset0:7 offset1:8
	s_waitcnt lgkmcnt(1)
	v_add_u32_e32 v24, v5, v4
	s_waitcnt lgkmcnt(0)
	v_add3_u32 v2, v24, v1, v2
	s_nop 1
	v_mov_b32_dpp v24, v2 row_shr:1 row_mask:0xf bank_mask:0xf
	v_cndmask_b32_e64 v24, v24, 0, vcc
	v_add_u32_e32 v2, v24, v2
	s_nop 1
	v_mov_b32_dpp v24, v2 row_shr:2 row_mask:0xf bank_mask:0xf
	v_cndmask_b32_e64 v24, 0, v24, s[0:1]
	v_add_u32_e32 v2, v2, v24
	s_nop 1
	v_mov_b32_dpp v24, v2 row_shr:4 row_mask:0xf bank_mask:0xf
	v_cndmask_b32_e64 v24, 0, v24, s[2:3]
	;; [unrolled: 4-line block ×3, first 2 shown]
	v_add_u32_e32 v2, v2, v24
	s_nop 1
	v_mov_b32_dpp v24, v2 row_bcast:15 row_mask:0xf bank_mask:0xf
	v_cndmask_b32_e64 v24, v24, 0, s[6:7]
	v_add_u32_e32 v2, v2, v24
	s_nop 1
	v_mov_b32_dpp v24, v2 row_bcast:31 row_mask:0xf bank_mask:0xf
	v_cndmask_b32_e64 v24, 0, v24, s[8:9]
	v_add_u32_e32 v2, v2, v24
	s_and_saveexec_b64 s[26:27], s[10:11]
; %bb.9:                                ;   in Loop: Header=BB82_2 Depth=1
	ds_write_b32 v10, v2
; %bb.10:                               ;   in Loop: Header=BB82_2 Depth=1
	s_or_b64 exec, exec, s[26:27]
	s_waitcnt lgkmcnt(0)
	s_barrier
	s_and_saveexec_b64 s[26:27], s[12:13]
	s_cbranch_execz .LBB82_12
; %bb.11:                               ;   in Loop: Header=BB82_2 Depth=1
	v_add_u32_e32 v24, v9, v0
	ds_read_b32 v25, v24
	s_waitcnt lgkmcnt(0)
	s_nop 0
	v_mov_b32_dpp v26, v25 row_shr:1 row_mask:0xf bank_mask:0xf
	v_cndmask_b32_e64 v26, v26, 0, s[20:21]
	v_add_u32_e32 v25, v26, v25
	s_nop 1
	v_mov_b32_dpp v26, v25 row_shr:2 row_mask:0xf bank_mask:0xf
	v_cndmask_b32_e64 v26, 0, v26, s[22:23]
	v_add_u32_e32 v25, v25, v26
	;; [unrolled: 4-line block ×3, first 2 shown]
	ds_write_b32 v24, v25
.LBB82_12:                              ;   in Loop: Header=BB82_2 Depth=1
	s_or_b64 exec, exec, s[26:27]
	v_mov_b32_e32 v24, 0
	s_waitcnt lgkmcnt(0)
	s_barrier
	s_and_saveexec_b64 s[26:27], s[14:15]
	s_cbranch_execz .LBB82_1
; %bb.13:                               ;   in Loop: Header=BB82_2 Depth=1
	v_add_u32_e32 v24, -4, v10
	ds_read_b32 v24, v24
	s_branch .LBB82_1
.LBB82_14:
	s_add_u32 s0, s30, s33
	s_addc_u32 s1, s31, 0
	v_mov_b32_e32 v1, s1
	v_add_co_u32_e32 v0, vcc, s0, v0
	v_and_b32_e32 v2, 0xffff, v5
	v_addc_co_u32_e32 v1, vcc, 0, v1, vcc
	global_store_byte v[0:1], v4, off
	global_store_byte v[0:1], v2, off offset:320
	v_lshrrev_b16_e32 v2, 8, v2
	global_store_byte v[0:1], v2, off offset:640
	s_endpgm
	.section	.rodata,"a",@progbits
	.p2align	6, 0x0
	.amdhsa_kernel _Z16sort_keys_kernelI22helper_blocked_blockedaLj320ELj3ELj10EEvPKT0_PS1_
		.amdhsa_group_segment_fixed_size 5152
		.amdhsa_private_segment_fixed_size 0
		.amdhsa_kernarg_size 272
		.amdhsa_user_sgpr_count 6
		.amdhsa_user_sgpr_private_segment_buffer 1
		.amdhsa_user_sgpr_dispatch_ptr 0
		.amdhsa_user_sgpr_queue_ptr 0
		.amdhsa_user_sgpr_kernarg_segment_ptr 1
		.amdhsa_user_sgpr_dispatch_id 0
		.amdhsa_user_sgpr_flat_scratch_init 0
		.amdhsa_user_sgpr_private_segment_size 0
		.amdhsa_uses_dynamic_stack 0
		.amdhsa_system_sgpr_private_segment_wavefront_offset 0
		.amdhsa_system_sgpr_workgroup_id_x 1
		.amdhsa_system_sgpr_workgroup_id_y 0
		.amdhsa_system_sgpr_workgroup_id_z 0
		.amdhsa_system_sgpr_workgroup_info 0
		.amdhsa_system_vgpr_workitem_id 2
		.amdhsa_next_free_vgpr 27
		.amdhsa_next_free_sgpr 35
		.amdhsa_reserve_vcc 1
		.amdhsa_reserve_flat_scratch 0
		.amdhsa_float_round_mode_32 0
		.amdhsa_float_round_mode_16_64 0
		.amdhsa_float_denorm_mode_32 3
		.amdhsa_float_denorm_mode_16_64 3
		.amdhsa_dx10_clamp 1
		.amdhsa_ieee_mode 1
		.amdhsa_fp16_overflow 0
		.amdhsa_exception_fp_ieee_invalid_op 0
		.amdhsa_exception_fp_denorm_src 0
		.amdhsa_exception_fp_ieee_div_zero 0
		.amdhsa_exception_fp_ieee_overflow 0
		.amdhsa_exception_fp_ieee_underflow 0
		.amdhsa_exception_fp_ieee_inexact 0
		.amdhsa_exception_int_div_zero 0
	.end_amdhsa_kernel
	.section	.text._Z16sort_keys_kernelI22helper_blocked_blockedaLj320ELj3ELj10EEvPKT0_PS1_,"axG",@progbits,_Z16sort_keys_kernelI22helper_blocked_blockedaLj320ELj3ELj10EEvPKT0_PS1_,comdat
.Lfunc_end82:
	.size	_Z16sort_keys_kernelI22helper_blocked_blockedaLj320ELj3ELj10EEvPKT0_PS1_, .Lfunc_end82-_Z16sort_keys_kernelI22helper_blocked_blockedaLj320ELj3ELj10EEvPKT0_PS1_
                                        ; -- End function
	.set _Z16sort_keys_kernelI22helper_blocked_blockedaLj320ELj3ELj10EEvPKT0_PS1_.num_vgpr, 27
	.set _Z16sort_keys_kernelI22helper_blocked_blockedaLj320ELj3ELj10EEvPKT0_PS1_.num_agpr, 0
	.set _Z16sort_keys_kernelI22helper_blocked_blockedaLj320ELj3ELj10EEvPKT0_PS1_.numbered_sgpr, 35
	.set _Z16sort_keys_kernelI22helper_blocked_blockedaLj320ELj3ELj10EEvPKT0_PS1_.num_named_barrier, 0
	.set _Z16sort_keys_kernelI22helper_blocked_blockedaLj320ELj3ELj10EEvPKT0_PS1_.private_seg_size, 0
	.set _Z16sort_keys_kernelI22helper_blocked_blockedaLj320ELj3ELj10EEvPKT0_PS1_.uses_vcc, 1
	.set _Z16sort_keys_kernelI22helper_blocked_blockedaLj320ELj3ELj10EEvPKT0_PS1_.uses_flat_scratch, 0
	.set _Z16sort_keys_kernelI22helper_blocked_blockedaLj320ELj3ELj10EEvPKT0_PS1_.has_dyn_sized_stack, 0
	.set _Z16sort_keys_kernelI22helper_blocked_blockedaLj320ELj3ELj10EEvPKT0_PS1_.has_recursion, 0
	.set _Z16sort_keys_kernelI22helper_blocked_blockedaLj320ELj3ELj10EEvPKT0_PS1_.has_indirect_call, 0
	.section	.AMDGPU.csdata,"",@progbits
; Kernel info:
; codeLenInByte = 2296
; TotalNumSgprs: 39
; NumVgprs: 27
; ScratchSize: 0
; MemoryBound: 0
; FloatMode: 240
; IeeeMode: 1
; LDSByteSize: 5152 bytes/workgroup (compile time only)
; SGPRBlocks: 4
; VGPRBlocks: 6
; NumSGPRsForWavesPerEU: 39
; NumVGPRsForWavesPerEU: 27
; Occupancy: 9
; WaveLimiterHint : 1
; COMPUTE_PGM_RSRC2:SCRATCH_EN: 0
; COMPUTE_PGM_RSRC2:USER_SGPR: 6
; COMPUTE_PGM_RSRC2:TRAP_HANDLER: 0
; COMPUTE_PGM_RSRC2:TGID_X_EN: 1
; COMPUTE_PGM_RSRC2:TGID_Y_EN: 0
; COMPUTE_PGM_RSRC2:TGID_Z_EN: 0
; COMPUTE_PGM_RSRC2:TIDIG_COMP_CNT: 2
	.section	.text._Z17sort_pairs_kernelI22helper_blocked_blockedaLj320ELj3ELj10EEvPKT0_PS1_,"axG",@progbits,_Z17sort_pairs_kernelI22helper_blocked_blockedaLj320ELj3ELj10EEvPKT0_PS1_,comdat
	.protected	_Z17sort_pairs_kernelI22helper_blocked_blockedaLj320ELj3ELj10EEvPKT0_PS1_ ; -- Begin function _Z17sort_pairs_kernelI22helper_blocked_blockedaLj320ELj3ELj10EEvPKT0_PS1_
	.globl	_Z17sort_pairs_kernelI22helper_blocked_blockedaLj320ELj3ELj10EEvPKT0_PS1_
	.p2align	8
	.type	_Z17sort_pairs_kernelI22helper_blocked_blockedaLj320ELj3ELj10EEvPKT0_PS1_,@function
_Z17sort_pairs_kernelI22helper_blocked_blockedaLj320ELj3ELj10EEvPKT0_PS1_: ; @_Z17sort_pairs_kernelI22helper_blocked_blockedaLj320ELj3ELj10EEvPKT0_PS1_
; %bb.0:
	s_load_dwordx4 s[28:31], s[4:5], 0x0
	s_load_dword s24, s[4:5], 0x1c
	s_mul_i32 s33, s6, 0x3c0
	v_mbcnt_lo_u32_b32 v6, -1, 0
	v_mbcnt_hi_u32_b32 v10, -1, v6
	s_waitcnt lgkmcnt(0)
	s_add_u32 s0, s28, s33
	s_addc_u32 s1, s29, 0
	global_load_ubyte v4, v0, s[0:1]
	global_load_ubyte v5, v0, s[0:1] offset:320
	global_load_ubyte v14, v0, s[0:1] offset:640
	s_lshr_b32 s25, s24, 16
	s_and_b32 s24, s24, 0xffff
	v_mad_u32_u24 v1, v2, s25, v1
	v_mad_u64_u32 v[1:2], s[24:25], v1, s24, v[0:1]
	v_and_b32_e32 v7, 0x1c0, v0
	v_and_b32_e32 v12, 15, v10
	;; [unrolled: 1-line block ×3, first 2 shown]
	v_min_u32_e32 v15, 0x100, v7
	v_subrev_co_u32_e64 v16, s[6:7], 1, v10
	v_and_b32_e32 v17, 64, v10
	v_cmp_eq_u32_e64 s[8:9], 0, v12
	v_cmp_lt_u32_e64 s[10:11], 1, v12
	v_cmp_lt_u32_e64 s[12:13], 3, v12
	;; [unrolled: 1-line block ×3, first 2 shown]
	v_and_b32_e32 v12, 7, v10
	v_cmp_eq_u32_e64 s[16:17], 0, v13
	v_or_b32_e32 v13, 63, v15
	v_cmp_lt_i32_e64 s[18:19], v16, v17
	v_lshrrev_b32_e32 v1, 4, v1
	v_cndmask_b32_e64 v15, v16, v10, s[18:19]
	v_cmp_eq_u32_e64 s[18:19], 0, v12
	v_cmp_lt_u32_e64 s[20:21], 1, v12
	v_cmp_lt_u32_e64 s[22:23], 3, v12
	v_cmp_eq_u32_e64 s[24:25], v0, v13
	v_and_b32_e32 v12, 0xffffffc, v1
	v_lshrrev_b32_e32 v8, 6, v0
	v_lshlrev_b32_e32 v6, 4, v0
	v_mul_u32_u24_e32 v11, 0xc0, v8
	v_mul_u32_u24_e32 v9, 3, v10
	v_mov_b32_e32 v3, 0
	s_mov_b32 s34, 10
	s_mov_b32 s35, 0xc0c0104
	v_cmp_gt_u32_e32 vcc, 5, v0
	v_cmp_lt_u32_e64 s[0:1], 63, v0
	v_cmp_eq_u32_e64 s[2:3], 0, v0
	v_cmp_lt_u32_e64 s[4:5], 31, v10
	v_mad_i32_i24 v7, v0, -13, v6
	v_lshlrev_b32_e32 v8, 2, v8
	v_add_u32_e32 v9, v9, v11
	v_add_u32_e32 v10, v10, v11
	v_lshlrev_b32_e32 v11, 2, v15
	s_waitcnt vmcnt(2)
	v_add_u16_e32 v1, 1, v4
	s_waitcnt vmcnt(1)
	v_lshlrev_b16_e32 v2, 8, v5
	s_waitcnt vmcnt(0)
	v_add_u16_e32 v13, 1, v14
	v_or_b32_sdwa v1, v2, v1 dst_sel:DWORD dst_unused:UNUSED_PAD src0_sel:DWORD src1_sel:BYTE_0
	v_and_b32_e32 v2, 0xff, v13
	v_add_u16_e32 v1, 0x100, v1
	v_lshlrev_b32_e32 v2, 16, v2
	v_or_b32_e32 v1, v1, v2
	v_mov_b32_e32 v13, 20
	s_branch .LBB83_2
.LBB83_1:                               ;   in Loop: Header=BB83_2 Depth=1
	s_or_b64 exec, exec, s[26:27]
	s_waitcnt lgkmcnt(0)
	v_add_u32_e32 v2, v28, v2
	ds_bpermute_b32 v2, v11, v2
	s_add_i32 s34, s34, -1
	s_cmp_eq_u32 s34, 0
	s_waitcnt lgkmcnt(0)
	v_cndmask_b32_e64 v2, v2, v28, s[6:7]
	v_cndmask_b32_e64 v2, v2, 0, s[2:3]
	v_add_u32_e32 v4, v2, v4
	v_add_u32_e32 v5, v4, v5
	;; [unrolled: 1-line block ×3, first 2 shown]
	ds_write2_b32 v6, v2, v4 offset0:5 offset1:6
	ds_write2_b32 v6, v5, v1 offset0:7 offset1:8
	s_waitcnt lgkmcnt(0)
	s_barrier
	ds_read_b32 v1, v21 offset:20
	ds_read_b32 v2, v24 offset:20
	;; [unrolled: 1-line block ×3, first 2 shown]
	s_waitcnt lgkmcnt(0)
	s_barrier
	v_add_u32_e32 v1, v1, v20
	v_add3_u32 v2, v23, v22, v2
	v_add3_u32 v4, v26, v25, v4
	ds_write_b8 v1, v16
	ds_write_b8 v2, v15
	;; [unrolled: 1-line block ×3, first 2 shown]
	s_waitcnt lgkmcnt(0)
	s_barrier
	ds_read_u8 v5, v7
	ds_read_u16 v14, v7 offset:1
	s_waitcnt lgkmcnt(0)
	s_barrier
	ds_write_b8 v1, v17
	ds_write_b8 v2, v18
	;; [unrolled: 1-line block ×3, first 2 shown]
	s_waitcnt lgkmcnt(0)
	s_barrier
	ds_read_u16 v2, v7 offset:1
	ds_read_u8 v15, v7
	v_xor_b32_e32 v4, 0xffffff80, v5
	s_waitcnt lgkmcnt(1)
	v_lshlrev_b16_e32 v1, 8, v2
	v_lshrrev_b16_e32 v5, 8, v2
	v_lshlrev_b32_e32 v5, 16, v5
	s_waitcnt lgkmcnt(0)
	v_perm_b32 v1, v15, v1, s35
	v_or_b32_e32 v1, v1, v5
	v_and_b32_e32 v5, 0xffffff00, v14
	v_xor_b32_e32 v16, 0xffff8000, v5
	v_xor_b32_e32 v5, 0x80, v14
	v_or_b32_sdwa v5, v5, v16 dst_sel:DWORD dst_unused:UNUSED_PAD src0_sel:BYTE_0 src1_sel:DWORD
	v_lshrrev_b16_e32 v14, 8, v16
	s_cbranch_scc1 .LBB83_14
.LBB83_2:                               ; =>This Inner Loop Header: Depth=1
	v_xor_b32_e32 v2, 0x80, v4
	v_xor_b32_e32 v4, 0x80, v5
	;; [unrolled: 1-line block ×3, first 2 shown]
	ds_write_b8 v9, v2
	ds_write_b8 v9, v4 offset:1
	ds_write_b8 v9, v5 offset:2
	; wave barrier
	ds_read_u8 v16, v10
	ds_read_u8 v15, v10 offset:64
	ds_read_u8 v14, v10 offset:128
	v_lshrrev_b32_e32 v2, 8, v1
	; wave barrier
	ds_write_b8 v9, v1
	ds_write_b8 v9, v2 offset:1
	ds_write_b8_d16_hi v9, v1 offset:2
	s_waitcnt lgkmcnt(5)
	v_and_b32_e32 v1, 1, v16
	v_add_co_u32_e64 v2, s[26:27], -1, v1
	v_addc_co_u32_e64 v4, s[26:27], 0, -1, s[26:27]
	v_cmp_ne_u32_e64 s[26:27], 0, v1
	v_xor_b32_e32 v1, s27, v4
	v_lshlrev_b32_e32 v4, 30, v16
	v_xor_b32_e32 v2, s26, v2
	v_cmp_gt_i64_e64 s[26:27], 0, v[3:4]
	v_not_b32_e32 v4, v4
	v_ashrrev_i32_e32 v4, 31, v4
	v_and_b32_e32 v2, exec_lo, v2
	v_xor_b32_e32 v20, s27, v4
	v_xor_b32_e32 v4, s26, v4
	v_and_b32_e32 v2, v2, v4
	v_lshlrev_b32_e32 v4, 29, v16
	v_cmp_gt_i64_e64 s[26:27], 0, v[3:4]
	v_not_b32_e32 v4, v4
	v_and_b32_e32 v1, exec_hi, v1
	v_ashrrev_i32_e32 v4, 31, v4
	v_and_b32_e32 v1, v1, v20
	v_xor_b32_e32 v20, s27, v4
	v_xor_b32_e32 v4, s26, v4
	v_and_b32_e32 v2, v2, v4
	v_lshlrev_b32_e32 v4, 28, v16
	v_cmp_gt_i64_e64 s[26:27], 0, v[3:4]
	v_not_b32_e32 v4, v4
	v_ashrrev_i32_e32 v4, 31, v4
	v_and_b32_e32 v1, v1, v20
	v_xor_b32_e32 v20, s27, v4
	v_xor_b32_e32 v4, s26, v4
	v_and_b32_e32 v2, v2, v4
	v_lshlrev_b32_e32 v4, 27, v16
	v_cmp_gt_i64_e64 s[26:27], 0, v[3:4]
	v_not_b32_e32 v4, v4
	;; [unrolled: 8-line block ×4, first 2 shown]
	v_ashrrev_i32_e32 v4, 31, v4
	v_and_b32_e32 v1, v1, v20
	v_xor_b32_e32 v20, s27, v4
	v_xor_b32_e32 v4, s26, v4
	v_and_b32_e32 v1, v1, v20
	v_and_b32_e32 v20, v2, v4
	v_lshlrev_b32_e32 v4, 24, v16
	v_cmp_gt_i64_e64 s[26:27], 0, v[3:4]
	v_not_b32_e32 v2, v4
	v_ashrrev_i32_e32 v2, 31, v2
	; wave barrier
	ds_read_u8 v17, v10
	ds_read_u8 v18, v10 offset:64
	ds_read_u8 v19, v10 offset:128
	v_xor_b32_e32 v4, s27, v2
	v_xor_b32_e32 v21, s26, v2
	v_and_b32_e32 v2, v1, v4
	v_and_b32_e32 v1, v20, v21
	v_mbcnt_lo_u32_b32 v4, v1, 0
	v_mbcnt_hi_u32_b32 v20, v2, v4
	v_cmp_ne_u64_e64 s[26:27], 0, v[1:2]
	v_mul_u32_u24_sdwa v5, v16, v13 dst_sel:DWORD dst_unused:UNUSED_PAD src0_sel:BYTE_0 src1_sel:DWORD
	v_cmp_eq_u32_e64 s[28:29], 0, v20
	s_and_b64 s[28:29], s[26:27], s[28:29]
	v_add_u32_e32 v21, v12, v5
	s_waitcnt lgkmcnt(0)
	s_barrier
	ds_write2_b32 v6, v3, v3 offset0:5 offset1:6
	ds_write2_b32 v6, v3, v3 offset0:7 offset1:8
	s_waitcnt lgkmcnt(0)
	s_barrier
	; wave barrier
	s_and_saveexec_b64 s[26:27], s[28:29]
; %bb.3:                                ;   in Loop: Header=BB83_2 Depth=1
	v_bcnt_u32_b32 v1, v1, 0
	v_bcnt_u32_b32 v1, v2, v1
	ds_write_b32 v21, v1 offset:20
; %bb.4:                                ;   in Loop: Header=BB83_2 Depth=1
	s_or_b64 exec, exec, s[26:27]
	v_and_b32_e32 v1, 0xff, v15
	v_mul_u32_u24_e32 v5, 20, v1
	v_mad_u32_u24 v1, v1, 20, v12
	; wave barrier
	ds_read_b32 v22, v1 offset:20
	v_and_b32_e32 v1, 1, v15
	v_add_co_u32_e64 v2, s[26:27], -1, v1
	v_addc_co_u32_e64 v4, s[26:27], 0, -1, s[26:27]
	v_cmp_ne_u32_e64 s[26:27], 0, v1
	v_xor_b32_e32 v1, s27, v4
	v_lshlrev_b32_e32 v4, 30, v15
	v_xor_b32_e32 v2, s26, v2
	v_cmp_gt_i64_e64 s[26:27], 0, v[3:4]
	v_not_b32_e32 v4, v4
	v_ashrrev_i32_e32 v4, 31, v4
	v_and_b32_e32 v2, exec_lo, v2
	v_xor_b32_e32 v23, s27, v4
	v_xor_b32_e32 v4, s26, v4
	v_and_b32_e32 v2, v2, v4
	v_lshlrev_b32_e32 v4, 29, v15
	v_cmp_gt_i64_e64 s[26:27], 0, v[3:4]
	v_not_b32_e32 v4, v4
	v_and_b32_e32 v1, exec_hi, v1
	v_ashrrev_i32_e32 v4, 31, v4
	v_and_b32_e32 v1, v1, v23
	v_xor_b32_e32 v23, s27, v4
	v_xor_b32_e32 v4, s26, v4
	v_and_b32_e32 v2, v2, v4
	v_lshlrev_b32_e32 v4, 28, v15
	v_cmp_gt_i64_e64 s[26:27], 0, v[3:4]
	v_not_b32_e32 v4, v4
	v_ashrrev_i32_e32 v4, 31, v4
	v_and_b32_e32 v1, v1, v23
	v_xor_b32_e32 v23, s27, v4
	v_xor_b32_e32 v4, s26, v4
	v_and_b32_e32 v2, v2, v4
	v_lshlrev_b32_e32 v4, 27, v15
	v_cmp_gt_i64_e64 s[26:27], 0, v[3:4]
	v_not_b32_e32 v4, v4
	;; [unrolled: 8-line block ×4, first 2 shown]
	v_ashrrev_i32_e32 v4, 31, v4
	v_and_b32_e32 v1, v1, v23
	v_xor_b32_e32 v23, s27, v4
	v_xor_b32_e32 v4, s26, v4
	v_and_b32_e32 v1, v1, v23
	v_and_b32_e32 v23, v2, v4
	v_lshlrev_b32_e32 v4, 24, v15
	v_cmp_gt_i64_e64 s[26:27], 0, v[3:4]
	v_not_b32_e32 v2, v4
	v_ashrrev_i32_e32 v2, 31, v2
	v_xor_b32_e32 v4, s27, v2
	v_xor_b32_e32 v24, s26, v2
	v_and_b32_e32 v2, v1, v4
	v_and_b32_e32 v1, v23, v24
	v_mbcnt_lo_u32_b32 v4, v1, 0
	v_mbcnt_hi_u32_b32 v23, v2, v4
	v_cmp_ne_u64_e64 s[26:27], 0, v[1:2]
	v_cmp_eq_u32_e64 s[28:29], 0, v23
	s_and_b64 s[28:29], s[26:27], s[28:29]
	v_add_u32_e32 v24, v12, v5
	; wave barrier
	s_and_saveexec_b64 s[26:27], s[28:29]
	s_cbranch_execz .LBB83_6
; %bb.5:                                ;   in Loop: Header=BB83_2 Depth=1
	v_bcnt_u32_b32 v1, v1, 0
	v_bcnt_u32_b32 v1, v2, v1
	s_waitcnt lgkmcnt(0)
	v_add_u32_e32 v1, v22, v1
	ds_write_b32 v24, v1 offset:20
.LBB83_6:                               ;   in Loop: Header=BB83_2 Depth=1
	s_or_b64 exec, exec, s[26:27]
	v_and_b32_e32 v1, 0xff, v14
	v_mul_u32_u24_e32 v5, 20, v1
	v_mad_u32_u24 v1, v1, 20, v12
	; wave barrier
	ds_read_b32 v25, v1 offset:20
	v_and_b32_e32 v1, 1, v14
	v_add_co_u32_e64 v2, s[26:27], -1, v1
	v_addc_co_u32_e64 v4, s[26:27], 0, -1, s[26:27]
	v_cmp_ne_u32_e64 s[26:27], 0, v1
	v_xor_b32_e32 v1, s27, v4
	v_lshlrev_b32_e32 v4, 30, v14
	v_xor_b32_e32 v2, s26, v2
	v_cmp_gt_i64_e64 s[26:27], 0, v[3:4]
	v_not_b32_e32 v4, v4
	v_ashrrev_i32_e32 v4, 31, v4
	v_and_b32_e32 v2, exec_lo, v2
	v_xor_b32_e32 v26, s27, v4
	v_xor_b32_e32 v4, s26, v4
	v_and_b32_e32 v2, v2, v4
	v_lshlrev_b32_e32 v4, 29, v14
	v_cmp_gt_i64_e64 s[26:27], 0, v[3:4]
	v_not_b32_e32 v4, v4
	v_and_b32_e32 v1, exec_hi, v1
	v_ashrrev_i32_e32 v4, 31, v4
	v_and_b32_e32 v1, v1, v26
	v_xor_b32_e32 v26, s27, v4
	v_xor_b32_e32 v4, s26, v4
	v_and_b32_e32 v2, v2, v4
	v_lshlrev_b32_e32 v4, 28, v14
	v_cmp_gt_i64_e64 s[26:27], 0, v[3:4]
	v_not_b32_e32 v4, v4
	v_ashrrev_i32_e32 v4, 31, v4
	v_and_b32_e32 v1, v1, v26
	v_xor_b32_e32 v26, s27, v4
	v_xor_b32_e32 v4, s26, v4
	v_and_b32_e32 v2, v2, v4
	v_lshlrev_b32_e32 v4, 27, v14
	v_cmp_gt_i64_e64 s[26:27], 0, v[3:4]
	v_not_b32_e32 v4, v4
	;; [unrolled: 8-line block ×4, first 2 shown]
	v_ashrrev_i32_e32 v4, 31, v4
	v_and_b32_e32 v1, v1, v26
	v_xor_b32_e32 v26, s27, v4
	v_xor_b32_e32 v4, s26, v4
	v_and_b32_e32 v1, v1, v26
	v_and_b32_e32 v26, v2, v4
	v_lshlrev_b32_e32 v4, 24, v14
	v_cmp_gt_i64_e64 s[26:27], 0, v[3:4]
	v_not_b32_e32 v2, v4
	v_ashrrev_i32_e32 v2, 31, v2
	v_xor_b32_e32 v4, s27, v2
	v_xor_b32_e32 v27, s26, v2
	v_and_b32_e32 v2, v1, v4
	v_and_b32_e32 v1, v26, v27
	v_mbcnt_lo_u32_b32 v4, v1, 0
	v_mbcnt_hi_u32_b32 v26, v2, v4
	v_cmp_ne_u64_e64 s[26:27], 0, v[1:2]
	v_cmp_eq_u32_e64 s[28:29], 0, v26
	s_and_b64 s[28:29], s[26:27], s[28:29]
	v_add_u32_e32 v27, v12, v5
	; wave barrier
	s_and_saveexec_b64 s[26:27], s[28:29]
	s_cbranch_execz .LBB83_8
; %bb.7:                                ;   in Loop: Header=BB83_2 Depth=1
	v_bcnt_u32_b32 v1, v1, 0
	v_bcnt_u32_b32 v1, v2, v1
	s_waitcnt lgkmcnt(0)
	v_add_u32_e32 v1, v25, v1
	ds_write_b32 v27, v1 offset:20
.LBB83_8:                               ;   in Loop: Header=BB83_2 Depth=1
	s_or_b64 exec, exec, s[26:27]
	; wave barrier
	s_waitcnt lgkmcnt(0)
	s_barrier
	ds_read2_b32 v[4:5], v6 offset0:5 offset1:6
	ds_read2_b32 v[1:2], v6 offset0:7 offset1:8
	s_waitcnt lgkmcnt(1)
	v_add_u32_e32 v28, v5, v4
	s_waitcnt lgkmcnt(0)
	v_add3_u32 v2, v28, v1, v2
	s_nop 1
	v_mov_b32_dpp v28, v2 row_shr:1 row_mask:0xf bank_mask:0xf
	v_cndmask_b32_e64 v28, v28, 0, s[8:9]
	v_add_u32_e32 v2, v28, v2
	s_nop 1
	v_mov_b32_dpp v28, v2 row_shr:2 row_mask:0xf bank_mask:0xf
	v_cndmask_b32_e64 v28, 0, v28, s[10:11]
	v_add_u32_e32 v2, v2, v28
	;; [unrolled: 4-line block ×4, first 2 shown]
	s_nop 1
	v_mov_b32_dpp v28, v2 row_bcast:15 row_mask:0xf bank_mask:0xf
	v_cndmask_b32_e64 v28, v28, 0, s[16:17]
	v_add_u32_e32 v2, v2, v28
	s_nop 1
	v_mov_b32_dpp v28, v2 row_bcast:31 row_mask:0xf bank_mask:0xf
	v_cndmask_b32_e64 v28, 0, v28, s[4:5]
	v_add_u32_e32 v2, v2, v28
	s_and_saveexec_b64 s[26:27], s[24:25]
; %bb.9:                                ;   in Loop: Header=BB83_2 Depth=1
	ds_write_b32 v8, v2
; %bb.10:                               ;   in Loop: Header=BB83_2 Depth=1
	s_or_b64 exec, exec, s[26:27]
	s_waitcnt lgkmcnt(0)
	s_barrier
	s_and_saveexec_b64 s[26:27], vcc
	s_cbranch_execz .LBB83_12
; %bb.11:                               ;   in Loop: Header=BB83_2 Depth=1
	v_add_u32_e32 v28, v7, v0
	ds_read_b32 v29, v28
	s_waitcnt lgkmcnt(0)
	s_nop 0
	v_mov_b32_dpp v30, v29 row_shr:1 row_mask:0xf bank_mask:0xf
	v_cndmask_b32_e64 v30, v30, 0, s[18:19]
	v_add_u32_e32 v29, v30, v29
	s_nop 1
	v_mov_b32_dpp v30, v29 row_shr:2 row_mask:0xf bank_mask:0xf
	v_cndmask_b32_e64 v30, 0, v30, s[20:21]
	v_add_u32_e32 v29, v29, v30
	;; [unrolled: 4-line block ×3, first 2 shown]
	ds_write_b32 v28, v29
.LBB83_12:                              ;   in Loop: Header=BB83_2 Depth=1
	s_or_b64 exec, exec, s[26:27]
	v_mov_b32_e32 v28, 0
	s_waitcnt lgkmcnt(0)
	s_barrier
	s_and_saveexec_b64 s[26:27], s[0:1]
	s_cbranch_execz .LBB83_1
; %bb.13:                               ;   in Loop: Header=BB83_2 Depth=1
	v_add_u32_e32 v28, -4, v8
	ds_read_b32 v28, v28
	s_branch .LBB83_1
.LBB83_14:
	s_add_u32 s0, s30, s33
	s_addc_u32 s1, s31, 0
	v_mov_b32_e32 v1, s1
	v_add_co_u32_e32 v0, vcc, s0, v0
	v_add_u16_e32 v3, v4, v15
	v_addc_co_u32_e32 v1, vcc, 0, v1, vcc
	v_add_u16_sdwa v4, v14, v2 dst_sel:DWORD dst_unused:UNUSED_PAD src0_sel:DWORD src1_sel:BYTE_1
	v_add_u16_e32 v2, v5, v2
	global_store_byte v[0:1], v3, off
	global_store_byte v[0:1], v2, off offset:320
	global_store_byte v[0:1], v4, off offset:640
	s_endpgm
	.section	.rodata,"a",@progbits
	.p2align	6, 0x0
	.amdhsa_kernel _Z17sort_pairs_kernelI22helper_blocked_blockedaLj320ELj3ELj10EEvPKT0_PS1_
		.amdhsa_group_segment_fixed_size 5152
		.amdhsa_private_segment_fixed_size 0
		.amdhsa_kernarg_size 272
		.amdhsa_user_sgpr_count 6
		.amdhsa_user_sgpr_private_segment_buffer 1
		.amdhsa_user_sgpr_dispatch_ptr 0
		.amdhsa_user_sgpr_queue_ptr 0
		.amdhsa_user_sgpr_kernarg_segment_ptr 1
		.amdhsa_user_sgpr_dispatch_id 0
		.amdhsa_user_sgpr_flat_scratch_init 0
		.amdhsa_user_sgpr_private_segment_size 0
		.amdhsa_uses_dynamic_stack 0
		.amdhsa_system_sgpr_private_segment_wavefront_offset 0
		.amdhsa_system_sgpr_workgroup_id_x 1
		.amdhsa_system_sgpr_workgroup_id_y 0
		.amdhsa_system_sgpr_workgroup_id_z 0
		.amdhsa_system_sgpr_workgroup_info 0
		.amdhsa_system_vgpr_workitem_id 2
		.amdhsa_next_free_vgpr 31
		.amdhsa_next_free_sgpr 36
		.amdhsa_reserve_vcc 1
		.amdhsa_reserve_flat_scratch 0
		.amdhsa_float_round_mode_32 0
		.amdhsa_float_round_mode_16_64 0
		.amdhsa_float_denorm_mode_32 3
		.amdhsa_float_denorm_mode_16_64 3
		.amdhsa_dx10_clamp 1
		.amdhsa_ieee_mode 1
		.amdhsa_fp16_overflow 0
		.amdhsa_exception_fp_ieee_invalid_op 0
		.amdhsa_exception_fp_denorm_src 0
		.amdhsa_exception_fp_ieee_div_zero 0
		.amdhsa_exception_fp_ieee_overflow 0
		.amdhsa_exception_fp_ieee_underflow 0
		.amdhsa_exception_fp_ieee_inexact 0
		.amdhsa_exception_int_div_zero 0
	.end_amdhsa_kernel
	.section	.text._Z17sort_pairs_kernelI22helper_blocked_blockedaLj320ELj3ELj10EEvPKT0_PS1_,"axG",@progbits,_Z17sort_pairs_kernelI22helper_blocked_blockedaLj320ELj3ELj10EEvPKT0_PS1_,comdat
.Lfunc_end83:
	.size	_Z17sort_pairs_kernelI22helper_blocked_blockedaLj320ELj3ELj10EEvPKT0_PS1_, .Lfunc_end83-_Z17sort_pairs_kernelI22helper_blocked_blockedaLj320ELj3ELj10EEvPKT0_PS1_
                                        ; -- End function
	.set _Z17sort_pairs_kernelI22helper_blocked_blockedaLj320ELj3ELj10EEvPKT0_PS1_.num_vgpr, 31
	.set _Z17sort_pairs_kernelI22helper_blocked_blockedaLj320ELj3ELj10EEvPKT0_PS1_.num_agpr, 0
	.set _Z17sort_pairs_kernelI22helper_blocked_blockedaLj320ELj3ELj10EEvPKT0_PS1_.numbered_sgpr, 36
	.set _Z17sort_pairs_kernelI22helper_blocked_blockedaLj320ELj3ELj10EEvPKT0_PS1_.num_named_barrier, 0
	.set _Z17sort_pairs_kernelI22helper_blocked_blockedaLj320ELj3ELj10EEvPKT0_PS1_.private_seg_size, 0
	.set _Z17sort_pairs_kernelI22helper_blocked_blockedaLj320ELj3ELj10EEvPKT0_PS1_.uses_vcc, 1
	.set _Z17sort_pairs_kernelI22helper_blocked_blockedaLj320ELj3ELj10EEvPKT0_PS1_.uses_flat_scratch, 0
	.set _Z17sort_pairs_kernelI22helper_blocked_blockedaLj320ELj3ELj10EEvPKT0_PS1_.has_dyn_sized_stack, 0
	.set _Z17sort_pairs_kernelI22helper_blocked_blockedaLj320ELj3ELj10EEvPKT0_PS1_.has_recursion, 0
	.set _Z17sort_pairs_kernelI22helper_blocked_blockedaLj320ELj3ELj10EEvPKT0_PS1_.has_indirect_call, 0
	.section	.AMDGPU.csdata,"",@progbits
; Kernel info:
; codeLenInByte = 2492
; TotalNumSgprs: 40
; NumVgprs: 31
; ScratchSize: 0
; MemoryBound: 0
; FloatMode: 240
; IeeeMode: 1
; LDSByteSize: 5152 bytes/workgroup (compile time only)
; SGPRBlocks: 4
; VGPRBlocks: 7
; NumSGPRsForWavesPerEU: 40
; NumVGPRsForWavesPerEU: 31
; Occupancy: 8
; WaveLimiterHint : 1
; COMPUTE_PGM_RSRC2:SCRATCH_EN: 0
; COMPUTE_PGM_RSRC2:USER_SGPR: 6
; COMPUTE_PGM_RSRC2:TRAP_HANDLER: 0
; COMPUTE_PGM_RSRC2:TGID_X_EN: 1
; COMPUTE_PGM_RSRC2:TGID_Y_EN: 0
; COMPUTE_PGM_RSRC2:TGID_Z_EN: 0
; COMPUTE_PGM_RSRC2:TIDIG_COMP_CNT: 2
	.section	.text._Z16sort_keys_kernelI22helper_blocked_blockedaLj320ELj4ELj10EEvPKT0_PS1_,"axG",@progbits,_Z16sort_keys_kernelI22helper_blocked_blockedaLj320ELj4ELj10EEvPKT0_PS1_,comdat
	.protected	_Z16sort_keys_kernelI22helper_blocked_blockedaLj320ELj4ELj10EEvPKT0_PS1_ ; -- Begin function _Z16sort_keys_kernelI22helper_blocked_blockedaLj320ELj4ELj10EEvPKT0_PS1_
	.globl	_Z16sort_keys_kernelI22helper_blocked_blockedaLj320ELj4ELj10EEvPKT0_PS1_
	.p2align	8
	.type	_Z16sort_keys_kernelI22helper_blocked_blockedaLj320ELj4ELj10EEvPKT0_PS1_,@function
_Z16sort_keys_kernelI22helper_blocked_blockedaLj320ELj4ELj10EEvPKT0_PS1_: ; @_Z16sort_keys_kernelI22helper_blocked_blockedaLj320ELj4ELj10EEvPKT0_PS1_
; %bb.0:
	s_load_dwordx4 s[40:43], s[4:5], 0x0
	s_load_dword s7, s[4:5], 0x1c
	s_mul_i32 s33, s6, 0x500
	v_mbcnt_lo_u32_b32 v6, -1, 0
	v_mbcnt_hi_u32_b32 v14, -1, v6
	s_waitcnt lgkmcnt(0)
	s_add_u32 s0, s40, s33
	s_addc_u32 s1, s41, 0
	global_load_ubyte v17, v0, s[0:1] offset:960
	global_load_ubyte v4, v0, s[0:1] offset:640
	;; [unrolled: 1-line block ×3, first 2 shown]
	global_load_ubyte v5, v0, s[0:1]
	s_lshr_b32 s6, s7, 16
	s_and_b32 s7, s7, 0xffff
	v_mad_u32_u24 v1, v2, s6, v1
	v_mad_u64_u32 v[1:2], s[6:7], v1, s7, v[0:1]
	v_and_b32_e32 v12, 64, v14
	v_lshrrev_b32_e32 v9, 2, v14
	v_lshrrev_b32_e32 v1, 4, v1
	v_and_b32_e32 v11, 0xffffffc, v1
	v_and_b32_e32 v1, 15, v14
	v_cmp_eq_u32_e64 s[6:7], 0, v1
	v_cmp_lt_u32_e64 s[8:9], 1, v1
	v_cmp_lt_u32_e64 s[10:11], 3, v1
	;; [unrolled: 1-line block ×3, first 2 shown]
	v_and_b32_e32 v1, 16, v14
	v_cmp_eq_u32_e64 s[14:15], 0, v1
	v_and_b32_e32 v1, 0x1c0, v0
	v_min_u32_e32 v1, 0x100, v1
	v_or_b32_e32 v1, 63, v1
	v_cmp_eq_u32_e64 s[18:19], v0, v1
	v_subrev_co_u32_e64 v1, s[24:25], 1, v14
	v_and_b32_e32 v6, 3, v14
	v_cmp_lt_i32_e64 s[26:27], v1, v12
	v_cmp_eq_u32_e32 vcc, 3, v6
	v_cmp_eq_u32_e64 s[0:1], 2, v6
	v_cmp_eq_u32_e64 s[2:3], 1, v6
	;; [unrolled: 1-line block ×3, first 2 shown]
	v_or_b32_e32 v6, v9, v12
	v_add_u32_e32 v9, 48, v9
	v_cndmask_b32_e64 v1, v1, v14, s[26:27]
	v_lshrrev_b32_e32 v2, 4, v0
	v_lshlrev_b32_e32 v6, 2, v6
	v_and_or_b32 v9, v9, 63, v12
	v_lshlrev_b32_e32 v10, 4, v0
	v_lshlrev_b32_e32 v12, 2, v1
	v_mul_i32_i24_e32 v1, -12, v0
	v_and_b32_e32 v13, 28, v2
	v_and_b32_e32 v2, 7, v14
	v_mov_b32_e32 v3, 0
	v_add_u32_e32 v7, 64, v6
	s_movk_i32 s40, 0x80
	v_or_b32_e32 v8, 0x80, v6
	v_lshlrev_b32_e32 v9, 2, v9
	s_mov_b32 s41, 0xffff
	v_cmp_lt_u32_e64 s[16:17], 31, v14
	v_cmp_gt_u32_e64 s[20:21], 5, v0
	v_cmp_lt_u32_e64 s[22:23], 63, v0
	v_cmp_eq_u32_e64 s[26:27], 0, v0
	v_cmp_eq_u32_e64 s[28:29], 0, v2
	v_cmp_lt_u32_e64 s[30:31], 1, v2
	v_cmp_lt_u32_e64 s[34:35], 3, v2
	v_add_u32_e32 v14, -4, v13
	s_mov_b32 s44, 10
	s_movk_i32 s45, 0xff
	s_mov_b32 s46, 0x3020104
	s_mov_b32 s47, 0xffff0000
	s_mov_b32 s48, 0xc0c0304
	s_movk_i32 s49, 0xff00
	v_mov_b32_e32 v15, 20
	v_add_u32_e32 v16, v10, v1
	s_branch .LBB84_2
.LBB84_1:                               ;   in Loop: Header=BB84_2 Depth=1
	s_or_b64 exec, exec, s[36:37]
	s_waitcnt lgkmcnt(0)
	v_add_u32_e32 v2, v32, v2
	ds_bpermute_b32 v2, v12, v2
	s_add_i32 s44, s44, -1
	s_cmp_eq_u32 s44, 0
	s_waitcnt lgkmcnt(0)
	v_cndmask_b32_e64 v2, v2, v32, s[24:25]
	v_cndmask_b32_e64 v2, v2, 0, s[26:27]
	v_add_u32_e32 v4, v2, v4
	v_add_u32_e32 v5, v4, v5
	;; [unrolled: 1-line block ×3, first 2 shown]
	ds_write2_b32 v10, v2, v4 offset0:5 offset1:6
	ds_write2_b32 v10, v5, v1 offset0:7 offset1:8
	s_waitcnt lgkmcnt(0)
	s_barrier
	ds_read_b32 v1, v19 offset:20
	ds_read_b32 v2, v23 offset:20
	;; [unrolled: 1-line block ×4, first 2 shown]
	s_waitcnt lgkmcnt(0)
	v_add_u32_e32 v1, v1, v18
	s_barrier
	ds_write_b8 v1, v17
	v_add3_u32 v1, v22, v21, v2
	ds_write_b8 v1, v20
	v_add3_u32 v1, v26, v25, v4
	;; [unrolled: 2-line block ×3, first 2 shown]
	ds_write_b8 v1, v28
	s_waitcnt lgkmcnt(0)
	s_barrier
	ds_read_b32 v1, v16
	s_waitcnt lgkmcnt(0)
	v_and_b32_e32 v2, 0xffffff00, v1
	v_xor_b32_e32 v4, 0x80, v1
	v_or_b32_sdwa v2, v4, v2 dst_sel:DWORD dst_unused:UNUSED_PAD src0_sel:BYTE_0 src1_sel:DWORD
	v_add_u16_e32 v5, 0x8000, v2
	v_and_b32_sdwa v2, v1, s49 dst_sel:DWORD dst_unused:UNUSED_PAD src0_sel:WORD_1 src1_sel:DWORD
	v_xor_b32_sdwa v1, v1, s40 dst_sel:DWORD dst_unused:UNUSED_PAD src0_sel:WORD_1 src1_sel:DWORD
	v_or_b32_sdwa v1, v1, v2 dst_sel:DWORD dst_unused:UNUSED_PAD src0_sel:BYTE_0 src1_sel:DWORD
	v_add_u16_e32 v4, 0x8000, v1
	v_lshlrev_b32_e32 v2, 16, v4
	v_or_b32_e32 v1, v5, v2
	v_lshrrev_b32_e32 v18, 8, v1
	v_lshrrev_b32_e32 v17, 24, v2
	s_cbranch_scc1 .LBB84_16
.LBB84_2:                               ; =>This Inner Loop Header: Depth=1
	s_waitcnt vmcnt(0)
	v_xor_b32_e32 v1, 0x80, v5
	v_xor_b32_e32 v2, 0x80, v18
	v_and_b32_e32 v1, 0xff, v1
	ds_bpermute_b32 v5, v6, v1
	v_xor_b32_e32 v4, 0x80, v4
	v_and_b32_e32 v2, 0xff, v2
	ds_bpermute_b32 v18, v6, v2
	v_and_b32_e32 v4, 0xff, v4
	ds_bpermute_b32 v19, v6, v4
	v_xor_b32_e32 v17, 0x80, v17
	v_and_b32_e32 v17, 0xff, v17
	s_waitcnt lgkmcnt(2)
	v_and_b32_e32 v5, 0xff, v5
	ds_bpermute_b32 v20, v6, v17
	v_cndmask_b32_e64 v5, 0, v5, s[4:5]
	s_waitcnt lgkmcnt(2)
	v_and_b32_e32 v18, 0xff, v18
	v_cndmask_b32_e64 v5, v5, v18, s[2:3]
	s_waitcnt lgkmcnt(1)
	v_and_b32_e32 v18, 0xff, v19
	ds_bpermute_b32 v19, v7, v1
	v_cndmask_b32_e64 v5, v5, v18, s[0:1]
	s_waitcnt lgkmcnt(1)
	v_perm_b32 v18, v20, v5, s46
	v_cndmask_b32_e32 v5, v5, v18, vcc
	ds_bpermute_b32 v18, v7, v2
	s_waitcnt lgkmcnt(1)
	v_lshlrev_b16_e32 v19, 8, v19
	v_or_b32_sdwa v19, v5, v19 dst_sel:DWORD dst_unused:UNUSED_PAD src0_sel:BYTE_0 src1_sel:DWORD
	v_and_b32_e32 v19, 0xffff, v19
	v_cndmask_b32_e64 v5, v5, v19, s[4:5]
	ds_bpermute_b32 v19, v7, v4
	s_waitcnt lgkmcnt(1)
	v_lshlrev_b16_e32 v18, 8, v18
	v_or_b32_sdwa v18, v5, v18 dst_sel:DWORD dst_unused:UNUSED_PAD src0_sel:BYTE_0 src1_sel:DWORD
	v_and_b32_e32 v18, 0xffff, v18
	v_and_or_b32 v18, v5, s47, v18
	v_cndmask_b32_e64 v5, v5, v18, s[2:3]
	s_waitcnt lgkmcnt(0)
	v_lshlrev_b16_e32 v18, 8, v19
	ds_bpermute_b32 v19, v7, v17
	v_or_b32_sdwa v18, v5, v18 dst_sel:DWORD dst_unused:UNUSED_PAD src0_sel:BYTE_0 src1_sel:DWORD
	v_and_b32_e32 v18, 0xffff, v18
	v_and_or_b32 v18, v5, s47, v18
	v_cndmask_b32_e64 v5, v5, v18, s[0:1]
	s_waitcnt lgkmcnt(0)
	v_lshlrev_b16_e32 v18, 8, v19
	ds_bpermute_b32 v19, v8, v1
	v_or_b32_sdwa v18, v5, v18 dst_sel:DWORD dst_unused:UNUSED_PAD src0_sel:BYTE_0 src1_sel:DWORD
	v_and_b32_e32 v18, 0xffff, v18
	v_and_or_b32 v18, v5, s47, v18
	v_cndmask_b32_e32 v5, v5, v18, vcc
	ds_bpermute_b32 v18, v8, v2
	s_waitcnt lgkmcnt(1)
	v_perm_b32 v19, v19, v5, s48
	v_lshlrev_b32_e32 v19, 16, v19
	v_and_or_b32 v19, v5, s41, v19
	v_cndmask_b32_e64 v5, v5, v19, s[4:5]
	ds_bpermute_b32 v19, v8, v4
	s_waitcnt lgkmcnt(1)
	v_perm_b32 v18, v18, v5, s48
	v_lshlrev_b32_e32 v18, 16, v18
	v_and_or_b32 v18, v5, s41, v18
	v_cndmask_b32_e64 v5, v5, v18, s[2:3]
	;; [unrolled: 6-line block ×3, first 2 shown]
	ds_bpermute_b32 v1, v9, v1
	s_waitcnt lgkmcnt(1)
	v_perm_b32 v18, v18, v5, s48
	v_lshlrev_b32_e32 v18, 16, v18
	v_and_or_b32 v18, v5, s41, v18
	v_cndmask_b32_e32 v5, v5, v18, vcc
	ds_bpermute_b32 v2, v9, v2
	v_and_b32_sdwa v18, v5, s45 dst_sel:DWORD dst_unused:UNUSED_PAD src0_sel:WORD_1 src1_sel:DWORD
	s_waitcnt lgkmcnt(1)
	v_lshlrev_b16_e32 v1, 8, v1
	v_or_b32_sdwa v1, v18, v1 dst_sel:WORD_1 dst_unused:UNUSED_PAD src0_sel:DWORD src1_sel:DWORD
	v_and_or_b32 v1, v5, s41, v1
	v_cndmask_b32_e64 v1, v5, v1, s[4:5]
	ds_bpermute_b32 v4, v9, v4
	v_and_b32_sdwa v5, v1, s45 dst_sel:DWORD dst_unused:UNUSED_PAD src0_sel:WORD_1 src1_sel:DWORD
	s_waitcnt lgkmcnt(1)
	v_lshlrev_b16_e32 v2, 8, v2
	v_or_b32_sdwa v2, v5, v2 dst_sel:WORD_1 dst_unused:UNUSED_PAD src0_sel:DWORD src1_sel:DWORD
	v_and_or_b32 v2, v1, s41, v2
	v_cndmask_b32_e64 v1, v1, v2, s[2:3]
	;; [unrolled: 7-line block ×3, first 2 shown]
	v_and_b32_sdwa v2, v1, s45 dst_sel:DWORD dst_unused:UNUSED_PAD src0_sel:WORD_1 src1_sel:DWORD
	s_waitcnt lgkmcnt(0)
	v_lshlrev_b16_e32 v4, 8, v5
	v_or_b32_sdwa v2, v2, v4 dst_sel:WORD_1 dst_unused:UNUSED_PAD src0_sel:DWORD src1_sel:DWORD
	v_and_or_b32 v2, v1, s41, v2
	v_cndmask_b32_e32 v17, v1, v2, vcc
	v_and_b32_e32 v1, 1, v17
	v_add_co_u32_e64 v2, s[36:37], -1, v1
	v_addc_co_u32_e64 v4, s[36:37], 0, -1, s[36:37]
	v_cmp_ne_u32_e64 s[36:37], 0, v1
	v_xor_b32_e32 v1, s37, v4
	v_lshlrev_b32_e32 v4, 30, v17
	v_xor_b32_e32 v2, s36, v2
	v_cmp_gt_i64_e64 s[36:37], 0, v[3:4]
	v_not_b32_e32 v4, v4
	v_ashrrev_i32_e32 v4, 31, v4
	v_and_b32_e32 v2, exec_lo, v2
	v_xor_b32_e32 v18, s37, v4
	v_xor_b32_e32 v4, s36, v4
	v_and_b32_e32 v2, v2, v4
	v_lshlrev_b32_e32 v4, 29, v17
	v_cmp_gt_i64_e64 s[36:37], 0, v[3:4]
	v_not_b32_e32 v4, v4
	v_and_b32_e32 v1, exec_hi, v1
	v_ashrrev_i32_e32 v4, 31, v4
	v_and_b32_e32 v1, v1, v18
	v_xor_b32_e32 v18, s37, v4
	v_xor_b32_e32 v4, s36, v4
	v_and_b32_e32 v2, v2, v4
	v_lshlrev_b32_e32 v4, 28, v17
	v_cmp_gt_i64_e64 s[36:37], 0, v[3:4]
	v_not_b32_e32 v4, v4
	v_ashrrev_i32_e32 v4, 31, v4
	v_and_b32_e32 v1, v1, v18
	v_xor_b32_e32 v18, s37, v4
	v_xor_b32_e32 v4, s36, v4
	v_and_b32_e32 v2, v2, v4
	v_lshlrev_b32_e32 v4, 27, v17
	v_cmp_gt_i64_e64 s[36:37], 0, v[3:4]
	v_not_b32_e32 v4, v4
	;; [unrolled: 8-line block ×4, first 2 shown]
	v_ashrrev_i32_e32 v4, 31, v4
	v_and_b32_e32 v1, v1, v18
	v_xor_b32_e32 v18, s37, v4
	v_xor_b32_e32 v4, s36, v4
	v_and_b32_e32 v1, v1, v18
	v_and_b32_e32 v18, v2, v4
	v_lshlrev_b32_e32 v4, 24, v17
	v_cmp_gt_i64_e64 s[36:37], 0, v[3:4]
	v_not_b32_e32 v2, v4
	v_ashrrev_i32_e32 v2, 31, v2
	v_xor_b32_e32 v4, s37, v2
	v_xor_b32_e32 v19, s36, v2
	v_and_b32_e32 v2, v1, v4
	v_and_b32_e32 v1, v18, v19
	v_mbcnt_lo_u32_b32 v4, v1, 0
	v_mbcnt_hi_u32_b32 v18, v2, v4
	v_cmp_ne_u64_e64 s[36:37], 0, v[1:2]
	v_mul_u32_u24_sdwa v5, v17, v15 dst_sel:DWORD dst_unused:UNUSED_PAD src0_sel:BYTE_0 src1_sel:DWORD
	v_cmp_eq_u32_e64 s[38:39], 0, v18
	s_and_b64 s[38:39], s[38:39], s[36:37]
	v_add_u32_e32 v19, v11, v5
	s_barrier
	ds_write2_b32 v10, v3, v3 offset0:5 offset1:6
	ds_write2_b32 v10, v3, v3 offset0:7 offset1:8
	s_waitcnt lgkmcnt(0)
	s_barrier
	; wave barrier
	s_and_saveexec_b64 s[36:37], s[38:39]
; %bb.3:                                ;   in Loop: Header=BB84_2 Depth=1
	v_bcnt_u32_b32 v1, v1, 0
	v_bcnt_u32_b32 v1, v2, v1
	ds_write_b32 v19, v1 offset:20
; %bb.4:                                ;   in Loop: Header=BB84_2 Depth=1
	s_or_b64 exec, exec, s[36:37]
	v_bfe_u32 v1, v17, 8, 8
	v_mul_u32_u24_e32 v5, 20, v1
	v_mad_u32_u24 v1, v1, 20, v11
	; wave barrier
	ds_read_b32 v21, v1 offset:20
	v_bfe_u32 v1, v17, 8, 1
	v_add_co_u32_e64 v2, s[36:37], -1, v1
	v_addc_co_u32_e64 v4, s[36:37], 0, -1, s[36:37]
	v_lshrrev_b32_e32 v20, 8, v17
	v_cmp_ne_u32_e64 s[36:37], 0, v1
	v_xor_b32_e32 v1, s37, v4
	v_lshlrev_b32_e32 v4, 30, v20
	v_xor_b32_e32 v2, s36, v2
	v_cmp_gt_i64_e64 s[36:37], 0, v[3:4]
	v_not_b32_e32 v4, v4
	v_ashrrev_i32_e32 v4, 31, v4
	v_and_b32_e32 v2, exec_lo, v2
	v_xor_b32_e32 v22, s37, v4
	v_xor_b32_e32 v4, s36, v4
	v_and_b32_e32 v2, v2, v4
	v_lshlrev_b32_e32 v4, 29, v20
	v_cmp_gt_i64_e64 s[36:37], 0, v[3:4]
	v_not_b32_e32 v4, v4
	v_and_b32_e32 v1, exec_hi, v1
	v_ashrrev_i32_e32 v4, 31, v4
	v_and_b32_e32 v1, v1, v22
	v_xor_b32_e32 v22, s37, v4
	v_xor_b32_e32 v4, s36, v4
	v_and_b32_e32 v2, v2, v4
	v_lshlrev_b32_e32 v4, 28, v20
	v_cmp_gt_i64_e64 s[36:37], 0, v[3:4]
	v_not_b32_e32 v4, v4
	v_ashrrev_i32_e32 v4, 31, v4
	v_and_b32_e32 v1, v1, v22
	v_xor_b32_e32 v22, s37, v4
	v_xor_b32_e32 v4, s36, v4
	v_and_b32_e32 v2, v2, v4
	v_lshlrev_b32_e32 v4, 27, v20
	v_cmp_gt_i64_e64 s[36:37], 0, v[3:4]
	v_not_b32_e32 v4, v4
	;; [unrolled: 8-line block ×4, first 2 shown]
	v_ashrrev_i32_e32 v4, 31, v4
	v_and_b32_e32 v1, v1, v22
	v_xor_b32_e32 v22, s37, v4
	v_xor_b32_e32 v4, s36, v4
	v_and_b32_e32 v1, v1, v22
	v_and_b32_e32 v22, v2, v4
	v_lshlrev_b32_e32 v4, 24, v20
	v_cmp_gt_i64_e64 s[36:37], 0, v[3:4]
	v_not_b32_e32 v2, v4
	v_ashrrev_i32_e32 v2, 31, v2
	v_xor_b32_e32 v4, s37, v2
	v_xor_b32_e32 v23, s36, v2
	v_and_b32_e32 v2, v1, v4
	v_and_b32_e32 v1, v22, v23
	v_mbcnt_lo_u32_b32 v4, v1, 0
	v_mbcnt_hi_u32_b32 v22, v2, v4
	v_cmp_ne_u64_e64 s[36:37], 0, v[1:2]
	v_cmp_eq_u32_e64 s[38:39], 0, v22
	s_and_b64 s[38:39], s[36:37], s[38:39]
	v_add_u32_e32 v23, v11, v5
	; wave barrier
	s_and_saveexec_b64 s[36:37], s[38:39]
	s_cbranch_execz .LBB84_6
; %bb.5:                                ;   in Loop: Header=BB84_2 Depth=1
	v_bcnt_u32_b32 v1, v1, 0
	v_bcnt_u32_b32 v1, v2, v1
	s_waitcnt lgkmcnt(0)
	v_add_u32_e32 v1, v21, v1
	ds_write_b32 v23, v1 offset:20
.LBB84_6:                               ;   in Loop: Header=BB84_2 Depth=1
	s_or_b64 exec, exec, s[36:37]
	v_bfe_u32 v1, v17, 16, 8
	v_mul_u32_u24_e32 v5, 20, v1
	v_mad_u32_u24 v1, v1, 20, v11
	; wave barrier
	ds_read_b32 v25, v1 offset:20
	v_bfe_u32 v1, v17, 16, 1
	v_add_co_u32_e64 v2, s[36:37], -1, v1
	v_addc_co_u32_e64 v4, s[36:37], 0, -1, s[36:37]
	v_lshrrev_b32_e32 v24, 16, v17
	v_cmp_ne_u32_e64 s[36:37], 0, v1
	v_xor_b32_e32 v1, s37, v4
	v_lshlrev_b32_e32 v4, 30, v24
	v_xor_b32_e32 v2, s36, v2
	v_cmp_gt_i64_e64 s[36:37], 0, v[3:4]
	v_not_b32_e32 v4, v4
	v_ashrrev_i32_e32 v4, 31, v4
	v_and_b32_e32 v2, exec_lo, v2
	v_xor_b32_e32 v26, s37, v4
	v_xor_b32_e32 v4, s36, v4
	v_and_b32_e32 v2, v2, v4
	v_lshlrev_b32_e32 v4, 29, v24
	v_cmp_gt_i64_e64 s[36:37], 0, v[3:4]
	v_not_b32_e32 v4, v4
	v_and_b32_e32 v1, exec_hi, v1
	v_ashrrev_i32_e32 v4, 31, v4
	v_and_b32_e32 v1, v1, v26
	v_xor_b32_e32 v26, s37, v4
	v_xor_b32_e32 v4, s36, v4
	v_and_b32_e32 v2, v2, v4
	v_lshlrev_b32_e32 v4, 28, v24
	v_cmp_gt_i64_e64 s[36:37], 0, v[3:4]
	v_not_b32_e32 v4, v4
	v_ashrrev_i32_e32 v4, 31, v4
	v_and_b32_e32 v1, v1, v26
	v_xor_b32_e32 v26, s37, v4
	v_xor_b32_e32 v4, s36, v4
	v_and_b32_e32 v2, v2, v4
	v_lshlrev_b32_e32 v4, 27, v24
	v_cmp_gt_i64_e64 s[36:37], 0, v[3:4]
	v_not_b32_e32 v4, v4
	;; [unrolled: 8-line block ×4, first 2 shown]
	v_ashrrev_i32_e32 v4, 31, v4
	v_and_b32_e32 v1, v1, v26
	v_xor_b32_e32 v26, s37, v4
	v_xor_b32_e32 v4, s36, v4
	v_and_b32_e32 v1, v1, v26
	v_and_b32_e32 v26, v2, v4
	v_lshlrev_b32_e32 v4, 24, v24
	v_cmp_gt_i64_e64 s[36:37], 0, v[3:4]
	v_not_b32_e32 v2, v4
	v_ashrrev_i32_e32 v2, 31, v2
	v_xor_b32_e32 v4, s37, v2
	v_xor_b32_e32 v27, s36, v2
	v_and_b32_e32 v2, v1, v4
	v_and_b32_e32 v1, v26, v27
	v_mbcnt_lo_u32_b32 v4, v1, 0
	v_mbcnt_hi_u32_b32 v26, v2, v4
	v_cmp_ne_u64_e64 s[36:37], 0, v[1:2]
	v_cmp_eq_u32_e64 s[38:39], 0, v26
	s_and_b64 s[38:39], s[36:37], s[38:39]
	v_add_u32_e32 v27, v11, v5
	; wave barrier
	s_and_saveexec_b64 s[36:37], s[38:39]
	s_cbranch_execz .LBB84_8
; %bb.7:                                ;   in Loop: Header=BB84_2 Depth=1
	v_bcnt_u32_b32 v1, v1, 0
	v_bcnt_u32_b32 v1, v2, v1
	s_waitcnt lgkmcnt(0)
	v_add_u32_e32 v1, v25, v1
	ds_write_b32 v27, v1 offset:20
.LBB84_8:                               ;   in Loop: Header=BB84_2 Depth=1
	s_or_b64 exec, exec, s[36:37]
	v_lshrrev_b32_e32 v28, 24, v17
	v_mad_u32_u24 v1, v28, 20, v11
	; wave barrier
	ds_read_b32 v29, v1 offset:20
	v_bfe_u32 v1, v17, 24, 1
	v_add_co_u32_e64 v2, s[36:37], -1, v1
	v_addc_co_u32_e64 v4, s[36:37], 0, -1, s[36:37]
	v_cmp_ne_u32_e64 s[36:37], 0, v1
	v_xor_b32_e32 v1, s37, v4
	v_lshlrev_b32_e32 v4, 30, v28
	v_xor_b32_e32 v2, s36, v2
	v_cmp_gt_i64_e64 s[36:37], 0, v[3:4]
	v_not_b32_e32 v4, v4
	v_ashrrev_i32_e32 v4, 31, v4
	v_and_b32_e32 v2, exec_lo, v2
	v_xor_b32_e32 v30, s37, v4
	v_xor_b32_e32 v4, s36, v4
	v_and_b32_e32 v2, v2, v4
	v_lshlrev_b32_e32 v4, 29, v28
	v_cmp_gt_i64_e64 s[36:37], 0, v[3:4]
	v_not_b32_e32 v4, v4
	v_and_b32_e32 v1, exec_hi, v1
	v_ashrrev_i32_e32 v4, 31, v4
	v_and_b32_e32 v1, v1, v30
	v_xor_b32_e32 v30, s37, v4
	v_xor_b32_e32 v4, s36, v4
	v_and_b32_e32 v2, v2, v4
	v_lshlrev_b32_e32 v4, 28, v28
	v_cmp_gt_i64_e64 s[36:37], 0, v[3:4]
	v_not_b32_e32 v4, v4
	v_ashrrev_i32_e32 v4, 31, v4
	v_and_b32_e32 v1, v1, v30
	v_xor_b32_e32 v30, s37, v4
	v_xor_b32_e32 v4, s36, v4
	v_and_b32_e32 v2, v2, v4
	v_lshlrev_b32_e32 v4, 27, v28
	v_cmp_gt_i64_e64 s[36:37], 0, v[3:4]
	v_not_b32_e32 v4, v4
	;; [unrolled: 8-line block ×4, first 2 shown]
	v_ashrrev_i32_e32 v4, 31, v4
	v_and_b32_e32 v1, v1, v30
	v_xor_b32_e32 v30, s37, v4
	v_xor_b32_e32 v4, s36, v4
	v_and_b32_e32 v1, v1, v30
	v_and_b32_e32 v30, v2, v4
	;; [unrolled: 1-line block ×3, first 2 shown]
	v_cmp_gt_i64_e64 s[36:37], 0, v[3:4]
	v_not_b32_e32 v2, v4
	v_ashrrev_i32_e32 v2, 31, v2
	v_xor_b32_e32 v4, s37, v2
	v_xor_b32_e32 v31, s36, v2
	v_and_b32_e32 v2, v1, v4
	v_and_b32_e32 v1, v30, v31
	v_mbcnt_lo_u32_b32 v4, v1, 0
	v_mbcnt_hi_u32_b32 v30, v2, v4
	v_cmp_ne_u64_e64 s[36:37], 0, v[1:2]
	v_mul_u32_u24_e32 v5, 20, v28
	v_cmp_eq_u32_e64 s[38:39], 0, v30
	s_and_b64 s[38:39], s[36:37], s[38:39]
	v_add_u32_e32 v31, v11, v5
	; wave barrier
	s_and_saveexec_b64 s[36:37], s[38:39]
	s_cbranch_execz .LBB84_10
; %bb.9:                                ;   in Loop: Header=BB84_2 Depth=1
	v_bcnt_u32_b32 v1, v1, 0
	v_bcnt_u32_b32 v1, v2, v1
	s_waitcnt lgkmcnt(0)
	v_add_u32_e32 v1, v29, v1
	ds_write_b32 v31, v1 offset:20
.LBB84_10:                              ;   in Loop: Header=BB84_2 Depth=1
	s_or_b64 exec, exec, s[36:37]
	; wave barrier
	s_waitcnt lgkmcnt(0)
	s_barrier
	ds_read2_b32 v[4:5], v10 offset0:5 offset1:6
	ds_read2_b32 v[1:2], v10 offset0:7 offset1:8
	s_waitcnt lgkmcnt(1)
	v_add_u32_e32 v32, v5, v4
	s_waitcnt lgkmcnt(0)
	v_add3_u32 v2, v32, v1, v2
	s_nop 1
	v_mov_b32_dpp v32, v2 row_shr:1 row_mask:0xf bank_mask:0xf
	v_cndmask_b32_e64 v32, v32, 0, s[6:7]
	v_add_u32_e32 v2, v32, v2
	s_nop 1
	v_mov_b32_dpp v32, v2 row_shr:2 row_mask:0xf bank_mask:0xf
	v_cndmask_b32_e64 v32, 0, v32, s[8:9]
	v_add_u32_e32 v2, v2, v32
	;; [unrolled: 4-line block ×4, first 2 shown]
	s_nop 1
	v_mov_b32_dpp v32, v2 row_bcast:15 row_mask:0xf bank_mask:0xf
	v_cndmask_b32_e64 v32, v32, 0, s[14:15]
	v_add_u32_e32 v2, v2, v32
	s_nop 1
	v_mov_b32_dpp v32, v2 row_bcast:31 row_mask:0xf bank_mask:0xf
	v_cndmask_b32_e64 v32, 0, v32, s[16:17]
	v_add_u32_e32 v2, v2, v32
	s_and_saveexec_b64 s[36:37], s[18:19]
; %bb.11:                               ;   in Loop: Header=BB84_2 Depth=1
	ds_write_b32 v13, v2
; %bb.12:                               ;   in Loop: Header=BB84_2 Depth=1
	s_or_b64 exec, exec, s[36:37]
	s_waitcnt lgkmcnt(0)
	s_barrier
	s_and_saveexec_b64 s[36:37], s[20:21]
	s_cbranch_execz .LBB84_14
; %bb.13:                               ;   in Loop: Header=BB84_2 Depth=1
	ds_read_b32 v32, v16
	s_waitcnt lgkmcnt(0)
	s_nop 0
	v_mov_b32_dpp v33, v32 row_shr:1 row_mask:0xf bank_mask:0xf
	v_cndmask_b32_e64 v33, v33, 0, s[28:29]
	v_add_u32_e32 v32, v33, v32
	s_nop 1
	v_mov_b32_dpp v33, v32 row_shr:2 row_mask:0xf bank_mask:0xf
	v_cndmask_b32_e64 v33, 0, v33, s[30:31]
	v_add_u32_e32 v32, v32, v33
	;; [unrolled: 4-line block ×3, first 2 shown]
	ds_write_b32 v16, v32
.LBB84_14:                              ;   in Loop: Header=BB84_2 Depth=1
	s_or_b64 exec, exec, s[36:37]
	v_mov_b32_e32 v32, 0
	s_waitcnt lgkmcnt(0)
	s_barrier
	s_and_saveexec_b64 s[36:37], s[22:23]
	s_cbranch_execz .LBB84_1
; %bb.15:                               ;   in Loop: Header=BB84_2 Depth=1
	ds_read_b32 v32, v14
	s_branch .LBB84_1
.LBB84_16:
	s_add_u32 s0, s42, s33
	s_addc_u32 s1, s43, 0
	v_mov_b32_e32 v3, s1
	v_add_co_u32_e32 v2, vcc, s0, v0
	v_addc_co_u32_e32 v3, vcc, 0, v3, vcc
	v_lshrrev_b32_e32 v0, 8, v1
	global_store_byte v[2:3], v1, off
	global_store_byte v[2:3], v0, off offset:320
	global_store_byte_d16_hi v[2:3], v1, off offset:640
	v_lshrrev_b32_e32 v0, 24, v1
	global_store_byte v[2:3], v0, off offset:960
	s_endpgm
	.section	.rodata,"a",@progbits
	.p2align	6, 0x0
	.amdhsa_kernel _Z16sort_keys_kernelI22helper_blocked_blockedaLj320ELj4ELj10EEvPKT0_PS1_
		.amdhsa_group_segment_fixed_size 5152
		.amdhsa_private_segment_fixed_size 0
		.amdhsa_kernarg_size 272
		.amdhsa_user_sgpr_count 6
		.amdhsa_user_sgpr_private_segment_buffer 1
		.amdhsa_user_sgpr_dispatch_ptr 0
		.amdhsa_user_sgpr_queue_ptr 0
		.amdhsa_user_sgpr_kernarg_segment_ptr 1
		.amdhsa_user_sgpr_dispatch_id 0
		.amdhsa_user_sgpr_flat_scratch_init 0
		.amdhsa_user_sgpr_private_segment_size 0
		.amdhsa_uses_dynamic_stack 0
		.amdhsa_system_sgpr_private_segment_wavefront_offset 0
		.amdhsa_system_sgpr_workgroup_id_x 1
		.amdhsa_system_sgpr_workgroup_id_y 0
		.amdhsa_system_sgpr_workgroup_id_z 0
		.amdhsa_system_sgpr_workgroup_info 0
		.amdhsa_system_vgpr_workitem_id 2
		.amdhsa_next_free_vgpr 34
		.amdhsa_next_free_sgpr 50
		.amdhsa_reserve_vcc 1
		.amdhsa_reserve_flat_scratch 0
		.amdhsa_float_round_mode_32 0
		.amdhsa_float_round_mode_16_64 0
		.amdhsa_float_denorm_mode_32 3
		.amdhsa_float_denorm_mode_16_64 3
		.amdhsa_dx10_clamp 1
		.amdhsa_ieee_mode 1
		.amdhsa_fp16_overflow 0
		.amdhsa_exception_fp_ieee_invalid_op 0
		.amdhsa_exception_fp_denorm_src 0
		.amdhsa_exception_fp_ieee_div_zero 0
		.amdhsa_exception_fp_ieee_overflow 0
		.amdhsa_exception_fp_ieee_underflow 0
		.amdhsa_exception_fp_ieee_inexact 0
		.amdhsa_exception_int_div_zero 0
	.end_amdhsa_kernel
	.section	.text._Z16sort_keys_kernelI22helper_blocked_blockedaLj320ELj4ELj10EEvPKT0_PS1_,"axG",@progbits,_Z16sort_keys_kernelI22helper_blocked_blockedaLj320ELj4ELj10EEvPKT0_PS1_,comdat
.Lfunc_end84:
	.size	_Z16sort_keys_kernelI22helper_blocked_blockedaLj320ELj4ELj10EEvPKT0_PS1_, .Lfunc_end84-_Z16sort_keys_kernelI22helper_blocked_blockedaLj320ELj4ELj10EEvPKT0_PS1_
                                        ; -- End function
	.set _Z16sort_keys_kernelI22helper_blocked_blockedaLj320ELj4ELj10EEvPKT0_PS1_.num_vgpr, 34
	.set _Z16sort_keys_kernelI22helper_blocked_blockedaLj320ELj4ELj10EEvPKT0_PS1_.num_agpr, 0
	.set _Z16sort_keys_kernelI22helper_blocked_blockedaLj320ELj4ELj10EEvPKT0_PS1_.numbered_sgpr, 50
	.set _Z16sort_keys_kernelI22helper_blocked_blockedaLj320ELj4ELj10EEvPKT0_PS1_.num_named_barrier, 0
	.set _Z16sort_keys_kernelI22helper_blocked_blockedaLj320ELj4ELj10EEvPKT0_PS1_.private_seg_size, 0
	.set _Z16sort_keys_kernelI22helper_blocked_blockedaLj320ELj4ELj10EEvPKT0_PS1_.uses_vcc, 1
	.set _Z16sort_keys_kernelI22helper_blocked_blockedaLj320ELj4ELj10EEvPKT0_PS1_.uses_flat_scratch, 0
	.set _Z16sort_keys_kernelI22helper_blocked_blockedaLj320ELj4ELj10EEvPKT0_PS1_.has_dyn_sized_stack, 0
	.set _Z16sort_keys_kernelI22helper_blocked_blockedaLj320ELj4ELj10EEvPKT0_PS1_.has_recursion, 0
	.set _Z16sort_keys_kernelI22helper_blocked_blockedaLj320ELj4ELj10EEvPKT0_PS1_.has_indirect_call, 0
	.section	.AMDGPU.csdata,"",@progbits
; Kernel info:
; codeLenInByte = 3496
; TotalNumSgprs: 54
; NumVgprs: 34
; ScratchSize: 0
; MemoryBound: 0
; FloatMode: 240
; IeeeMode: 1
; LDSByteSize: 5152 bytes/workgroup (compile time only)
; SGPRBlocks: 6
; VGPRBlocks: 8
; NumSGPRsForWavesPerEU: 54
; NumVGPRsForWavesPerEU: 34
; Occupancy: 7
; WaveLimiterHint : 1
; COMPUTE_PGM_RSRC2:SCRATCH_EN: 0
; COMPUTE_PGM_RSRC2:USER_SGPR: 6
; COMPUTE_PGM_RSRC2:TRAP_HANDLER: 0
; COMPUTE_PGM_RSRC2:TGID_X_EN: 1
; COMPUTE_PGM_RSRC2:TGID_Y_EN: 0
; COMPUTE_PGM_RSRC2:TGID_Z_EN: 0
; COMPUTE_PGM_RSRC2:TIDIG_COMP_CNT: 2
	.section	.text._Z17sort_pairs_kernelI22helper_blocked_blockedaLj320ELj4ELj10EEvPKT0_PS1_,"axG",@progbits,_Z17sort_pairs_kernelI22helper_blocked_blockedaLj320ELj4ELj10EEvPKT0_PS1_,comdat
	.protected	_Z17sort_pairs_kernelI22helper_blocked_blockedaLj320ELj4ELj10EEvPKT0_PS1_ ; -- Begin function _Z17sort_pairs_kernelI22helper_blocked_blockedaLj320ELj4ELj10EEvPKT0_PS1_
	.globl	_Z17sort_pairs_kernelI22helper_blocked_blockedaLj320ELj4ELj10EEvPKT0_PS1_
	.p2align	8
	.type	_Z17sort_pairs_kernelI22helper_blocked_blockedaLj320ELj4ELj10EEvPKT0_PS1_,@function
_Z17sort_pairs_kernelI22helper_blocked_blockedaLj320ELj4ELj10EEvPKT0_PS1_: ; @_Z17sort_pairs_kernelI22helper_blocked_blockedaLj320ELj4ELj10EEvPKT0_PS1_
; %bb.0:
	s_load_dwordx4 s[40:43], s[4:5], 0x0
	s_load_dword s36, s[4:5], 0x1c
	s_mul_i32 s33, s6, 0x500
	v_mbcnt_lo_u32_b32 v7, -1, 0
	v_mbcnt_hi_u32_b32 v9, -1, v7
	s_waitcnt lgkmcnt(0)
	s_add_u32 s0, s40, s33
	s_addc_u32 s1, s41, 0
	global_load_ubyte v5, v0, s[0:1]
	global_load_ubyte v17, v0, s[0:1] offset:320
	global_load_ubyte v4, v0, s[0:1] offset:640
	;; [unrolled: 1-line block ×3, first 2 shown]
	s_lshr_b32 s37, s36, 16
	s_and_b32 s36, s36, 0xffff
	v_mad_u32_u24 v1, v2, s37, v1
	v_mad_u64_u32 v[1:2], s[36:37], v1, s36, v[0:1]
	v_and_b32_e32 v8, 0x1c0, v0
	v_and_b32_e32 v13, 64, v9
	;; [unrolled: 1-line block ×3, first 2 shown]
	v_min_u32_e32 v19, 0x100, v8
	v_subrev_co_u32_e64 v20, s[8:9], 1, v9
	v_and_b32_e32 v12, 3, v9
	v_cmp_eq_u32_e64 s[24:25], 0, v15
	v_cmp_lt_i32_e64 s[26:27], v20, v13
	v_or_b32_e32 v15, 63, v19
	v_lshrrev_b32_e32 v1, 4, v1
	v_lshrrev_b32_e32 v10, 4, v0
	;; [unrolled: 1-line block ×3, first 2 shown]
	v_and_b32_e32 v14, 15, v9
	v_cmp_eq_u32_e64 s[10:11], 3, v12
	v_cmp_eq_u32_e64 s[12:13], 2, v12
	;; [unrolled: 1-line block ×3, first 2 shown]
	v_cmp_eq_u32_e32 vcc, 0, v12
	v_cndmask_b32_e64 v12, v20, v9, s[26:27]
	v_cmp_eq_u32_e64 s[34:35], v0, v15
	v_and_b32_e32 v15, 0xffffffc, v1
	s_movk_i32 s38, 0x100
	v_and_b32_e32 v8, 28, v10
	v_and_b32_e32 v10, 7, v9
	v_cmp_eq_u32_e64 s[16:17], 0, v14
	v_cmp_lt_u32_e64 s[18:19], 1, v14
	v_cmp_lt_u32_e64 s[20:21], 3, v14
	;; [unrolled: 1-line block ×3, first 2 shown]
	v_or_b32_e32 v14, v11, v13
	v_add_u32_e32 v11, 48, v11
	v_lshlrev_b32_e32 v7, 4, v0
	v_mul_i32_i24_e32 v16, -12, v0
	v_cmp_eq_u32_e64 s[26:27], 0, v10
	v_cmp_lt_u32_e64 s[28:29], 1, v10
	v_cmp_lt_u32_e64 s[30:31], 3, v10
	v_lshlrev_b32_e32 v10, 2, v14
	v_and_or_b32 v14, v11, 63, v13
	v_mov_b32_e32 v3, 0
	s_movk_i32 s40, 0xff
	s_movk_i32 s41, 0x80
	s_mov_b32 s44, 0xffff
	s_mov_b32 s45, 10
	;; [unrolled: 1-line block ×7, first 2 shown]
	s_movk_i32 s51, 0xff00
	v_mov_b32_e32 v6, 20
	v_cmp_gt_u32_e64 s[0:1], 5, v0
	v_cmp_lt_u32_e64 s[2:3], 63, v0
	v_cmp_eq_u32_e64 s[4:5], 0, v0
	v_cmp_lt_u32_e64 s[6:7], 31, v9
	v_add_u32_e32 v9, -4, v8
	v_lshlrev_b32_e32 v11, 2, v12
	v_add_u32_e32 v12, 64, v10
	v_or_b32_e32 v13, 0x80, v10
	v_lshlrev_b32_e32 v14, 2, v14
	v_add_u32_e32 v16, v7, v16
	s_waitcnt vmcnt(3)
	v_add_u16_e32 v1, 1, v5
	s_waitcnt vmcnt(2)
	v_lshlrev_b16_e32 v2, 8, v17
	s_waitcnt vmcnt(1)
	v_add_u16_e32 v19, 1, v4
	s_waitcnt vmcnt(0)
	v_lshlrev_b16_e32 v20, 8, v18
	v_or_b32_sdwa v1, v2, v1 dst_sel:DWORD dst_unused:UNUSED_PAD src0_sel:DWORD src1_sel:BYTE_0
	v_or_b32_sdwa v2, v20, v19 dst_sel:DWORD dst_unused:UNUSED_PAD src0_sel:DWORD src1_sel:BYTE_0
	v_add_u16_e32 v1, 0x100, v1
	v_add_u16_sdwa v2, v2, s38 dst_sel:WORD_1 dst_unused:UNUSED_PAD src0_sel:DWORD src1_sel:DWORD
	v_or_b32_e32 v1, v1, v2
	s_branch .LBB85_2
.LBB85_1:                               ;   in Loop: Header=BB85_2 Depth=1
	s_or_b64 exec, exec, s[36:37]
	v_cndmask_b32_sdwa v18, v3, v18, vcc dst_sel:DWORD dst_unused:UNUSED_PAD src0_sel:DWORD src1_sel:BYTE_0
	v_and_b32_e32 v19, 0xff, v19
	v_cndmask_b32_e64 v18, v18, v19, s[14:15]
	v_and_b32_e32 v19, 0xff, v36
	v_cndmask_b32_e64 v18, v18, v19, s[12:13]
	v_perm_b32 v19, v37, v18, s46
	v_cndmask_b32_e64 v18, v18, v19, s[10:11]
	v_perm_b32 v19, v18, v32, s49
	v_cndmask_b32_e32 v18, v18, v19, vcc
	v_perm_b32 v19, v18, v33, s49
	v_cndmask_b32_e64 v18, v18, v19, s[14:15]
	v_perm_b32 v19, v18, v34, s49
	v_cndmask_b32_e64 v18, v18, v19, s[12:13]
	;; [unrolled: 2-line block ×3, first 2 shown]
	v_perm_b32 v19, v31, v18, s48
	v_lshlrev_b32_e32 v19, 16, v19
	v_and_or_b32 v19, v18, s44, v19
	v_cndmask_b32_e32 v18, v18, v19, vcc
	v_perm_b32 v19, v28, v18, s48
	v_lshlrev_b32_e32 v19, 16, v19
	v_and_or_b32 v19, v18, s44, v19
	v_cndmask_b32_e64 v18, v18, v19, s[14:15]
	v_perm_b32 v19, v29, v18, s48
	v_lshlrev_b32_e32 v19, 16, v19
	v_and_or_b32 v19, v18, s44, v19
	s_waitcnt lgkmcnt(0)
	v_add_u32_e32 v5, v48, v5
	v_cndmask_b32_e64 v18, v18, v19, s[12:13]
	ds_bpermute_b32 v5, v11, v5
	v_perm_b32 v19, v30, v18, s48
	v_lshlrev_b32_e32 v19, 16, v19
	v_and_or_b32 v19, v18, s44, v19
	v_cndmask_b32_e64 v18, v18, v19, s[10:11]
	v_perm_b32 v19, v18, v25, s50
	s_waitcnt lgkmcnt(0)
	v_cndmask_b32_e64 v5, v5, v48, s[8:9]
	v_lshlrev_b32_e32 v19, 16, v19
	v_cndmask_b32_e64 v5, v5, 0, s[4:5]
	v_and_or_b32 v19, v18, s44, v19
	v_add_u32_e32 v1, v5, v1
	v_cndmask_b32_e32 v18, v18, v19, vcc
	v_add_u32_e32 v2, v1, v2
	v_perm_b32 v19, v18, v22, s50
	v_add_u32_e32 v4, v2, v4
	v_lshlrev_b32_e32 v19, 16, v19
	ds_write2_b32 v7, v5, v1 offset0:5 offset1:6
	ds_write2_b32 v7, v2, v4 offset0:7 offset1:8
	s_waitcnt lgkmcnt(0)
	s_barrier
	ds_read_b32 v1, v21 offset:20
	ds_read_b32 v2, v39 offset:20
	;; [unrolled: 1-line block ×4, first 2 shown]
	v_and_or_b32 v19, v18, s44, v19
	v_cndmask_b32_e64 v18, v18, v19, s[14:15]
	v_perm_b32 v19, v18, v23, s50
	v_lshlrev_b32_e32 v19, 16, v19
	v_and_or_b32 v19, v18, s44, v19
	s_waitcnt lgkmcnt(3)
	v_add_u32_e32 v1, v1, v20
	s_waitcnt lgkmcnt(2)
	v_add3_u32 v2, v38, v27, v2
	s_waitcnt lgkmcnt(1)
	v_add3_u32 v4, v42, v41, v4
	;; [unrolled: 2-line block ×3, first 2 shown]
	v_cndmask_b32_e64 v18, v18, v19, s[12:13]
	s_barrier
	ds_write_b8 v1, v17
	ds_write_b8 v2, v26
	;; [unrolled: 1-line block ×4, first 2 shown]
	s_waitcnt lgkmcnt(0)
	s_barrier
	ds_read_b32 v17, v16
	v_perm_b32 v19, v18, v24, s50
	v_lshlrev_b32_e32 v19, 16, v19
	v_and_or_b32 v19, v18, s44, v19
	v_cndmask_b32_e64 v18, v18, v19, s[10:11]
	v_lshrrev_b32_e32 v19, 8, v18
	v_lshrrev_b32_e32 v22, 24, v18
	s_waitcnt lgkmcnt(0)
	s_barrier
	ds_write_b8 v1, v18
	ds_write_b8 v2, v19
	ds_write_b8_d16_hi v4, v18
	ds_write_b8 v5, v22
	v_and_b32_e32 v2, 0xffffff00, v17
	v_xor_b32_e32 v4, 0x80, v17
	v_or_b32_sdwa v2, v4, v2 dst_sel:DWORD dst_unused:UNUSED_PAD src0_sel:BYTE_0 src1_sel:DWORD
	v_add_u16_e32 v5, 0x8000, v2
	v_and_b32_sdwa v2, v17, s51 dst_sel:DWORD dst_unused:UNUSED_PAD src0_sel:WORD_1 src1_sel:DWORD
	v_xor_b32_sdwa v4, v17, s41 dst_sel:DWORD dst_unused:UNUSED_PAD src0_sel:WORD_1 src1_sel:DWORD
	s_waitcnt lgkmcnt(0)
	s_barrier
	ds_read_b32 v1, v16
	v_or_b32_sdwa v2, v4, v2 dst_sel:DWORD dst_unused:UNUSED_PAD src0_sel:BYTE_0 src1_sel:DWORD
	v_add_u16_e32 v4, 0x8000, v2
	v_lshlrev_b32_e32 v2, 16, v4
	v_or_b32_e32 v17, v5, v2
	s_add_i32 s45, s45, -1
	v_lshrrev_b32_e32 v17, 8, v17
	s_cmp_eq_u32 s45, 0
	v_lshrrev_b32_e32 v18, 24, v2
	s_cbranch_scc1 .LBB85_16
.LBB85_2:                               ; =>This Inner Loop Header: Depth=1
	v_xor_b32_e32 v2, 0x80, v5
	v_xor_b32_e32 v5, 0x80, v17
	v_and_b32_e32 v2, 0xff, v2
	ds_bpermute_b32 v17, v10, v2
	v_xor_b32_e32 v4, 0x80, v4
	v_and_b32_e32 v5, 0xff, v5
	ds_bpermute_b32 v19, v10, v5
	v_and_b32_e32 v4, 0xff, v4
	ds_bpermute_b32 v20, v10, v4
	v_xor_b32_e32 v18, 0x80, v18
	v_and_b32_e32 v18, 0xff, v18
	s_waitcnt lgkmcnt(2)
	v_and_b32_e32 v17, 0xff, v17
	ds_bpermute_b32 v21, v10, v18
	v_cndmask_b32_e32 v17, 0, v17, vcc
	s_waitcnt lgkmcnt(2)
	v_and_b32_e32 v19, 0xff, v19
	v_cndmask_b32_e64 v17, v17, v19, s[14:15]
	s_waitcnt lgkmcnt(1)
	v_and_b32_e32 v19, 0xff, v20
	ds_bpermute_b32 v20, v12, v2
	v_cndmask_b32_e64 v17, v17, v19, s[12:13]
	s_waitcnt lgkmcnt(1)
	v_perm_b32 v19, v21, v17, s46
	v_cndmask_b32_e64 v17, v17, v19, s[10:11]
	ds_bpermute_b32 v19, v12, v5
	s_waitcnt lgkmcnt(1)
	v_lshlrev_b16_e32 v20, 8, v20
	v_or_b32_sdwa v20, v17, v20 dst_sel:DWORD dst_unused:UNUSED_PAD src0_sel:BYTE_0 src1_sel:DWORD
	v_and_b32_e32 v20, 0xffff, v20
	v_cndmask_b32_e32 v17, v17, v20, vcc
	ds_bpermute_b32 v20, v12, v4
	s_waitcnt lgkmcnt(1)
	v_lshlrev_b16_e32 v19, 8, v19
	v_or_b32_sdwa v19, v17, v19 dst_sel:DWORD dst_unused:UNUSED_PAD src0_sel:BYTE_0 src1_sel:DWORD
	v_and_b32_e32 v19, 0xffff, v19
	v_and_or_b32 v19, v17, s47, v19
	v_cndmask_b32_e64 v17, v17, v19, s[14:15]
	s_waitcnt lgkmcnt(0)
	v_lshlrev_b16_e32 v19, 8, v20
	ds_bpermute_b32 v20, v12, v18
	v_or_b32_sdwa v19, v17, v19 dst_sel:DWORD dst_unused:UNUSED_PAD src0_sel:BYTE_0 src1_sel:DWORD
	v_and_b32_e32 v19, 0xffff, v19
	v_and_or_b32 v19, v17, s47, v19
	v_cndmask_b32_e64 v17, v17, v19, s[12:13]
	s_waitcnt lgkmcnt(0)
	v_lshlrev_b16_e32 v19, 8, v20
	ds_bpermute_b32 v20, v13, v2
	v_or_b32_sdwa v19, v17, v19 dst_sel:DWORD dst_unused:UNUSED_PAD src0_sel:BYTE_0 src1_sel:DWORD
	v_and_b32_e32 v19, 0xffff, v19
	v_and_or_b32 v19, v17, s47, v19
	v_cndmask_b32_e64 v17, v17, v19, s[10:11]
	ds_bpermute_b32 v19, v13, v5
	s_waitcnt lgkmcnt(1)
	v_perm_b32 v20, v20, v17, s48
	v_lshlrev_b32_e32 v20, 16, v20
	v_and_or_b32 v20, v17, s44, v20
	v_cndmask_b32_e32 v17, v17, v20, vcc
	ds_bpermute_b32 v20, v13, v4
	s_waitcnt lgkmcnt(1)
	v_perm_b32 v19, v19, v17, s48
	v_lshlrev_b32_e32 v19, 16, v19
	v_and_or_b32 v19, v17, s44, v19
	v_cndmask_b32_e64 v17, v17, v19, s[14:15]
	ds_bpermute_b32 v19, v13, v18
	s_waitcnt lgkmcnt(1)
	v_perm_b32 v20, v20, v17, s48
	v_lshlrev_b32_e32 v20, 16, v20
	v_and_or_b32 v20, v17, s44, v20
	v_cndmask_b32_e64 v17, v17, v20, s[12:13]
	;; [unrolled: 6-line block ×3, first 2 shown]
	ds_bpermute_b32 v5, v14, v5
	v_and_b32_sdwa v19, v17, s40 dst_sel:DWORD dst_unused:UNUSED_PAD src0_sel:WORD_1 src1_sel:DWORD
	s_waitcnt lgkmcnt(1)
	v_lshlrev_b16_e32 v2, 8, v2
	v_or_b32_sdwa v2, v19, v2 dst_sel:WORD_1 dst_unused:UNUSED_PAD src0_sel:DWORD src1_sel:DWORD
	v_and_or_b32 v2, v17, s44, v2
	v_cndmask_b32_e32 v2, v17, v2, vcc
	ds_bpermute_b32 v4, v14, v4
	v_and_b32_sdwa v17, v2, s40 dst_sel:DWORD dst_unused:UNUSED_PAD src0_sel:WORD_1 src1_sel:DWORD
	s_waitcnt lgkmcnt(1)
	v_lshlrev_b16_e32 v5, 8, v5
	v_or_b32_sdwa v5, v17, v5 dst_sel:WORD_1 dst_unused:UNUSED_PAD src0_sel:DWORD src1_sel:DWORD
	v_and_or_b32 v5, v2, s44, v5
	v_cndmask_b32_e64 v2, v2, v5, s[14:15]
	ds_bpermute_b32 v17, v14, v18
	v_and_b32_sdwa v5, v2, s40 dst_sel:DWORD dst_unused:UNUSED_PAD src0_sel:WORD_1 src1_sel:DWORD
	s_waitcnt lgkmcnt(1)
	v_lshlrev_b16_e32 v4, 8, v4
	v_or_b32_sdwa v4, v5, v4 dst_sel:WORD_1 dst_unused:UNUSED_PAD src0_sel:DWORD src1_sel:DWORD
	v_and_or_b32 v4, v2, s44, v4
	v_cndmask_b32_e64 v2, v2, v4, s[12:13]
	v_and_b32_sdwa v4, v2, s40 dst_sel:DWORD dst_unused:UNUSED_PAD src0_sel:WORD_1 src1_sel:DWORD
	s_waitcnt lgkmcnt(0)
	v_lshlrev_b16_e32 v5, 8, v17
	v_or_b32_sdwa v4, v4, v5 dst_sel:WORD_1 dst_unused:UNUSED_PAD src0_sel:DWORD src1_sel:DWORD
	v_and_or_b32 v4, v2, s44, v4
	v_cndmask_b32_e64 v17, v2, v4, s[10:11]
	v_and_b32_e32 v5, 0xff, v1
	v_bfe_u32 v20, v1, 8, 8
	v_bfe_u32 v21, v1, 16, 8
	v_lshrrev_b32_e32 v24, 24, v1
	v_and_b32_e32 v1, 1, v17
	v_add_co_u32_e64 v2, s[36:37], -1, v1
	v_addc_co_u32_e64 v4, s[36:37], 0, -1, s[36:37]
	v_cmp_ne_u32_e64 s[36:37], 0, v1
	v_xor_b32_e32 v1, s37, v4
	v_lshlrev_b32_e32 v4, 30, v17
	v_xor_b32_e32 v2, s36, v2
	v_cmp_gt_i64_e64 s[36:37], 0, v[3:4]
	v_not_b32_e32 v4, v4
	v_ashrrev_i32_e32 v4, 31, v4
	v_and_b32_e32 v2, exec_lo, v2
	v_xor_b32_e32 v22, s37, v4
	v_xor_b32_e32 v4, s36, v4
	v_and_b32_e32 v2, v2, v4
	v_lshlrev_b32_e32 v4, 29, v17
	v_cmp_gt_i64_e64 s[36:37], 0, v[3:4]
	v_not_b32_e32 v4, v4
	v_and_b32_e32 v1, exec_hi, v1
	v_ashrrev_i32_e32 v4, 31, v4
	v_and_b32_e32 v1, v1, v22
	v_xor_b32_e32 v22, s37, v4
	v_xor_b32_e32 v4, s36, v4
	v_and_b32_e32 v2, v2, v4
	v_lshlrev_b32_e32 v4, 28, v17
	v_cmp_gt_i64_e64 s[36:37], 0, v[3:4]
	v_not_b32_e32 v4, v4
	v_ashrrev_i32_e32 v4, 31, v4
	v_and_b32_e32 v1, v1, v22
	v_xor_b32_e32 v22, s37, v4
	v_xor_b32_e32 v4, s36, v4
	v_and_b32_e32 v2, v2, v4
	v_lshlrev_b32_e32 v4, 27, v17
	v_cmp_gt_i64_e64 s[36:37], 0, v[3:4]
	v_not_b32_e32 v4, v4
	;; [unrolled: 8-line block ×4, first 2 shown]
	v_ashrrev_i32_e32 v4, 31, v4
	v_and_b32_e32 v1, v1, v22
	v_xor_b32_e32 v22, s37, v4
	v_xor_b32_e32 v4, s36, v4
	v_and_b32_e32 v1, v1, v22
	v_and_b32_e32 v22, v2, v4
	v_lshlrev_b32_e32 v4, 24, v17
	v_cmp_gt_i64_e64 s[36:37], 0, v[3:4]
	v_not_b32_e32 v2, v4
	v_ashrrev_i32_e32 v2, 31, v2
	v_xor_b32_e32 v4, s37, v2
	v_xor_b32_e32 v23, s36, v2
	ds_bpermute_b32 v18, v10, v5
	ds_bpermute_b32 v19, v10, v20
	v_and_b32_e32 v2, v1, v4
	v_and_b32_e32 v1, v22, v23
	ds_bpermute_b32 v32, v12, v5
	ds_bpermute_b32 v31, v13, v5
	;; [unrolled: 1-line block ×14, first 2 shown]
	v_mbcnt_lo_u32_b32 v4, v1, 0
	v_mbcnt_hi_u32_b32 v20, v2, v4
	v_cmp_ne_u64_e64 s[36:37], 0, v[1:2]
	v_cmp_eq_u32_e64 s[38:39], 0, v20
	v_mul_u32_u24_sdwa v4, v17, v6 dst_sel:DWORD dst_unused:UNUSED_PAD src0_sel:BYTE_0 src1_sel:DWORD
	s_and_b64 s[38:39], s[36:37], s[38:39]
	v_add_u32_e32 v21, v15, v4
	s_waitcnt lgkmcnt(0)
	s_barrier
	ds_write2_b32 v7, v3, v3 offset0:5 offset1:6
	ds_write2_b32 v7, v3, v3 offset0:7 offset1:8
	s_waitcnt lgkmcnt(0)
	s_barrier
	; wave barrier
	s_and_saveexec_b64 s[36:37], s[38:39]
; %bb.3:                                ;   in Loop: Header=BB85_2 Depth=1
	v_bcnt_u32_b32 v1, v1, 0
	v_bcnt_u32_b32 v1, v2, v1
	ds_write_b32 v21, v1 offset:20
; %bb.4:                                ;   in Loop: Header=BB85_2 Depth=1
	s_or_b64 exec, exec, s[36:37]
	v_bfe_u32 v1, v17, 8, 8
	v_mul_u32_u24_e32 v5, 20, v1
	v_mad_u32_u24 v1, v1, 20, v15
	; wave barrier
	ds_read_b32 v27, v1 offset:20
	v_bfe_u32 v1, v17, 8, 1
	v_add_co_u32_e64 v2, s[36:37], -1, v1
	v_addc_co_u32_e64 v4, s[36:37], 0, -1, s[36:37]
	v_lshrrev_b32_e32 v26, 8, v17
	v_cmp_ne_u32_e64 s[36:37], 0, v1
	v_xor_b32_e32 v1, s37, v4
	v_lshlrev_b32_e32 v4, 30, v26
	v_xor_b32_e32 v2, s36, v2
	v_cmp_gt_i64_e64 s[36:37], 0, v[3:4]
	v_not_b32_e32 v4, v4
	v_ashrrev_i32_e32 v4, 31, v4
	v_and_b32_e32 v2, exec_lo, v2
	v_xor_b32_e32 v38, s37, v4
	v_xor_b32_e32 v4, s36, v4
	v_and_b32_e32 v2, v2, v4
	v_lshlrev_b32_e32 v4, 29, v26
	v_cmp_gt_i64_e64 s[36:37], 0, v[3:4]
	v_not_b32_e32 v4, v4
	v_and_b32_e32 v1, exec_hi, v1
	v_ashrrev_i32_e32 v4, 31, v4
	v_and_b32_e32 v1, v1, v38
	v_xor_b32_e32 v38, s37, v4
	v_xor_b32_e32 v4, s36, v4
	v_and_b32_e32 v2, v2, v4
	v_lshlrev_b32_e32 v4, 28, v26
	v_cmp_gt_i64_e64 s[36:37], 0, v[3:4]
	v_not_b32_e32 v4, v4
	v_ashrrev_i32_e32 v4, 31, v4
	v_and_b32_e32 v1, v1, v38
	v_xor_b32_e32 v38, s37, v4
	v_xor_b32_e32 v4, s36, v4
	v_and_b32_e32 v2, v2, v4
	v_lshlrev_b32_e32 v4, 27, v26
	v_cmp_gt_i64_e64 s[36:37], 0, v[3:4]
	v_not_b32_e32 v4, v4
	;; [unrolled: 8-line block ×4, first 2 shown]
	v_ashrrev_i32_e32 v4, 31, v4
	v_and_b32_e32 v1, v1, v38
	v_xor_b32_e32 v38, s37, v4
	v_xor_b32_e32 v4, s36, v4
	v_and_b32_e32 v1, v1, v38
	v_and_b32_e32 v38, v2, v4
	v_lshlrev_b32_e32 v4, 24, v26
	v_cmp_gt_i64_e64 s[36:37], 0, v[3:4]
	v_not_b32_e32 v2, v4
	v_ashrrev_i32_e32 v2, 31, v2
	v_xor_b32_e32 v4, s37, v2
	v_xor_b32_e32 v39, s36, v2
	v_and_b32_e32 v2, v1, v4
	v_and_b32_e32 v1, v38, v39
	v_mbcnt_lo_u32_b32 v4, v1, 0
	v_mbcnt_hi_u32_b32 v38, v2, v4
	v_cmp_ne_u64_e64 s[36:37], 0, v[1:2]
	v_cmp_eq_u32_e64 s[38:39], 0, v38
	s_and_b64 s[38:39], s[36:37], s[38:39]
	v_add_u32_e32 v39, v15, v5
	; wave barrier
	s_and_saveexec_b64 s[36:37], s[38:39]
	s_cbranch_execz .LBB85_6
; %bb.5:                                ;   in Loop: Header=BB85_2 Depth=1
	v_bcnt_u32_b32 v1, v1, 0
	v_bcnt_u32_b32 v1, v2, v1
	s_waitcnt lgkmcnt(0)
	v_add_u32_e32 v1, v27, v1
	ds_write_b32 v39, v1 offset:20
.LBB85_6:                               ;   in Loop: Header=BB85_2 Depth=1
	s_or_b64 exec, exec, s[36:37]
	v_bfe_u32 v1, v17, 16, 8
	v_mul_u32_u24_e32 v5, 20, v1
	v_mad_u32_u24 v1, v1, 20, v15
	; wave barrier
	ds_read_b32 v41, v1 offset:20
	v_bfe_u32 v1, v17, 16, 1
	v_add_co_u32_e64 v2, s[36:37], -1, v1
	v_addc_co_u32_e64 v4, s[36:37], 0, -1, s[36:37]
	v_lshrrev_b32_e32 v40, 16, v17
	v_cmp_ne_u32_e64 s[36:37], 0, v1
	v_xor_b32_e32 v1, s37, v4
	v_lshlrev_b32_e32 v4, 30, v40
	v_xor_b32_e32 v2, s36, v2
	v_cmp_gt_i64_e64 s[36:37], 0, v[3:4]
	v_not_b32_e32 v4, v4
	v_ashrrev_i32_e32 v4, 31, v4
	v_and_b32_e32 v2, exec_lo, v2
	v_xor_b32_e32 v42, s37, v4
	v_xor_b32_e32 v4, s36, v4
	v_and_b32_e32 v2, v2, v4
	v_lshlrev_b32_e32 v4, 29, v40
	v_cmp_gt_i64_e64 s[36:37], 0, v[3:4]
	v_not_b32_e32 v4, v4
	v_and_b32_e32 v1, exec_hi, v1
	v_ashrrev_i32_e32 v4, 31, v4
	v_and_b32_e32 v1, v1, v42
	v_xor_b32_e32 v42, s37, v4
	v_xor_b32_e32 v4, s36, v4
	v_and_b32_e32 v2, v2, v4
	v_lshlrev_b32_e32 v4, 28, v40
	v_cmp_gt_i64_e64 s[36:37], 0, v[3:4]
	v_not_b32_e32 v4, v4
	v_ashrrev_i32_e32 v4, 31, v4
	v_and_b32_e32 v1, v1, v42
	v_xor_b32_e32 v42, s37, v4
	v_xor_b32_e32 v4, s36, v4
	v_and_b32_e32 v2, v2, v4
	v_lshlrev_b32_e32 v4, 27, v40
	v_cmp_gt_i64_e64 s[36:37], 0, v[3:4]
	v_not_b32_e32 v4, v4
	v_ashrrev_i32_e32 v4, 31, v4
	v_and_b32_e32 v1, v1, v42
	v_xor_b32_e32 v42, s37, v4
	v_xor_b32_e32 v4, s36, v4
	v_and_b32_e32 v2, v2, v4
	v_lshlrev_b32_e32 v4, 26, v40
	v_cmp_gt_i64_e64 s[36:37], 0, v[3:4]
	v_not_b32_e32 v4, v4
	v_ashrrev_i32_e32 v4, 31, v4
	v_and_b32_e32 v1, v1, v42
	v_xor_b32_e32 v42, s37, v4
	v_xor_b32_e32 v4, s36, v4
	v_and_b32_e32 v2, v2, v4
	v_lshlrev_b32_e32 v4, 25, v40
	v_cmp_gt_i64_e64 s[36:37], 0, v[3:4]
	v_not_b32_e32 v4, v4
	v_ashrrev_i32_e32 v4, 31, v4
	v_and_b32_e32 v1, v1, v42
	v_xor_b32_e32 v42, s37, v4
	v_xor_b32_e32 v4, s36, v4
	v_and_b32_e32 v1, v1, v42
	v_and_b32_e32 v42, v2, v4
	v_lshlrev_b32_e32 v4, 24, v40
	v_cmp_gt_i64_e64 s[36:37], 0, v[3:4]
	v_not_b32_e32 v2, v4
	v_ashrrev_i32_e32 v2, 31, v2
	v_xor_b32_e32 v4, s37, v2
	v_xor_b32_e32 v43, s36, v2
	v_and_b32_e32 v2, v1, v4
	v_and_b32_e32 v1, v42, v43
	v_mbcnt_lo_u32_b32 v4, v1, 0
	v_mbcnt_hi_u32_b32 v42, v2, v4
	v_cmp_ne_u64_e64 s[36:37], 0, v[1:2]
	v_cmp_eq_u32_e64 s[38:39], 0, v42
	s_and_b64 s[38:39], s[36:37], s[38:39]
	v_add_u32_e32 v43, v15, v5
	; wave barrier
	s_and_saveexec_b64 s[36:37], s[38:39]
	s_cbranch_execz .LBB85_8
; %bb.7:                                ;   in Loop: Header=BB85_2 Depth=1
	v_bcnt_u32_b32 v1, v1, 0
	v_bcnt_u32_b32 v1, v2, v1
	s_waitcnt lgkmcnt(0)
	v_add_u32_e32 v1, v41, v1
	ds_write_b32 v43, v1 offset:20
.LBB85_8:                               ;   in Loop: Header=BB85_2 Depth=1
	s_or_b64 exec, exec, s[36:37]
	v_lshrrev_b32_e32 v44, 24, v17
	v_mad_u32_u24 v1, v44, 20, v15
	; wave barrier
	ds_read_b32 v45, v1 offset:20
	v_bfe_u32 v1, v17, 24, 1
	v_add_co_u32_e64 v2, s[36:37], -1, v1
	v_addc_co_u32_e64 v4, s[36:37], 0, -1, s[36:37]
	v_cmp_ne_u32_e64 s[36:37], 0, v1
	v_xor_b32_e32 v1, s37, v4
	v_lshlrev_b32_e32 v4, 30, v44
	v_xor_b32_e32 v2, s36, v2
	v_cmp_gt_i64_e64 s[36:37], 0, v[3:4]
	v_not_b32_e32 v4, v4
	v_ashrrev_i32_e32 v4, 31, v4
	v_and_b32_e32 v2, exec_lo, v2
	v_xor_b32_e32 v46, s37, v4
	v_xor_b32_e32 v4, s36, v4
	v_and_b32_e32 v2, v2, v4
	v_lshlrev_b32_e32 v4, 29, v44
	v_cmp_gt_i64_e64 s[36:37], 0, v[3:4]
	v_not_b32_e32 v4, v4
	v_and_b32_e32 v1, exec_hi, v1
	v_ashrrev_i32_e32 v4, 31, v4
	v_and_b32_e32 v1, v1, v46
	v_xor_b32_e32 v46, s37, v4
	v_xor_b32_e32 v4, s36, v4
	v_and_b32_e32 v2, v2, v4
	v_lshlrev_b32_e32 v4, 28, v44
	v_cmp_gt_i64_e64 s[36:37], 0, v[3:4]
	v_not_b32_e32 v4, v4
	v_ashrrev_i32_e32 v4, 31, v4
	v_and_b32_e32 v1, v1, v46
	v_xor_b32_e32 v46, s37, v4
	v_xor_b32_e32 v4, s36, v4
	v_and_b32_e32 v2, v2, v4
	v_lshlrev_b32_e32 v4, 27, v44
	v_cmp_gt_i64_e64 s[36:37], 0, v[3:4]
	v_not_b32_e32 v4, v4
	;; [unrolled: 8-line block ×4, first 2 shown]
	v_ashrrev_i32_e32 v4, 31, v4
	v_and_b32_e32 v1, v1, v46
	v_xor_b32_e32 v46, s37, v4
	v_xor_b32_e32 v4, s36, v4
	v_and_b32_e32 v1, v1, v46
	v_and_b32_e32 v46, v2, v4
	;; [unrolled: 1-line block ×3, first 2 shown]
	v_cmp_gt_i64_e64 s[36:37], 0, v[3:4]
	v_not_b32_e32 v2, v4
	v_ashrrev_i32_e32 v2, 31, v2
	v_xor_b32_e32 v4, s37, v2
	v_xor_b32_e32 v47, s36, v2
	v_and_b32_e32 v2, v1, v4
	v_and_b32_e32 v1, v46, v47
	v_mbcnt_lo_u32_b32 v4, v1, 0
	v_mbcnt_hi_u32_b32 v46, v2, v4
	v_cmp_ne_u64_e64 s[36:37], 0, v[1:2]
	v_mul_u32_u24_e32 v5, 20, v44
	v_cmp_eq_u32_e64 s[38:39], 0, v46
	s_and_b64 s[38:39], s[36:37], s[38:39]
	v_add_u32_e32 v47, v15, v5
	; wave barrier
	s_and_saveexec_b64 s[36:37], s[38:39]
	s_cbranch_execz .LBB85_10
; %bb.9:                                ;   in Loop: Header=BB85_2 Depth=1
	v_bcnt_u32_b32 v1, v1, 0
	v_bcnt_u32_b32 v1, v2, v1
	s_waitcnt lgkmcnt(0)
	v_add_u32_e32 v1, v45, v1
	ds_write_b32 v47, v1 offset:20
.LBB85_10:                              ;   in Loop: Header=BB85_2 Depth=1
	s_or_b64 exec, exec, s[36:37]
	; wave barrier
	s_waitcnt lgkmcnt(0)
	s_barrier
	ds_read2_b32 v[1:2], v7 offset0:5 offset1:6
	ds_read2_b32 v[4:5], v7 offset0:7 offset1:8
	s_waitcnt lgkmcnt(1)
	v_add_u32_e32 v48, v2, v1
	s_waitcnt lgkmcnt(0)
	v_add3_u32 v5, v48, v4, v5
	s_nop 1
	v_mov_b32_dpp v48, v5 row_shr:1 row_mask:0xf bank_mask:0xf
	v_cndmask_b32_e64 v48, v48, 0, s[16:17]
	v_add_u32_e32 v5, v48, v5
	s_nop 1
	v_mov_b32_dpp v48, v5 row_shr:2 row_mask:0xf bank_mask:0xf
	v_cndmask_b32_e64 v48, 0, v48, s[18:19]
	v_add_u32_e32 v5, v5, v48
	;; [unrolled: 4-line block ×4, first 2 shown]
	s_nop 1
	v_mov_b32_dpp v48, v5 row_bcast:15 row_mask:0xf bank_mask:0xf
	v_cndmask_b32_e64 v48, v48, 0, s[24:25]
	v_add_u32_e32 v5, v5, v48
	s_nop 1
	v_mov_b32_dpp v48, v5 row_bcast:31 row_mask:0xf bank_mask:0xf
	v_cndmask_b32_e64 v48, 0, v48, s[6:7]
	v_add_u32_e32 v5, v5, v48
	s_and_saveexec_b64 s[36:37], s[34:35]
; %bb.11:                               ;   in Loop: Header=BB85_2 Depth=1
	ds_write_b32 v8, v5
; %bb.12:                               ;   in Loop: Header=BB85_2 Depth=1
	s_or_b64 exec, exec, s[36:37]
	s_waitcnt lgkmcnt(0)
	s_barrier
	s_and_saveexec_b64 s[36:37], s[0:1]
	s_cbranch_execz .LBB85_14
; %bb.13:                               ;   in Loop: Header=BB85_2 Depth=1
	ds_read_b32 v48, v16
	s_waitcnt lgkmcnt(0)
	s_nop 0
	v_mov_b32_dpp v49, v48 row_shr:1 row_mask:0xf bank_mask:0xf
	v_cndmask_b32_e64 v49, v49, 0, s[26:27]
	v_add_u32_e32 v48, v49, v48
	s_nop 1
	v_mov_b32_dpp v49, v48 row_shr:2 row_mask:0xf bank_mask:0xf
	v_cndmask_b32_e64 v49, 0, v49, s[28:29]
	v_add_u32_e32 v48, v48, v49
	;; [unrolled: 4-line block ×3, first 2 shown]
	ds_write_b32 v16, v48
.LBB85_14:                              ;   in Loop: Header=BB85_2 Depth=1
	s_or_b64 exec, exec, s[36:37]
	v_mov_b32_e32 v48, 0
	s_waitcnt lgkmcnt(0)
	s_barrier
	s_and_saveexec_b64 s[36:37], s[2:3]
	s_cbranch_execz .LBB85_1
; %bb.15:                               ;   in Loop: Header=BB85_2 Depth=1
	ds_read_b32 v48, v9
	s_branch .LBB85_1
.LBB85_16:
	s_add_u32 s0, s42, s33
	s_addc_u32 s1, s43, 0
	s_waitcnt lgkmcnt(0)
	v_add_u16_e32 v2, v5, v1
	v_lshrrev_b32_e32 v3, 8, v1
	v_add_u16_sdwa v4, v4, v1 dst_sel:DWORD dst_unused:UNUSED_PAD src0_sel:DWORD src1_sel:WORD_1
	v_add_u16_sdwa v5, v18, v1 dst_sel:DWORD dst_unused:UNUSED_PAD src0_sel:DWORD src1_sel:BYTE_3
	v_mov_b32_e32 v1, s1
	v_add_co_u32_e32 v0, vcc, s0, v0
	v_addc_co_u32_e32 v1, vcc, 0, v1, vcc
	v_add_u16_e32 v3, v17, v3
	global_store_byte v[0:1], v2, off
	global_store_byte v[0:1], v3, off offset:320
	global_store_byte v[0:1], v4, off offset:640
	;; [unrolled: 1-line block ×3, first 2 shown]
	s_endpgm
	.section	.rodata,"a",@progbits
	.p2align	6, 0x0
	.amdhsa_kernel _Z17sort_pairs_kernelI22helper_blocked_blockedaLj320ELj4ELj10EEvPKT0_PS1_
		.amdhsa_group_segment_fixed_size 5152
		.amdhsa_private_segment_fixed_size 0
		.amdhsa_kernarg_size 272
		.amdhsa_user_sgpr_count 6
		.amdhsa_user_sgpr_private_segment_buffer 1
		.amdhsa_user_sgpr_dispatch_ptr 0
		.amdhsa_user_sgpr_queue_ptr 0
		.amdhsa_user_sgpr_kernarg_segment_ptr 1
		.amdhsa_user_sgpr_dispatch_id 0
		.amdhsa_user_sgpr_flat_scratch_init 0
		.amdhsa_user_sgpr_private_segment_size 0
		.amdhsa_uses_dynamic_stack 0
		.amdhsa_system_sgpr_private_segment_wavefront_offset 0
		.amdhsa_system_sgpr_workgroup_id_x 1
		.amdhsa_system_sgpr_workgroup_id_y 0
		.amdhsa_system_sgpr_workgroup_id_z 0
		.amdhsa_system_sgpr_workgroup_info 0
		.amdhsa_system_vgpr_workitem_id 2
		.amdhsa_next_free_vgpr 50
		.amdhsa_next_free_sgpr 52
		.amdhsa_reserve_vcc 1
		.amdhsa_reserve_flat_scratch 0
		.amdhsa_float_round_mode_32 0
		.amdhsa_float_round_mode_16_64 0
		.amdhsa_float_denorm_mode_32 3
		.amdhsa_float_denorm_mode_16_64 3
		.amdhsa_dx10_clamp 1
		.amdhsa_ieee_mode 1
		.amdhsa_fp16_overflow 0
		.amdhsa_exception_fp_ieee_invalid_op 0
		.amdhsa_exception_fp_denorm_src 0
		.amdhsa_exception_fp_ieee_div_zero 0
		.amdhsa_exception_fp_ieee_overflow 0
		.amdhsa_exception_fp_ieee_underflow 0
		.amdhsa_exception_fp_ieee_inexact 0
		.amdhsa_exception_int_div_zero 0
	.end_amdhsa_kernel
	.section	.text._Z17sort_pairs_kernelI22helper_blocked_blockedaLj320ELj4ELj10EEvPKT0_PS1_,"axG",@progbits,_Z17sort_pairs_kernelI22helper_blocked_blockedaLj320ELj4ELj10EEvPKT0_PS1_,comdat
.Lfunc_end85:
	.size	_Z17sort_pairs_kernelI22helper_blocked_blockedaLj320ELj4ELj10EEvPKT0_PS1_, .Lfunc_end85-_Z17sort_pairs_kernelI22helper_blocked_blockedaLj320ELj4ELj10EEvPKT0_PS1_
                                        ; -- End function
	.set _Z17sort_pairs_kernelI22helper_blocked_blockedaLj320ELj4ELj10EEvPKT0_PS1_.num_vgpr, 50
	.set _Z17sort_pairs_kernelI22helper_blocked_blockedaLj320ELj4ELj10EEvPKT0_PS1_.num_agpr, 0
	.set _Z17sort_pairs_kernelI22helper_blocked_blockedaLj320ELj4ELj10EEvPKT0_PS1_.numbered_sgpr, 52
	.set _Z17sort_pairs_kernelI22helper_blocked_blockedaLj320ELj4ELj10EEvPKT0_PS1_.num_named_barrier, 0
	.set _Z17sort_pairs_kernelI22helper_blocked_blockedaLj320ELj4ELj10EEvPKT0_PS1_.private_seg_size, 0
	.set _Z17sort_pairs_kernelI22helper_blocked_blockedaLj320ELj4ELj10EEvPKT0_PS1_.uses_vcc, 1
	.set _Z17sort_pairs_kernelI22helper_blocked_blockedaLj320ELj4ELj10EEvPKT0_PS1_.uses_flat_scratch, 0
	.set _Z17sort_pairs_kernelI22helper_blocked_blockedaLj320ELj4ELj10EEvPKT0_PS1_.has_dyn_sized_stack, 0
	.set _Z17sort_pairs_kernelI22helper_blocked_blockedaLj320ELj4ELj10EEvPKT0_PS1_.has_recursion, 0
	.set _Z17sort_pairs_kernelI22helper_blocked_blockedaLj320ELj4ELj10EEvPKT0_PS1_.has_indirect_call, 0
	.section	.AMDGPU.csdata,"",@progbits
; Kernel info:
; codeLenInByte = 4168
; TotalNumSgprs: 56
; NumVgprs: 50
; ScratchSize: 0
; MemoryBound: 0
; FloatMode: 240
; IeeeMode: 1
; LDSByteSize: 5152 bytes/workgroup (compile time only)
; SGPRBlocks: 6
; VGPRBlocks: 12
; NumSGPRsForWavesPerEU: 56
; NumVGPRsForWavesPerEU: 50
; Occupancy: 4
; WaveLimiterHint : 1
; COMPUTE_PGM_RSRC2:SCRATCH_EN: 0
; COMPUTE_PGM_RSRC2:USER_SGPR: 6
; COMPUTE_PGM_RSRC2:TRAP_HANDLER: 0
; COMPUTE_PGM_RSRC2:TGID_X_EN: 1
; COMPUTE_PGM_RSRC2:TGID_Y_EN: 0
; COMPUTE_PGM_RSRC2:TGID_Z_EN: 0
; COMPUTE_PGM_RSRC2:TIDIG_COMP_CNT: 2
	.section	.text._Z16sort_keys_kernelI22helper_blocked_blockedaLj320ELj8ELj10EEvPKT0_PS1_,"axG",@progbits,_Z16sort_keys_kernelI22helper_blocked_blockedaLj320ELj8ELj10EEvPKT0_PS1_,comdat
	.protected	_Z16sort_keys_kernelI22helper_blocked_blockedaLj320ELj8ELj10EEvPKT0_PS1_ ; -- Begin function _Z16sort_keys_kernelI22helper_blocked_blockedaLj320ELj8ELj10EEvPKT0_PS1_
	.globl	_Z16sort_keys_kernelI22helper_blocked_blockedaLj320ELj8ELj10EEvPKT0_PS1_
	.p2align	8
	.type	_Z16sort_keys_kernelI22helper_blocked_blockedaLj320ELj8ELj10EEvPKT0_PS1_,@function
_Z16sort_keys_kernelI22helper_blocked_blockedaLj320ELj8ELj10EEvPKT0_PS1_: ; @_Z16sort_keys_kernelI22helper_blocked_blockedaLj320ELj8ELj10EEvPKT0_PS1_
; %bb.0:
	s_load_dwordx4 s[28:31], s[4:5], 0x0
	s_load_dword s26, s[4:5], 0x1c
	s_mul_i32 s33, s6, 0xa00
	v_mbcnt_lo_u32_b32 v6, -1, 0
	v_mbcnt_hi_u32_b32 v10, -1, v6
	s_waitcnt lgkmcnt(0)
	s_add_u32 s0, s28, s33
	s_addc_u32 s1, s29, 0
	global_load_ubyte v4, v0, s[0:1] offset:320
	global_load_ubyte v5, v0, s[0:1] offset:640
	;; [unrolled: 1-line block ×5, first 2 shown]
	global_load_ubyte v17, v0, s[0:1]
	global_load_ubyte v18, v0, s[0:1] offset:1600
	global_load_ubyte v19, v0, s[0:1] offset:2240
	v_subrev_co_u32_e64 v21, s[4:5], 1, v10
	v_and_b32_e32 v22, 64, v10
	v_and_b32_e32 v9, 0x1c0, v0
	v_lshrrev_b32_e32 v11, 4, v0
	v_lshlrev_b32_e32 v12, 2, v0
	v_cmp_lt_i32_e64 s[24:25], v21, v22
	v_add_lshl_u32 v7, v10, v9, 3
	v_min_u32_e32 v25, 0x100, v9
	v_and_b32_e32 v9, 28, v11
	v_sub_u32_e32 v11, 0, v12
	v_cndmask_b32_e64 v12, v21, v10, s[24:25]
	s_lshr_b32 s24, s26, 16
	s_and_b32 s25, s26, 0xffff
	v_mad_u32_u24 v1, v2, s24, v1
	v_mad_u64_u32 v[1:2], s[24:25], v1, s25, v[0:1]
	v_and_b32_e32 v13, 15, v10
	s_mov_b32 s27, 0xc0c0004
	v_lshlrev_b32_e32 v8, 3, v0
	v_lshlrev_b32_e32 v6, 4, v0
	v_cmp_eq_u32_e64 s[8:9], 0, v13
	v_cmp_lt_u32_e64 s[10:11], 1, v13
	v_cmp_lt_u32_e64 s[12:13], 3, v13
	;; [unrolled: 1-line block ×3, first 2 shown]
	v_or_b32_e32 v13, 63, v25
	v_lshrrev_b32_e32 v1, 4, v1
	v_and_b32_e32 v20, 16, v10
	v_and_b32_e32 v23, 7, v10
	;; [unrolled: 1-line block ×3, first 2 shown]
	v_sub_u32_e32 v8, v6, v8
	v_cmp_eq_u32_e64 s[24:25], v0, v13
	v_and_b32_e32 v13, 0xffffffc, v1
	v_mov_b32_e32 v3, 0
	s_mov_b32 s34, 10
	s_movk_i32 s35, 0xff00
	s_movk_i32 s36, 0x80
	;; [unrolled: 1-line block ×3, first 2 shown]
	v_cmp_gt_u32_e32 vcc, 5, v0
	v_cmp_lt_u32_e64 s[0:1], 63, v0
	v_cmp_eq_u32_e64 s[2:3], 0, v0
	v_cmp_lt_u32_e64 s[6:7], 31, v10
	v_cmp_eq_u32_e64 s[16:17], 0, v20
	v_cmp_eq_u32_e64 s[18:19], 0, v23
	v_cmp_lt_u32_e64 s[20:21], 1, v23
	v_cmp_lt_u32_e64 s[22:23], 3, v23
	v_add_u32_e32 v10, v10, v24
	v_add_u32_e32 v11, v8, v11
	v_lshlrev_b32_e32 v12, 2, v12
	s_waitcnt vmcnt(5)
	v_perm_b32 v2, v5, v14, s27
	s_waitcnt vmcnt(2)
	v_perm_b32 v1, v17, v4, s27
	;; [unrolled: 2-line block ×4, first 2 shown]
	v_lshl_or_b32 v2, v2, 16, v1
	v_lshl_or_b32 v1, v5, 16, v4
	s_branch .LBB86_2
.LBB86_1:                               ;   in Loop: Header=BB86_2 Depth=1
	s_or_b64 exec, exec, s[26:27]
	s_waitcnt lgkmcnt(0)
	v_add_u32_e32 v2, v45, v2
	ds_bpermute_b32 v2, v12, v2
	s_add_i32 s34, s34, -1
	s_cmp_eq_u32 s34, 0
	s_waitcnt lgkmcnt(0)
	v_cndmask_b32_e64 v2, v2, v45, s[4:5]
	v_cndmask_b32_e64 v2, v2, 0, s[2:3]
	v_add_u32_e32 v4, v2, v4
	v_add_u32_e32 v5, v4, v5
	;; [unrolled: 1-line block ×3, first 2 shown]
	ds_write2_b32 v6, v2, v4 offset0:5 offset1:6
	ds_write2_b32 v6, v5, v1 offset0:7 offset1:8
	s_waitcnt lgkmcnt(0)
	s_barrier
	ds_read_b32 v1, v23 offset:20
	ds_read_b32 v2, v26 offset:20
	;; [unrolled: 1-line block ×8, first 2 shown]
	s_waitcnt lgkmcnt(7)
	v_add_u32_e32 v1, v1, v22
	s_waitcnt lgkmcnt(0)
	s_barrier
	ds_write_b8 v1, v21
	v_add3_u32 v1, v25, v24, v2
	ds_write_b8 v1, v20
	v_add3_u32 v1, v28, v27, v4
	;; [unrolled: 2-line block ×7, first 2 shown]
	ds_write_b8 v1, v14
	s_waitcnt lgkmcnt(0)
	s_barrier
	ds_read_b64 v[4:5], v8
	s_waitcnt lgkmcnt(0)
	v_and_b32_e32 v1, 0xffffff00, v4
	v_xor_b32_e32 v2, 0x80, v4
	v_or_b32_sdwa v1, v2, v1 dst_sel:DWORD dst_unused:UNUSED_PAD src0_sel:BYTE_0 src1_sel:DWORD
	v_and_b32_sdwa v2, v4, s35 dst_sel:DWORD dst_unused:UNUSED_PAD src0_sel:WORD_1 src1_sel:DWORD
	v_xor_b32_sdwa v4, v4, s36 dst_sel:DWORD dst_unused:UNUSED_PAD src0_sel:WORD_1 src1_sel:DWORD
	v_or_b32_sdwa v2, v4, v2 dst_sel:DWORD dst_unused:UNUSED_PAD src0_sel:BYTE_0 src1_sel:DWORD
	v_add_u16_e32 v1, 0x8000, v1
	v_add_u16_sdwa v2, v2, s37 dst_sel:WORD_1 dst_unused:UNUSED_PAD src0_sel:DWORD src1_sel:DWORD
	v_or_b32_e32 v2, v1, v2
	v_and_b32_e32 v1, 0xffffff00, v5
	v_xor_b32_e32 v4, 0x80, v5
	v_or_b32_sdwa v1, v4, v1 dst_sel:DWORD dst_unused:UNUSED_PAD src0_sel:BYTE_0 src1_sel:DWORD
	v_and_b32_sdwa v4, v5, s35 dst_sel:DWORD dst_unused:UNUSED_PAD src0_sel:WORD_1 src1_sel:DWORD
	v_xor_b32_sdwa v5, v5, s36 dst_sel:DWORD dst_unused:UNUSED_PAD src0_sel:WORD_1 src1_sel:DWORD
	v_or_b32_sdwa v4, v5, v4 dst_sel:DWORD dst_unused:UNUSED_PAD src0_sel:BYTE_0 src1_sel:DWORD
	v_add_u16_e32 v1, 0x8000, v1
	v_add_u16_sdwa v4, v4, s37 dst_sel:WORD_1 dst_unused:UNUSED_PAD src0_sel:DWORD src1_sel:DWORD
	v_or_b32_e32 v1, v1, v4
	s_cbranch_scc1 .LBB86_24
.LBB86_2:                               ; =>This Inner Loop Header: Depth=1
	v_and_b32_e32 v4, 0xffffff00, v2
	v_xor_b32_e32 v5, 0x80, v2
	v_or_b32_sdwa v4, v5, v4 dst_sel:DWORD dst_unused:UNUSED_PAD src0_sel:BYTE_0 src1_sel:DWORD
	v_and_b32_sdwa v5, v2, s35 dst_sel:DWORD dst_unused:UNUSED_PAD src0_sel:WORD_1 src1_sel:DWORD
	v_xor_b32_sdwa v2, v2, s36 dst_sel:DWORD dst_unused:UNUSED_PAD src0_sel:WORD_1 src1_sel:DWORD
	v_or_b32_sdwa v2, v2, v5 dst_sel:DWORD dst_unused:UNUSED_PAD src0_sel:BYTE_0 src1_sel:DWORD
	v_add_u16_e32 v4, 0x8000, v4
	v_add_u16_sdwa v2, v2, s37 dst_sel:WORD_1 dst_unused:UNUSED_PAD src0_sel:DWORD src1_sel:DWORD
	v_or_b32_e32 v4, v4, v2
	v_and_b32_e32 v2, 0xffffff00, v1
	v_xor_b32_e32 v5, 0x80, v1
	v_or_b32_sdwa v2, v5, v2 dst_sel:DWORD dst_unused:UNUSED_PAD src0_sel:BYTE_0 src1_sel:DWORD
	v_and_b32_sdwa v5, v1, s35 dst_sel:DWORD dst_unused:UNUSED_PAD src0_sel:WORD_1 src1_sel:DWORD
	v_xor_b32_sdwa v1, v1, s36 dst_sel:DWORD dst_unused:UNUSED_PAD src0_sel:WORD_1 src1_sel:DWORD
	v_or_b32_sdwa v1, v1, v5 dst_sel:DWORD dst_unused:UNUSED_PAD src0_sel:BYTE_0 src1_sel:DWORD
	v_add_u16_e32 v2, 0x8000, v2
	v_add_u16_sdwa v1, v1, s37 dst_sel:WORD_1 dst_unused:UNUSED_PAD src0_sel:DWORD src1_sel:DWORD
	v_or_b32_e32 v5, v2, v1
	v_mov_b32_e32 v1, 20
	ds_write_b64 v7, v[4:5]
	; wave barrier
	ds_read_u8 v21, v10
	ds_read_u8 v20, v10 offset:64
	ds_read_u8 v19, v10 offset:128
	;; [unrolled: 1-line block ×7, first 2 shown]
	s_waitcnt lgkmcnt(7)
	v_mul_u32_u24_sdwa v5, v21, v1 dst_sel:DWORD dst_unused:UNUSED_PAD src0_sel:BYTE_0 src1_sel:DWORD
	v_and_b32_e32 v1, 1, v21
	v_add_co_u32_e64 v2, s[26:27], -1, v1
	v_addc_co_u32_e64 v4, s[26:27], 0, -1, s[26:27]
	v_cmp_ne_u32_e64 s[26:27], 0, v1
	v_xor_b32_e32 v1, s27, v4
	v_lshlrev_b32_e32 v4, 30, v21
	v_xor_b32_e32 v2, s26, v2
	v_cmp_gt_i64_e64 s[26:27], 0, v[3:4]
	v_not_b32_e32 v4, v4
	v_ashrrev_i32_e32 v4, 31, v4
	v_and_b32_e32 v2, exec_lo, v2
	v_xor_b32_e32 v22, s27, v4
	v_xor_b32_e32 v4, s26, v4
	v_and_b32_e32 v2, v2, v4
	v_lshlrev_b32_e32 v4, 29, v21
	v_cmp_gt_i64_e64 s[26:27], 0, v[3:4]
	v_not_b32_e32 v4, v4
	v_and_b32_e32 v1, exec_hi, v1
	v_ashrrev_i32_e32 v4, 31, v4
	v_and_b32_e32 v1, v1, v22
	v_xor_b32_e32 v22, s27, v4
	v_xor_b32_e32 v4, s26, v4
	v_and_b32_e32 v2, v2, v4
	v_lshlrev_b32_e32 v4, 28, v21
	v_cmp_gt_i64_e64 s[26:27], 0, v[3:4]
	v_not_b32_e32 v4, v4
	v_ashrrev_i32_e32 v4, 31, v4
	v_and_b32_e32 v1, v1, v22
	v_xor_b32_e32 v22, s27, v4
	v_xor_b32_e32 v4, s26, v4
	v_and_b32_e32 v2, v2, v4
	v_lshlrev_b32_e32 v4, 27, v21
	v_cmp_gt_i64_e64 s[26:27], 0, v[3:4]
	v_not_b32_e32 v4, v4
	;; [unrolled: 8-line block ×4, first 2 shown]
	v_ashrrev_i32_e32 v4, 31, v4
	v_and_b32_e32 v1, v1, v22
	v_xor_b32_e32 v22, s27, v4
	v_xor_b32_e32 v4, s26, v4
	v_and_b32_e32 v1, v1, v22
	v_and_b32_e32 v22, v2, v4
	v_lshlrev_b32_e32 v4, 24, v21
	v_cmp_gt_i64_e64 s[26:27], 0, v[3:4]
	v_not_b32_e32 v2, v4
	v_ashrrev_i32_e32 v2, 31, v2
	v_xor_b32_e32 v4, s27, v2
	v_xor_b32_e32 v23, s26, v2
	v_and_b32_e32 v2, v1, v4
	v_and_b32_e32 v1, v22, v23
	v_mbcnt_lo_u32_b32 v4, v1, 0
	v_mbcnt_hi_u32_b32 v22, v2, v4
	v_cmp_ne_u64_e64 s[26:27], 0, v[1:2]
	v_cmp_eq_u32_e64 s[28:29], 0, v22
	s_and_b64 s[28:29], s[26:27], s[28:29]
	v_add_u32_e32 v23, v13, v5
	; wave barrier
	; wave barrier
	s_waitcnt lgkmcnt(0)
	s_barrier
	ds_write2_b32 v6, v3, v3 offset0:5 offset1:6
	ds_write2_b32 v6, v3, v3 offset0:7 offset1:8
	s_waitcnt lgkmcnt(0)
	s_barrier
	; wave barrier
	s_and_saveexec_b64 s[26:27], s[28:29]
; %bb.3:                                ;   in Loop: Header=BB86_2 Depth=1
	v_bcnt_u32_b32 v1, v1, 0
	v_bcnt_u32_b32 v1, v2, v1
	ds_write_b32 v23, v1 offset:20
; %bb.4:                                ;   in Loop: Header=BB86_2 Depth=1
	s_or_b64 exec, exec, s[26:27]
	v_and_b32_e32 v1, 0xff, v20
	v_mul_u32_u24_e32 v5, 20, v1
	v_mad_u32_u24 v1, v1, 20, v13
	; wave barrier
	ds_read_b32 v24, v1 offset:20
	v_and_b32_e32 v1, 1, v20
	v_add_co_u32_e64 v2, s[26:27], -1, v1
	v_addc_co_u32_e64 v4, s[26:27], 0, -1, s[26:27]
	v_cmp_ne_u32_e64 s[26:27], 0, v1
	v_xor_b32_e32 v1, s27, v4
	v_lshlrev_b32_e32 v4, 30, v20
	v_xor_b32_e32 v2, s26, v2
	v_cmp_gt_i64_e64 s[26:27], 0, v[3:4]
	v_not_b32_e32 v4, v4
	v_ashrrev_i32_e32 v4, 31, v4
	v_and_b32_e32 v2, exec_lo, v2
	v_xor_b32_e32 v25, s27, v4
	v_xor_b32_e32 v4, s26, v4
	v_and_b32_e32 v2, v2, v4
	v_lshlrev_b32_e32 v4, 29, v20
	v_cmp_gt_i64_e64 s[26:27], 0, v[3:4]
	v_not_b32_e32 v4, v4
	v_and_b32_e32 v1, exec_hi, v1
	v_ashrrev_i32_e32 v4, 31, v4
	v_and_b32_e32 v1, v1, v25
	v_xor_b32_e32 v25, s27, v4
	v_xor_b32_e32 v4, s26, v4
	v_and_b32_e32 v2, v2, v4
	v_lshlrev_b32_e32 v4, 28, v20
	v_cmp_gt_i64_e64 s[26:27], 0, v[3:4]
	v_not_b32_e32 v4, v4
	v_ashrrev_i32_e32 v4, 31, v4
	v_and_b32_e32 v1, v1, v25
	v_xor_b32_e32 v25, s27, v4
	v_xor_b32_e32 v4, s26, v4
	v_and_b32_e32 v2, v2, v4
	v_lshlrev_b32_e32 v4, 27, v20
	v_cmp_gt_i64_e64 s[26:27], 0, v[3:4]
	v_not_b32_e32 v4, v4
	;; [unrolled: 8-line block ×4, first 2 shown]
	v_ashrrev_i32_e32 v4, 31, v4
	v_and_b32_e32 v1, v1, v25
	v_xor_b32_e32 v25, s27, v4
	v_xor_b32_e32 v4, s26, v4
	v_and_b32_e32 v1, v1, v25
	v_and_b32_e32 v25, v2, v4
	v_lshlrev_b32_e32 v4, 24, v20
	v_cmp_gt_i64_e64 s[26:27], 0, v[3:4]
	v_not_b32_e32 v2, v4
	v_ashrrev_i32_e32 v2, 31, v2
	v_xor_b32_e32 v4, s27, v2
	v_xor_b32_e32 v26, s26, v2
	v_and_b32_e32 v2, v1, v4
	v_and_b32_e32 v1, v25, v26
	v_mbcnt_lo_u32_b32 v4, v1, 0
	v_mbcnt_hi_u32_b32 v25, v2, v4
	v_cmp_ne_u64_e64 s[26:27], 0, v[1:2]
	v_cmp_eq_u32_e64 s[28:29], 0, v25
	s_and_b64 s[28:29], s[26:27], s[28:29]
	v_add_u32_e32 v26, v13, v5
	; wave barrier
	s_and_saveexec_b64 s[26:27], s[28:29]
	s_cbranch_execz .LBB86_6
; %bb.5:                                ;   in Loop: Header=BB86_2 Depth=1
	v_bcnt_u32_b32 v1, v1, 0
	v_bcnt_u32_b32 v1, v2, v1
	s_waitcnt lgkmcnt(0)
	v_add_u32_e32 v1, v24, v1
	ds_write_b32 v26, v1 offset:20
.LBB86_6:                               ;   in Loop: Header=BB86_2 Depth=1
	s_or_b64 exec, exec, s[26:27]
	v_and_b32_e32 v1, 0xff, v19
	v_mul_u32_u24_e32 v5, 20, v1
	v_mad_u32_u24 v1, v1, 20, v13
	; wave barrier
	ds_read_b32 v27, v1 offset:20
	v_and_b32_e32 v1, 1, v19
	v_add_co_u32_e64 v2, s[26:27], -1, v1
	v_addc_co_u32_e64 v4, s[26:27], 0, -1, s[26:27]
	v_cmp_ne_u32_e64 s[26:27], 0, v1
	v_xor_b32_e32 v1, s27, v4
	v_lshlrev_b32_e32 v4, 30, v19
	v_xor_b32_e32 v2, s26, v2
	v_cmp_gt_i64_e64 s[26:27], 0, v[3:4]
	v_not_b32_e32 v4, v4
	v_ashrrev_i32_e32 v4, 31, v4
	v_and_b32_e32 v2, exec_lo, v2
	v_xor_b32_e32 v28, s27, v4
	v_xor_b32_e32 v4, s26, v4
	v_and_b32_e32 v2, v2, v4
	v_lshlrev_b32_e32 v4, 29, v19
	v_cmp_gt_i64_e64 s[26:27], 0, v[3:4]
	v_not_b32_e32 v4, v4
	v_and_b32_e32 v1, exec_hi, v1
	v_ashrrev_i32_e32 v4, 31, v4
	v_and_b32_e32 v1, v1, v28
	v_xor_b32_e32 v28, s27, v4
	v_xor_b32_e32 v4, s26, v4
	v_and_b32_e32 v2, v2, v4
	v_lshlrev_b32_e32 v4, 28, v19
	v_cmp_gt_i64_e64 s[26:27], 0, v[3:4]
	v_not_b32_e32 v4, v4
	v_ashrrev_i32_e32 v4, 31, v4
	v_and_b32_e32 v1, v1, v28
	v_xor_b32_e32 v28, s27, v4
	v_xor_b32_e32 v4, s26, v4
	v_and_b32_e32 v2, v2, v4
	v_lshlrev_b32_e32 v4, 27, v19
	v_cmp_gt_i64_e64 s[26:27], 0, v[3:4]
	v_not_b32_e32 v4, v4
	v_ashrrev_i32_e32 v4, 31, v4
	v_and_b32_e32 v1, v1, v28
	v_xor_b32_e32 v28, s27, v4
	v_xor_b32_e32 v4, s26, v4
	v_and_b32_e32 v2, v2, v4
	v_lshlrev_b32_e32 v4, 26, v19
	v_cmp_gt_i64_e64 s[26:27], 0, v[3:4]
	v_not_b32_e32 v4, v4
	v_ashrrev_i32_e32 v4, 31, v4
	v_and_b32_e32 v1, v1, v28
	v_xor_b32_e32 v28, s27, v4
	v_xor_b32_e32 v4, s26, v4
	v_and_b32_e32 v2, v2, v4
	v_lshlrev_b32_e32 v4, 25, v19
	v_cmp_gt_i64_e64 s[26:27], 0, v[3:4]
	v_not_b32_e32 v4, v4
	v_ashrrev_i32_e32 v4, 31, v4
	v_and_b32_e32 v1, v1, v28
	v_xor_b32_e32 v28, s27, v4
	v_xor_b32_e32 v4, s26, v4
	v_and_b32_e32 v1, v1, v28
	v_and_b32_e32 v28, v2, v4
	v_lshlrev_b32_e32 v4, 24, v19
	v_cmp_gt_i64_e64 s[26:27], 0, v[3:4]
	v_not_b32_e32 v2, v4
	v_ashrrev_i32_e32 v2, 31, v2
	v_xor_b32_e32 v4, s27, v2
	v_xor_b32_e32 v29, s26, v2
	v_and_b32_e32 v2, v1, v4
	v_and_b32_e32 v1, v28, v29
	v_mbcnt_lo_u32_b32 v4, v1, 0
	v_mbcnt_hi_u32_b32 v28, v2, v4
	v_cmp_ne_u64_e64 s[26:27], 0, v[1:2]
	v_cmp_eq_u32_e64 s[28:29], 0, v28
	s_and_b64 s[28:29], s[26:27], s[28:29]
	v_add_u32_e32 v29, v13, v5
	; wave barrier
	s_and_saveexec_b64 s[26:27], s[28:29]
	s_cbranch_execz .LBB86_8
; %bb.7:                                ;   in Loop: Header=BB86_2 Depth=1
	v_bcnt_u32_b32 v1, v1, 0
	v_bcnt_u32_b32 v1, v2, v1
	s_waitcnt lgkmcnt(0)
	v_add_u32_e32 v1, v27, v1
	ds_write_b32 v29, v1 offset:20
.LBB86_8:                               ;   in Loop: Header=BB86_2 Depth=1
	s_or_b64 exec, exec, s[26:27]
	v_and_b32_e32 v1, 0xff, v18
	v_mul_u32_u24_e32 v5, 20, v1
	v_mad_u32_u24 v1, v1, 20, v13
	; wave barrier
	ds_read_b32 v30, v1 offset:20
	v_and_b32_e32 v1, 1, v18
	v_add_co_u32_e64 v2, s[26:27], -1, v1
	v_addc_co_u32_e64 v4, s[26:27], 0, -1, s[26:27]
	v_cmp_ne_u32_e64 s[26:27], 0, v1
	v_xor_b32_e32 v1, s27, v4
	v_lshlrev_b32_e32 v4, 30, v18
	v_xor_b32_e32 v2, s26, v2
	v_cmp_gt_i64_e64 s[26:27], 0, v[3:4]
	v_not_b32_e32 v4, v4
	v_ashrrev_i32_e32 v4, 31, v4
	v_and_b32_e32 v2, exec_lo, v2
	v_xor_b32_e32 v31, s27, v4
	v_xor_b32_e32 v4, s26, v4
	v_and_b32_e32 v2, v2, v4
	v_lshlrev_b32_e32 v4, 29, v18
	v_cmp_gt_i64_e64 s[26:27], 0, v[3:4]
	v_not_b32_e32 v4, v4
	v_and_b32_e32 v1, exec_hi, v1
	v_ashrrev_i32_e32 v4, 31, v4
	v_and_b32_e32 v1, v1, v31
	v_xor_b32_e32 v31, s27, v4
	v_xor_b32_e32 v4, s26, v4
	v_and_b32_e32 v2, v2, v4
	v_lshlrev_b32_e32 v4, 28, v18
	v_cmp_gt_i64_e64 s[26:27], 0, v[3:4]
	v_not_b32_e32 v4, v4
	v_ashrrev_i32_e32 v4, 31, v4
	v_and_b32_e32 v1, v1, v31
	v_xor_b32_e32 v31, s27, v4
	v_xor_b32_e32 v4, s26, v4
	v_and_b32_e32 v2, v2, v4
	v_lshlrev_b32_e32 v4, 27, v18
	v_cmp_gt_i64_e64 s[26:27], 0, v[3:4]
	v_not_b32_e32 v4, v4
	;; [unrolled: 8-line block ×4, first 2 shown]
	v_ashrrev_i32_e32 v4, 31, v4
	v_and_b32_e32 v1, v1, v31
	v_xor_b32_e32 v31, s27, v4
	v_xor_b32_e32 v4, s26, v4
	v_and_b32_e32 v1, v1, v31
	v_and_b32_e32 v31, v2, v4
	v_lshlrev_b32_e32 v4, 24, v18
	v_cmp_gt_i64_e64 s[26:27], 0, v[3:4]
	v_not_b32_e32 v2, v4
	v_ashrrev_i32_e32 v2, 31, v2
	v_xor_b32_e32 v4, s27, v2
	v_xor_b32_e32 v32, s26, v2
	v_and_b32_e32 v2, v1, v4
	v_and_b32_e32 v1, v31, v32
	v_mbcnt_lo_u32_b32 v4, v1, 0
	v_mbcnt_hi_u32_b32 v31, v2, v4
	v_cmp_ne_u64_e64 s[26:27], 0, v[1:2]
	v_cmp_eq_u32_e64 s[28:29], 0, v31
	s_and_b64 s[28:29], s[26:27], s[28:29]
	v_add_u32_e32 v32, v13, v5
	; wave barrier
	s_and_saveexec_b64 s[26:27], s[28:29]
	s_cbranch_execz .LBB86_10
; %bb.9:                                ;   in Loop: Header=BB86_2 Depth=1
	v_bcnt_u32_b32 v1, v1, 0
	v_bcnt_u32_b32 v1, v2, v1
	s_waitcnt lgkmcnt(0)
	v_add_u32_e32 v1, v30, v1
	ds_write_b32 v32, v1 offset:20
.LBB86_10:                              ;   in Loop: Header=BB86_2 Depth=1
	s_or_b64 exec, exec, s[26:27]
	v_and_b32_e32 v1, 0xff, v17
	v_mul_u32_u24_e32 v5, 20, v1
	v_mad_u32_u24 v1, v1, 20, v13
	; wave barrier
	ds_read_b32 v33, v1 offset:20
	v_and_b32_e32 v1, 1, v17
	v_add_co_u32_e64 v2, s[26:27], -1, v1
	v_addc_co_u32_e64 v4, s[26:27], 0, -1, s[26:27]
	v_cmp_ne_u32_e64 s[26:27], 0, v1
	v_xor_b32_e32 v1, s27, v4
	v_lshlrev_b32_e32 v4, 30, v17
	v_xor_b32_e32 v2, s26, v2
	v_cmp_gt_i64_e64 s[26:27], 0, v[3:4]
	v_not_b32_e32 v4, v4
	v_ashrrev_i32_e32 v4, 31, v4
	v_and_b32_e32 v2, exec_lo, v2
	v_xor_b32_e32 v34, s27, v4
	v_xor_b32_e32 v4, s26, v4
	v_and_b32_e32 v2, v2, v4
	v_lshlrev_b32_e32 v4, 29, v17
	v_cmp_gt_i64_e64 s[26:27], 0, v[3:4]
	v_not_b32_e32 v4, v4
	v_and_b32_e32 v1, exec_hi, v1
	v_ashrrev_i32_e32 v4, 31, v4
	v_and_b32_e32 v1, v1, v34
	v_xor_b32_e32 v34, s27, v4
	v_xor_b32_e32 v4, s26, v4
	v_and_b32_e32 v2, v2, v4
	v_lshlrev_b32_e32 v4, 28, v17
	v_cmp_gt_i64_e64 s[26:27], 0, v[3:4]
	v_not_b32_e32 v4, v4
	v_ashrrev_i32_e32 v4, 31, v4
	v_and_b32_e32 v1, v1, v34
	v_xor_b32_e32 v34, s27, v4
	v_xor_b32_e32 v4, s26, v4
	v_and_b32_e32 v2, v2, v4
	v_lshlrev_b32_e32 v4, 27, v17
	v_cmp_gt_i64_e64 s[26:27], 0, v[3:4]
	v_not_b32_e32 v4, v4
	;; [unrolled: 8-line block ×4, first 2 shown]
	v_ashrrev_i32_e32 v4, 31, v4
	v_and_b32_e32 v1, v1, v34
	v_xor_b32_e32 v34, s27, v4
	v_xor_b32_e32 v4, s26, v4
	v_and_b32_e32 v1, v1, v34
	v_and_b32_e32 v34, v2, v4
	v_lshlrev_b32_e32 v4, 24, v17
	v_cmp_gt_i64_e64 s[26:27], 0, v[3:4]
	v_not_b32_e32 v2, v4
	v_ashrrev_i32_e32 v2, 31, v2
	v_xor_b32_e32 v4, s27, v2
	v_xor_b32_e32 v35, s26, v2
	v_and_b32_e32 v2, v1, v4
	v_and_b32_e32 v1, v34, v35
	v_mbcnt_lo_u32_b32 v4, v1, 0
	v_mbcnt_hi_u32_b32 v34, v2, v4
	v_cmp_ne_u64_e64 s[26:27], 0, v[1:2]
	v_cmp_eq_u32_e64 s[28:29], 0, v34
	s_and_b64 s[28:29], s[26:27], s[28:29]
	v_add_u32_e32 v35, v13, v5
	; wave barrier
	s_and_saveexec_b64 s[26:27], s[28:29]
	s_cbranch_execz .LBB86_12
; %bb.11:                               ;   in Loop: Header=BB86_2 Depth=1
	v_bcnt_u32_b32 v1, v1, 0
	v_bcnt_u32_b32 v1, v2, v1
	s_waitcnt lgkmcnt(0)
	v_add_u32_e32 v1, v33, v1
	ds_write_b32 v35, v1 offset:20
.LBB86_12:                              ;   in Loop: Header=BB86_2 Depth=1
	s_or_b64 exec, exec, s[26:27]
	v_and_b32_e32 v1, 0xff, v16
	v_mul_u32_u24_e32 v5, 20, v1
	v_mad_u32_u24 v1, v1, 20, v13
	; wave barrier
	ds_read_b32 v36, v1 offset:20
	v_and_b32_e32 v1, 1, v16
	v_add_co_u32_e64 v2, s[26:27], -1, v1
	v_addc_co_u32_e64 v4, s[26:27], 0, -1, s[26:27]
	v_cmp_ne_u32_e64 s[26:27], 0, v1
	v_xor_b32_e32 v1, s27, v4
	v_lshlrev_b32_e32 v4, 30, v16
	v_xor_b32_e32 v2, s26, v2
	v_cmp_gt_i64_e64 s[26:27], 0, v[3:4]
	v_not_b32_e32 v4, v4
	v_ashrrev_i32_e32 v4, 31, v4
	v_and_b32_e32 v2, exec_lo, v2
	v_xor_b32_e32 v37, s27, v4
	v_xor_b32_e32 v4, s26, v4
	v_and_b32_e32 v2, v2, v4
	v_lshlrev_b32_e32 v4, 29, v16
	v_cmp_gt_i64_e64 s[26:27], 0, v[3:4]
	v_not_b32_e32 v4, v4
	v_and_b32_e32 v1, exec_hi, v1
	v_ashrrev_i32_e32 v4, 31, v4
	v_and_b32_e32 v1, v1, v37
	v_xor_b32_e32 v37, s27, v4
	v_xor_b32_e32 v4, s26, v4
	v_and_b32_e32 v2, v2, v4
	v_lshlrev_b32_e32 v4, 28, v16
	v_cmp_gt_i64_e64 s[26:27], 0, v[3:4]
	v_not_b32_e32 v4, v4
	v_ashrrev_i32_e32 v4, 31, v4
	v_and_b32_e32 v1, v1, v37
	v_xor_b32_e32 v37, s27, v4
	v_xor_b32_e32 v4, s26, v4
	v_and_b32_e32 v2, v2, v4
	v_lshlrev_b32_e32 v4, 27, v16
	v_cmp_gt_i64_e64 s[26:27], 0, v[3:4]
	v_not_b32_e32 v4, v4
	;; [unrolled: 8-line block ×4, first 2 shown]
	v_ashrrev_i32_e32 v4, 31, v4
	v_and_b32_e32 v1, v1, v37
	v_xor_b32_e32 v37, s27, v4
	v_xor_b32_e32 v4, s26, v4
	v_and_b32_e32 v1, v1, v37
	v_and_b32_e32 v37, v2, v4
	v_lshlrev_b32_e32 v4, 24, v16
	v_cmp_gt_i64_e64 s[26:27], 0, v[3:4]
	v_not_b32_e32 v2, v4
	v_ashrrev_i32_e32 v2, 31, v2
	v_xor_b32_e32 v4, s27, v2
	v_xor_b32_e32 v38, s26, v2
	v_and_b32_e32 v2, v1, v4
	v_and_b32_e32 v1, v37, v38
	v_mbcnt_lo_u32_b32 v4, v1, 0
	v_mbcnt_hi_u32_b32 v37, v2, v4
	v_cmp_ne_u64_e64 s[26:27], 0, v[1:2]
	v_cmp_eq_u32_e64 s[28:29], 0, v37
	s_and_b64 s[28:29], s[26:27], s[28:29]
	v_add_u32_e32 v38, v13, v5
	; wave barrier
	s_and_saveexec_b64 s[26:27], s[28:29]
	s_cbranch_execz .LBB86_14
; %bb.13:                               ;   in Loop: Header=BB86_2 Depth=1
	v_bcnt_u32_b32 v1, v1, 0
	v_bcnt_u32_b32 v1, v2, v1
	s_waitcnt lgkmcnt(0)
	v_add_u32_e32 v1, v36, v1
	ds_write_b32 v38, v1 offset:20
.LBB86_14:                              ;   in Loop: Header=BB86_2 Depth=1
	s_or_b64 exec, exec, s[26:27]
	v_and_b32_e32 v1, 0xff, v15
	v_mul_u32_u24_e32 v5, 20, v1
	v_mad_u32_u24 v1, v1, 20, v13
	; wave barrier
	ds_read_b32 v39, v1 offset:20
	v_and_b32_e32 v1, 1, v15
	v_add_co_u32_e64 v2, s[26:27], -1, v1
	v_addc_co_u32_e64 v4, s[26:27], 0, -1, s[26:27]
	v_cmp_ne_u32_e64 s[26:27], 0, v1
	v_xor_b32_e32 v1, s27, v4
	v_lshlrev_b32_e32 v4, 30, v15
	v_xor_b32_e32 v2, s26, v2
	v_cmp_gt_i64_e64 s[26:27], 0, v[3:4]
	v_not_b32_e32 v4, v4
	v_ashrrev_i32_e32 v4, 31, v4
	v_and_b32_e32 v2, exec_lo, v2
	v_xor_b32_e32 v40, s27, v4
	v_xor_b32_e32 v4, s26, v4
	v_and_b32_e32 v2, v2, v4
	v_lshlrev_b32_e32 v4, 29, v15
	v_cmp_gt_i64_e64 s[26:27], 0, v[3:4]
	v_not_b32_e32 v4, v4
	v_and_b32_e32 v1, exec_hi, v1
	v_ashrrev_i32_e32 v4, 31, v4
	v_and_b32_e32 v1, v1, v40
	v_xor_b32_e32 v40, s27, v4
	v_xor_b32_e32 v4, s26, v4
	v_and_b32_e32 v2, v2, v4
	v_lshlrev_b32_e32 v4, 28, v15
	v_cmp_gt_i64_e64 s[26:27], 0, v[3:4]
	v_not_b32_e32 v4, v4
	v_ashrrev_i32_e32 v4, 31, v4
	v_and_b32_e32 v1, v1, v40
	v_xor_b32_e32 v40, s27, v4
	v_xor_b32_e32 v4, s26, v4
	v_and_b32_e32 v2, v2, v4
	v_lshlrev_b32_e32 v4, 27, v15
	v_cmp_gt_i64_e64 s[26:27], 0, v[3:4]
	v_not_b32_e32 v4, v4
	;; [unrolled: 8-line block ×4, first 2 shown]
	v_ashrrev_i32_e32 v4, 31, v4
	v_and_b32_e32 v1, v1, v40
	v_xor_b32_e32 v40, s27, v4
	v_xor_b32_e32 v4, s26, v4
	v_and_b32_e32 v1, v1, v40
	v_and_b32_e32 v40, v2, v4
	v_lshlrev_b32_e32 v4, 24, v15
	v_cmp_gt_i64_e64 s[26:27], 0, v[3:4]
	v_not_b32_e32 v2, v4
	v_ashrrev_i32_e32 v2, 31, v2
	v_xor_b32_e32 v4, s27, v2
	v_xor_b32_e32 v41, s26, v2
	v_and_b32_e32 v2, v1, v4
	v_and_b32_e32 v1, v40, v41
	v_mbcnt_lo_u32_b32 v4, v1, 0
	v_mbcnt_hi_u32_b32 v40, v2, v4
	v_cmp_ne_u64_e64 s[26:27], 0, v[1:2]
	v_cmp_eq_u32_e64 s[28:29], 0, v40
	s_and_b64 s[28:29], s[26:27], s[28:29]
	v_add_u32_e32 v42, v13, v5
	; wave barrier
	s_and_saveexec_b64 s[26:27], s[28:29]
	s_cbranch_execz .LBB86_16
; %bb.15:                               ;   in Loop: Header=BB86_2 Depth=1
	v_bcnt_u32_b32 v1, v1, 0
	v_bcnt_u32_b32 v1, v2, v1
	s_waitcnt lgkmcnt(0)
	v_add_u32_e32 v1, v39, v1
	ds_write_b32 v42, v1 offset:20
.LBB86_16:                              ;   in Loop: Header=BB86_2 Depth=1
	s_or_b64 exec, exec, s[26:27]
	v_and_b32_e32 v1, 0xff, v14
	v_mul_u32_u24_e32 v5, 20, v1
	v_mad_u32_u24 v1, v1, 20, v13
	; wave barrier
	ds_read_b32 v41, v1 offset:20
	v_and_b32_e32 v1, 1, v14
	v_add_co_u32_e64 v2, s[26:27], -1, v1
	v_addc_co_u32_e64 v4, s[26:27], 0, -1, s[26:27]
	v_cmp_ne_u32_e64 s[26:27], 0, v1
	v_xor_b32_e32 v1, s27, v4
	v_lshlrev_b32_e32 v4, 30, v14
	v_xor_b32_e32 v2, s26, v2
	v_cmp_gt_i64_e64 s[26:27], 0, v[3:4]
	v_not_b32_e32 v4, v4
	v_ashrrev_i32_e32 v4, 31, v4
	v_and_b32_e32 v2, exec_lo, v2
	v_xor_b32_e32 v43, s27, v4
	v_xor_b32_e32 v4, s26, v4
	v_and_b32_e32 v2, v2, v4
	v_lshlrev_b32_e32 v4, 29, v14
	v_cmp_gt_i64_e64 s[26:27], 0, v[3:4]
	v_not_b32_e32 v4, v4
	v_and_b32_e32 v1, exec_hi, v1
	v_ashrrev_i32_e32 v4, 31, v4
	v_and_b32_e32 v1, v1, v43
	v_xor_b32_e32 v43, s27, v4
	v_xor_b32_e32 v4, s26, v4
	v_and_b32_e32 v2, v2, v4
	v_lshlrev_b32_e32 v4, 28, v14
	v_cmp_gt_i64_e64 s[26:27], 0, v[3:4]
	v_not_b32_e32 v4, v4
	v_ashrrev_i32_e32 v4, 31, v4
	v_and_b32_e32 v1, v1, v43
	v_xor_b32_e32 v43, s27, v4
	v_xor_b32_e32 v4, s26, v4
	v_and_b32_e32 v2, v2, v4
	v_lshlrev_b32_e32 v4, 27, v14
	v_cmp_gt_i64_e64 s[26:27], 0, v[3:4]
	v_not_b32_e32 v4, v4
	v_ashrrev_i32_e32 v4, 31, v4
	v_and_b32_e32 v1, v1, v43
	v_xor_b32_e32 v43, s27, v4
	v_xor_b32_e32 v4, s26, v4
	v_and_b32_e32 v2, v2, v4
	v_lshlrev_b32_e32 v4, 26, v14
	v_cmp_gt_i64_e64 s[26:27], 0, v[3:4]
	v_not_b32_e32 v4, v4
	v_ashrrev_i32_e32 v4, 31, v4
	v_and_b32_e32 v1, v1, v43
	v_xor_b32_e32 v43, s27, v4
	v_xor_b32_e32 v4, s26, v4
	v_and_b32_e32 v2, v2, v4
	v_lshlrev_b32_e32 v4, 25, v14
	v_cmp_gt_i64_e64 s[26:27], 0, v[3:4]
	v_not_b32_e32 v4, v4
	v_ashrrev_i32_e32 v4, 31, v4
	v_and_b32_e32 v1, v1, v43
	v_xor_b32_e32 v43, s27, v4
	v_xor_b32_e32 v4, s26, v4
	v_and_b32_e32 v1, v1, v43
	v_and_b32_e32 v43, v2, v4
	v_lshlrev_b32_e32 v4, 24, v14
	v_cmp_gt_i64_e64 s[26:27], 0, v[3:4]
	v_not_b32_e32 v2, v4
	v_ashrrev_i32_e32 v2, 31, v2
	v_xor_b32_e32 v4, s27, v2
	v_xor_b32_e32 v44, s26, v2
	v_and_b32_e32 v2, v1, v4
	v_and_b32_e32 v1, v43, v44
	v_mbcnt_lo_u32_b32 v4, v1, 0
	v_mbcnt_hi_u32_b32 v43, v2, v4
	v_cmp_ne_u64_e64 s[26:27], 0, v[1:2]
	v_cmp_eq_u32_e64 s[28:29], 0, v43
	s_and_b64 s[28:29], s[26:27], s[28:29]
	v_add_u32_e32 v44, v13, v5
	; wave barrier
	s_and_saveexec_b64 s[26:27], s[28:29]
	s_cbranch_execz .LBB86_18
; %bb.17:                               ;   in Loop: Header=BB86_2 Depth=1
	v_bcnt_u32_b32 v1, v1, 0
	v_bcnt_u32_b32 v1, v2, v1
	s_waitcnt lgkmcnt(0)
	v_add_u32_e32 v1, v41, v1
	ds_write_b32 v44, v1 offset:20
.LBB86_18:                              ;   in Loop: Header=BB86_2 Depth=1
	s_or_b64 exec, exec, s[26:27]
	; wave barrier
	s_waitcnt lgkmcnt(0)
	s_barrier
	ds_read2_b32 v[4:5], v6 offset0:5 offset1:6
	ds_read2_b32 v[1:2], v6 offset0:7 offset1:8
	s_waitcnt lgkmcnt(1)
	v_add_u32_e32 v45, v5, v4
	s_waitcnt lgkmcnt(0)
	v_add3_u32 v2, v45, v1, v2
	s_nop 1
	v_mov_b32_dpp v45, v2 row_shr:1 row_mask:0xf bank_mask:0xf
	v_cndmask_b32_e64 v45, v45, 0, s[8:9]
	v_add_u32_e32 v2, v45, v2
	s_nop 1
	v_mov_b32_dpp v45, v2 row_shr:2 row_mask:0xf bank_mask:0xf
	v_cndmask_b32_e64 v45, 0, v45, s[10:11]
	v_add_u32_e32 v2, v2, v45
	;; [unrolled: 4-line block ×4, first 2 shown]
	s_nop 1
	v_mov_b32_dpp v45, v2 row_bcast:15 row_mask:0xf bank_mask:0xf
	v_cndmask_b32_e64 v45, v45, 0, s[16:17]
	v_add_u32_e32 v2, v2, v45
	s_nop 1
	v_mov_b32_dpp v45, v2 row_bcast:31 row_mask:0xf bank_mask:0xf
	v_cndmask_b32_e64 v45, 0, v45, s[6:7]
	v_add_u32_e32 v2, v2, v45
	s_and_saveexec_b64 s[26:27], s[24:25]
; %bb.19:                               ;   in Loop: Header=BB86_2 Depth=1
	ds_write_b32 v9, v2
; %bb.20:                               ;   in Loop: Header=BB86_2 Depth=1
	s_or_b64 exec, exec, s[26:27]
	s_waitcnt lgkmcnt(0)
	s_barrier
	s_and_saveexec_b64 s[26:27], vcc
	s_cbranch_execz .LBB86_22
; %bb.21:                               ;   in Loop: Header=BB86_2 Depth=1
	ds_read_b32 v45, v11
	s_waitcnt lgkmcnt(0)
	s_nop 0
	v_mov_b32_dpp v46, v45 row_shr:1 row_mask:0xf bank_mask:0xf
	v_cndmask_b32_e64 v46, v46, 0, s[18:19]
	v_add_u32_e32 v45, v46, v45
	s_nop 1
	v_mov_b32_dpp v46, v45 row_shr:2 row_mask:0xf bank_mask:0xf
	v_cndmask_b32_e64 v46, 0, v46, s[20:21]
	v_add_u32_e32 v45, v45, v46
	;; [unrolled: 4-line block ×3, first 2 shown]
	ds_write_b32 v11, v45
.LBB86_22:                              ;   in Loop: Header=BB86_2 Depth=1
	s_or_b64 exec, exec, s[26:27]
	v_mov_b32_e32 v45, 0
	s_waitcnt lgkmcnt(0)
	s_barrier
	s_and_saveexec_b64 s[26:27], s[0:1]
	s_cbranch_execz .LBB86_1
; %bb.23:                               ;   in Loop: Header=BB86_2 Depth=1
	v_add_u32_e32 v45, -4, v9
	ds_read_b32 v45, v45
	s_branch .LBB86_1
.LBB86_24:
	s_add_u32 s0, s30, s33
	s_addc_u32 s1, s31, 0
	v_mov_b32_e32 v4, s1
	v_add_co_u32_e32 v3, vcc, s0, v0
	v_addc_co_u32_e32 v4, vcc, 0, v4, vcc
	v_lshrrev_b32_e32 v0, 8, v2
	global_store_byte v[3:4], v2, off
	global_store_byte v[3:4], v0, off offset:320
	global_store_byte_d16_hi v[3:4], v2, off offset:640
	v_lshrrev_b32_e32 v0, 24, v2
	global_store_byte v[3:4], v0, off offset:960
	global_store_byte v[3:4], v1, off offset:1280
	v_lshrrev_b32_e32 v0, 8, v1
	global_store_byte v[3:4], v0, off offset:1600
	global_store_byte_d16_hi v[3:4], v1, off offset:1920
	v_lshrrev_b32_e32 v0, 24, v1
	global_store_byte v[3:4], v0, off offset:2240
	s_endpgm
	.section	.rodata,"a",@progbits
	.p2align	6, 0x0
	.amdhsa_kernel _Z16sort_keys_kernelI22helper_blocked_blockedaLj320ELj8ELj10EEvPKT0_PS1_
		.amdhsa_group_segment_fixed_size 5152
		.amdhsa_private_segment_fixed_size 0
		.amdhsa_kernarg_size 272
		.amdhsa_user_sgpr_count 6
		.amdhsa_user_sgpr_private_segment_buffer 1
		.amdhsa_user_sgpr_dispatch_ptr 0
		.amdhsa_user_sgpr_queue_ptr 0
		.amdhsa_user_sgpr_kernarg_segment_ptr 1
		.amdhsa_user_sgpr_dispatch_id 0
		.amdhsa_user_sgpr_flat_scratch_init 0
		.amdhsa_user_sgpr_private_segment_size 0
		.amdhsa_uses_dynamic_stack 0
		.amdhsa_system_sgpr_private_segment_wavefront_offset 0
		.amdhsa_system_sgpr_workgroup_id_x 1
		.amdhsa_system_sgpr_workgroup_id_y 0
		.amdhsa_system_sgpr_workgroup_id_z 0
		.amdhsa_system_sgpr_workgroup_info 0
		.amdhsa_system_vgpr_workitem_id 2
		.amdhsa_next_free_vgpr 47
		.amdhsa_next_free_sgpr 38
		.amdhsa_reserve_vcc 1
		.amdhsa_reserve_flat_scratch 0
		.amdhsa_float_round_mode_32 0
		.amdhsa_float_round_mode_16_64 0
		.amdhsa_float_denorm_mode_32 3
		.amdhsa_float_denorm_mode_16_64 3
		.amdhsa_dx10_clamp 1
		.amdhsa_ieee_mode 1
		.amdhsa_fp16_overflow 0
		.amdhsa_exception_fp_ieee_invalid_op 0
		.amdhsa_exception_fp_denorm_src 0
		.amdhsa_exception_fp_ieee_div_zero 0
		.amdhsa_exception_fp_ieee_overflow 0
		.amdhsa_exception_fp_ieee_underflow 0
		.amdhsa_exception_fp_ieee_inexact 0
		.amdhsa_exception_int_div_zero 0
	.end_amdhsa_kernel
	.section	.text._Z16sort_keys_kernelI22helper_blocked_blockedaLj320ELj8ELj10EEvPKT0_PS1_,"axG",@progbits,_Z16sort_keys_kernelI22helper_blocked_blockedaLj320ELj8ELj10EEvPKT0_PS1_,comdat
.Lfunc_end86:
	.size	_Z16sort_keys_kernelI22helper_blocked_blockedaLj320ELj8ELj10EEvPKT0_PS1_, .Lfunc_end86-_Z16sort_keys_kernelI22helper_blocked_blockedaLj320ELj8ELj10EEvPKT0_PS1_
                                        ; -- End function
	.set _Z16sort_keys_kernelI22helper_blocked_blockedaLj320ELj8ELj10EEvPKT0_PS1_.num_vgpr, 47
	.set _Z16sort_keys_kernelI22helper_blocked_blockedaLj320ELj8ELj10EEvPKT0_PS1_.num_agpr, 0
	.set _Z16sort_keys_kernelI22helper_blocked_blockedaLj320ELj8ELj10EEvPKT0_PS1_.numbered_sgpr, 38
	.set _Z16sort_keys_kernelI22helper_blocked_blockedaLj320ELj8ELj10EEvPKT0_PS1_.num_named_barrier, 0
	.set _Z16sort_keys_kernelI22helper_blocked_blockedaLj320ELj8ELj10EEvPKT0_PS1_.private_seg_size, 0
	.set _Z16sort_keys_kernelI22helper_blocked_blockedaLj320ELj8ELj10EEvPKT0_PS1_.uses_vcc, 1
	.set _Z16sort_keys_kernelI22helper_blocked_blockedaLj320ELj8ELj10EEvPKT0_PS1_.uses_flat_scratch, 0
	.set _Z16sort_keys_kernelI22helper_blocked_blockedaLj320ELj8ELj10EEvPKT0_PS1_.has_dyn_sized_stack, 0
	.set _Z16sort_keys_kernelI22helper_blocked_blockedaLj320ELj8ELj10EEvPKT0_PS1_.has_recursion, 0
	.set _Z16sort_keys_kernelI22helper_blocked_blockedaLj320ELj8ELj10EEvPKT0_PS1_.has_indirect_call, 0
	.section	.AMDGPU.csdata,"",@progbits
; Kernel info:
; codeLenInByte = 4848
; TotalNumSgprs: 42
; NumVgprs: 47
; ScratchSize: 0
; MemoryBound: 0
; FloatMode: 240
; IeeeMode: 1
; LDSByteSize: 5152 bytes/workgroup (compile time only)
; SGPRBlocks: 5
; VGPRBlocks: 11
; NumSGPRsForWavesPerEU: 42
; NumVGPRsForWavesPerEU: 47
; Occupancy: 5
; WaveLimiterHint : 1
; COMPUTE_PGM_RSRC2:SCRATCH_EN: 0
; COMPUTE_PGM_RSRC2:USER_SGPR: 6
; COMPUTE_PGM_RSRC2:TRAP_HANDLER: 0
; COMPUTE_PGM_RSRC2:TGID_X_EN: 1
; COMPUTE_PGM_RSRC2:TGID_Y_EN: 0
; COMPUTE_PGM_RSRC2:TGID_Z_EN: 0
; COMPUTE_PGM_RSRC2:TIDIG_COMP_CNT: 2
	.section	.text._Z17sort_pairs_kernelI22helper_blocked_blockedaLj320ELj8ELj10EEvPKT0_PS1_,"axG",@progbits,_Z17sort_pairs_kernelI22helper_blocked_blockedaLj320ELj8ELj10EEvPKT0_PS1_,comdat
	.protected	_Z17sort_pairs_kernelI22helper_blocked_blockedaLj320ELj8ELj10EEvPKT0_PS1_ ; -- Begin function _Z17sort_pairs_kernelI22helper_blocked_blockedaLj320ELj8ELj10EEvPKT0_PS1_
	.globl	_Z17sort_pairs_kernelI22helper_blocked_blockedaLj320ELj8ELj10EEvPKT0_PS1_
	.p2align	8
	.type	_Z17sort_pairs_kernelI22helper_blocked_blockedaLj320ELj8ELj10EEvPKT0_PS1_,@function
_Z17sort_pairs_kernelI22helper_blocked_blockedaLj320ELj8ELj10EEvPKT0_PS1_: ; @_Z17sort_pairs_kernelI22helper_blocked_blockedaLj320ELj8ELj10EEvPKT0_PS1_
; %bb.0:
	s_load_dwordx4 s[28:31], s[4:5], 0x0
	s_load_dword s26, s[4:5], 0x1c
	s_mul_i32 s33, s6, 0xa00
	v_mbcnt_lo_u32_b32 v6, -1, 0
	v_mbcnt_hi_u32_b32 v19, -1, v6
	s_waitcnt lgkmcnt(0)
	s_add_u32 s0, s28, s33
	s_addc_u32 s1, s29, 0
	global_load_ubyte v4, v0, s[0:1]
	global_load_ubyte v5, v0, s[0:1] offset:320
	global_load_ubyte v13, v0, s[0:1] offset:640
	;; [unrolled: 1-line block ×7, first 2 shown]
	v_subrev_co_u32_e64 v21, s[4:5], 1, v19
	v_and_b32_e32 v22, 64, v19
	v_and_b32_e32 v12, 16, v19
	v_cmp_lt_i32_e64 s[24:25], v21, v22
	v_cmp_eq_u32_e64 s[16:17], 0, v12
	v_cndmask_b32_e64 v12, v21, v19, s[24:25]
	s_lshr_b32 s24, s26, 16
	s_and_b32 s25, s26, 0xffff
	v_mad_u32_u24 v1, v2, s24, v1
	v_mad_u64_u32 v[1:2], s[24:25], v1, s25, v[0:1]
	v_and_b32_e32 v7, 0x1c0, v0
	v_and_b32_e32 v11, 15, v19
	v_min_u32_e32 v20, 0x100, v7
	s_mov_b32 s28, 0xc0c0004
	v_and_b32_e32 v23, 7, v19
	v_cmp_eq_u32_e64 s[8:9], 0, v11
	v_cmp_lt_u32_e64 s[10:11], 1, v11
	v_cmp_lt_u32_e64 s[12:13], 3, v11
	;; [unrolled: 1-line block ×3, first 2 shown]
	v_or_b32_e32 v11, 63, v20
	v_lshrrev_b32_e32 v1, 4, v1
	v_cmp_eq_u32_e64 s[18:19], 0, v23
	v_cmp_lt_u32_e64 s[20:21], 1, v23
	v_cmp_lt_u32_e64 s[22:23], 3, v23
	v_cmp_eq_u32_e64 s[24:25], v0, v11
	v_lshlrev_b32_e32 v11, 2, v12
	v_and_b32_e32 v12, 0xffffffc, v1
	s_movk_i32 s27, 0x100
	v_lshlrev_b32_e32 v8, 3, v0
	v_lshlrev_b32_e32 v6, 4, v0
	v_lshrrev_b32_e32 v9, 4, v0
	v_lshlrev_b32_e32 v10, 2, v0
	v_and_b32_e32 v24, 0xe00, v8
	v_sub_u32_e32 v8, v6, v8
	v_and_b32_e32 v9, 28, v9
	v_sub_u32_e32 v25, 0, v10
	v_mov_b32_e32 v3, 0
	s_mov_b32 s34, 10
	s_movk_i32 s35, 0xff00
	s_movk_i32 s36, 0x80
	v_cmp_gt_u32_e32 vcc, 5, v0
	v_cmp_lt_u32_e64 s[0:1], 63, v0
	v_cmp_eq_u32_e64 s[2:3], 0, v0
	v_add_lshl_u32 v7, v19, v7, 3
	v_cmp_lt_u32_e64 s[6:7], 31, v19
	v_add_u32_e32 v10, -4, v9
	s_movk_i32 s37, 0x8000
	s_waitcnt vmcnt(7)
	v_add_u16_e32 v22, 1, v4
	s_waitcnt vmcnt(6)
	v_perm_b32 v1, v4, v5, s28
	v_lshlrev_b16_e32 v23, 8, v5
	s_waitcnt vmcnt(4)
	v_perm_b32 v2, v13, v14, s28
	v_add_u16_e32 v13, 1, v13
	s_waitcnt vmcnt(2)
	v_perm_b32 v20, v15, v16, s28
	v_lshlrev_b16_e32 v14, 8, v14
	s_waitcnt vmcnt(0)
	v_perm_b32 v21, v17, v18, s28
	v_add_u16_e32 v15, 1, v15
	v_lshlrev_b16_e32 v16, 8, v16
	v_add_u16_e32 v17, 1, v17
	v_lshlrev_b16_e32 v18, 8, v18
	v_lshl_or_b32 v4, v2, 16, v1
	v_or_b32_sdwa v1, v23, v22 dst_sel:DWORD dst_unused:UNUSED_PAD src0_sel:DWORD src1_sel:BYTE_0
	v_or_b32_sdwa v2, v14, v13 dst_sel:DWORD dst_unused:UNUSED_PAD src0_sel:DWORD src1_sel:BYTE_0
	;; [unrolled: 1-line block ×4, first 2 shown]
	v_add_u16_e32 v1, 0x100, v1
	v_add_u16_sdwa v2, v2, s27 dst_sel:WORD_1 dst_unused:UNUSED_PAD src0_sel:DWORD src1_sel:DWORD
	v_add_u16_e32 v13, 0x100, v13
	v_add_u16_sdwa v14, v14, s27 dst_sel:WORD_1 dst_unused:UNUSED_PAD src0_sel:DWORD src1_sel:DWORD
	v_lshl_or_b32 v5, v21, 16, v20
	v_or_b32_e32 v1, v1, v2
	v_or_b32_e32 v2, v13, v14
	v_add_u32_e32 v13, v19, v24
	v_add_u32_e32 v14, v8, v25
	v_mov_b32_e32 v15, 20
	s_branch .LBB87_2
.LBB87_1:                               ;   in Loop: Header=BB87_2 Depth=1
	s_or_b64 exec, exec, s[26:27]
	s_waitcnt lgkmcnt(0)
	v_add_u32_e32 v2, v55, v2
	ds_bpermute_b32 v2, v11, v2
	s_add_i32 s34, s34, -1
	s_cmp_eq_u32 s34, 0
	s_waitcnt lgkmcnt(0)
	v_cndmask_b32_e64 v2, v2, v55, s[4:5]
	v_cndmask_b32_e64 v2, v2, 0, s[2:3]
	v_add_u32_e32 v4, v2, v4
	v_add_u32_e32 v5, v4, v5
	;; [unrolled: 1-line block ×3, first 2 shown]
	ds_write2_b32 v6, v2, v4 offset0:5 offset1:6
	ds_write2_b32 v6, v5, v1 offset0:7 offset1:8
	s_waitcnt lgkmcnt(0)
	s_barrier
	ds_read_b32 v1, v33 offset:20
	ds_read_b32 v2, v36 offset:20
	;; [unrolled: 1-line block ×8, first 2 shown]
	s_waitcnt lgkmcnt(7)
	v_add_u32_e32 v1, v1, v32
	s_waitcnt lgkmcnt(6)
	v_add3_u32 v2, v35, v34, v2
	s_waitcnt lgkmcnt(0)
	s_barrier
	ds_write_b8 v1, v23
	ds_write_b8 v2, v22
	v_add3_u32 v22, v38, v37, v4
	ds_write_b8 v22, v21
	v_add3_u32 v21, v41, v40, v5
	;; [unrolled: 2-line block ×6, first 2 shown]
	ds_write_b8 v17, v16
	s_waitcnt lgkmcnt(0)
	s_barrier
	ds_read_b64 v[4:5], v8
	s_waitcnt lgkmcnt(0)
	s_barrier
	ds_write_b8 v1, v24
	ds_write_b8 v2, v25
	;; [unrolled: 1-line block ×8, first 2 shown]
	v_and_b32_e32 v16, 0xffffff00, v4
	v_xor_b32_e32 v23, 0x80, v4
	v_or_b32_sdwa v16, v23, v16 dst_sel:DWORD dst_unused:UNUSED_PAD src0_sel:BYTE_0 src1_sel:DWORD
	v_and_b32_sdwa v23, v4, s35 dst_sel:DWORD dst_unused:UNUSED_PAD src0_sel:WORD_1 src1_sel:DWORD
	v_xor_b32_sdwa v4, v4, s36 dst_sel:DWORD dst_unused:UNUSED_PAD src0_sel:WORD_1 src1_sel:DWORD
	v_or_b32_sdwa v4, v4, v23 dst_sel:DWORD dst_unused:UNUSED_PAD src0_sel:BYTE_0 src1_sel:DWORD
	v_add_u16_e32 v16, 0x8000, v16
	v_add_u16_sdwa v4, v4, s37 dst_sel:WORD_1 dst_unused:UNUSED_PAD src0_sel:DWORD src1_sel:DWORD
	v_or_b32_e32 v4, v16, v4
	s_waitcnt lgkmcnt(0)
	s_barrier
	ds_read_b64 v[1:2], v8
	v_and_b32_e32 v16, 0xffffff00, v5
	v_xor_b32_e32 v17, 0x80, v5
	v_or_b32_sdwa v16, v17, v16 dst_sel:DWORD dst_unused:UNUSED_PAD src0_sel:BYTE_0 src1_sel:DWORD
	v_and_b32_sdwa v17, v5, s35 dst_sel:DWORD dst_unused:UNUSED_PAD src0_sel:WORD_1 src1_sel:DWORD
	v_xor_b32_sdwa v5, v5, s36 dst_sel:DWORD dst_unused:UNUSED_PAD src0_sel:WORD_1 src1_sel:DWORD
	v_or_b32_sdwa v5, v5, v17 dst_sel:DWORD dst_unused:UNUSED_PAD src0_sel:BYTE_0 src1_sel:DWORD
	v_add_u16_e32 v16, 0x8000, v16
	v_add_u16_sdwa v5, v5, s37 dst_sel:WORD_1 dst_unused:UNUSED_PAD src0_sel:DWORD src1_sel:DWORD
	v_or_b32_e32 v5, v16, v5
	s_cbranch_scc1 .LBB87_24
.LBB87_2:                               ; =>This Inner Loop Header: Depth=1
	v_and_b32_e32 v16, 0xffffff00, v4
	v_xor_b32_e32 v17, 0x80, v4
	v_or_b32_sdwa v16, v17, v16 dst_sel:DWORD dst_unused:UNUSED_PAD src0_sel:BYTE_0 src1_sel:DWORD
	v_and_b32_sdwa v17, v4, s35 dst_sel:DWORD dst_unused:UNUSED_PAD src0_sel:WORD_1 src1_sel:DWORD
	v_xor_b32_sdwa v4, v4, s36 dst_sel:DWORD dst_unused:UNUSED_PAD src0_sel:WORD_1 src1_sel:DWORD
	v_or_b32_sdwa v4, v4, v17 dst_sel:DWORD dst_unused:UNUSED_PAD src0_sel:BYTE_0 src1_sel:DWORD
	v_add_u16_e32 v16, 0x8000, v16
	v_add_u16_sdwa v4, v4, s37 dst_sel:WORD_1 dst_unused:UNUSED_PAD src0_sel:DWORD src1_sel:DWORD
	v_or_b32_e32 v4, v16, v4
	v_and_b32_e32 v16, 0xffffff00, v5
	v_xor_b32_e32 v17, 0x80, v5
	v_or_b32_sdwa v16, v17, v16 dst_sel:DWORD dst_unused:UNUSED_PAD src0_sel:BYTE_0 src1_sel:DWORD
	v_and_b32_sdwa v17, v5, s35 dst_sel:DWORD dst_unused:UNUSED_PAD src0_sel:WORD_1 src1_sel:DWORD
	v_xor_b32_sdwa v5, v5, s36 dst_sel:DWORD dst_unused:UNUSED_PAD src0_sel:WORD_1 src1_sel:DWORD
	v_or_b32_sdwa v5, v5, v17 dst_sel:DWORD dst_unused:UNUSED_PAD src0_sel:BYTE_0 src1_sel:DWORD
	v_add_u16_e32 v16, 0x8000, v16
	v_add_u16_sdwa v5, v5, s37 dst_sel:WORD_1 dst_unused:UNUSED_PAD src0_sel:DWORD src1_sel:DWORD
	v_or_b32_e32 v5, v16, v5
	ds_write_b64 v7, v[4:5]
	; wave barrier
	ds_read_u8 v23, v13
	ds_read_u8 v22, v13 offset:64
	ds_read_u8 v21, v13 offset:128
	;; [unrolled: 1-line block ×7, first 2 shown]
	; wave barrier
	s_waitcnt lgkmcnt(9)
	ds_write_b64 v7, v[1:2]
	s_waitcnt lgkmcnt(8)
	v_and_b32_e32 v1, 1, v23
	v_add_co_u32_e64 v2, s[26:27], -1, v1
	v_addc_co_u32_e64 v4, s[26:27], 0, -1, s[26:27]
	v_cmp_ne_u32_e64 s[26:27], 0, v1
	v_xor_b32_e32 v1, s27, v4
	v_lshlrev_b32_e32 v4, 30, v23
	v_xor_b32_e32 v2, s26, v2
	v_cmp_gt_i64_e64 s[26:27], 0, v[3:4]
	v_not_b32_e32 v4, v4
	v_ashrrev_i32_e32 v4, 31, v4
	v_and_b32_e32 v2, exec_lo, v2
	v_xor_b32_e32 v5, s27, v4
	v_xor_b32_e32 v4, s26, v4
	v_and_b32_e32 v2, v2, v4
	v_lshlrev_b32_e32 v4, 29, v23
	v_cmp_gt_i64_e64 s[26:27], 0, v[3:4]
	v_not_b32_e32 v4, v4
	v_and_b32_e32 v1, exec_hi, v1
	v_ashrrev_i32_e32 v4, 31, v4
	v_and_b32_e32 v1, v1, v5
	v_xor_b32_e32 v5, s27, v4
	v_xor_b32_e32 v4, s26, v4
	v_and_b32_e32 v2, v2, v4
	v_lshlrev_b32_e32 v4, 28, v23
	v_cmp_gt_i64_e64 s[26:27], 0, v[3:4]
	v_not_b32_e32 v4, v4
	v_ashrrev_i32_e32 v4, 31, v4
	v_and_b32_e32 v1, v1, v5
	v_xor_b32_e32 v5, s27, v4
	v_xor_b32_e32 v4, s26, v4
	v_and_b32_e32 v2, v2, v4
	v_lshlrev_b32_e32 v4, 27, v23
	v_cmp_gt_i64_e64 s[26:27], 0, v[3:4]
	v_not_b32_e32 v4, v4
	;; [unrolled: 8-line block ×4, first 2 shown]
	v_ashrrev_i32_e32 v4, 31, v4
	v_and_b32_e32 v1, v1, v5
	v_xor_b32_e32 v5, s27, v4
	v_xor_b32_e32 v4, s26, v4
	v_and_b32_e32 v1, v1, v5
	v_and_b32_e32 v5, v2, v4
	v_lshlrev_b32_e32 v4, 24, v23
	v_cmp_gt_i64_e64 s[26:27], 0, v[3:4]
	v_not_b32_e32 v2, v4
	v_ashrrev_i32_e32 v2, 31, v2
	v_xor_b32_e32 v4, s27, v2
	v_xor_b32_e32 v24, s26, v2
	; wave barrier
	v_and_b32_e32 v2, v1, v4
	v_and_b32_e32 v1, v5, v24
	ds_read_u8 v24, v13
	ds_read_u8 v25, v13 offset:64
	ds_read_u8 v26, v13 offset:128
	;; [unrolled: 1-line block ×7, first 2 shown]
	v_mbcnt_lo_u32_b32 v4, v1, 0
	v_mbcnt_hi_u32_b32 v32, v2, v4
	v_cmp_ne_u64_e64 s[26:27], 0, v[1:2]
	v_cmp_eq_u32_e64 s[28:29], 0, v32
	v_mul_u32_u24_sdwa v4, v23, v15 dst_sel:DWORD dst_unused:UNUSED_PAD src0_sel:BYTE_0 src1_sel:DWORD
	s_and_b64 s[28:29], s[26:27], s[28:29]
	v_add_u32_e32 v33, v12, v4
	s_waitcnt lgkmcnt(0)
	s_barrier
	ds_write2_b32 v6, v3, v3 offset0:5 offset1:6
	ds_write2_b32 v6, v3, v3 offset0:7 offset1:8
	s_waitcnt lgkmcnt(0)
	s_barrier
	; wave barrier
	s_and_saveexec_b64 s[26:27], s[28:29]
; %bb.3:                                ;   in Loop: Header=BB87_2 Depth=1
	v_bcnt_u32_b32 v1, v1, 0
	v_bcnt_u32_b32 v1, v2, v1
	ds_write_b32 v33, v1 offset:20
; %bb.4:                                ;   in Loop: Header=BB87_2 Depth=1
	s_or_b64 exec, exec, s[26:27]
	v_and_b32_e32 v1, 0xff, v22
	v_mul_u32_u24_e32 v5, 20, v1
	v_mad_u32_u24 v1, v1, 20, v12
	; wave barrier
	ds_read_b32 v34, v1 offset:20
	v_and_b32_e32 v1, 1, v22
	v_add_co_u32_e64 v2, s[26:27], -1, v1
	v_addc_co_u32_e64 v4, s[26:27], 0, -1, s[26:27]
	v_cmp_ne_u32_e64 s[26:27], 0, v1
	v_xor_b32_e32 v1, s27, v4
	v_lshlrev_b32_e32 v4, 30, v22
	v_xor_b32_e32 v2, s26, v2
	v_cmp_gt_i64_e64 s[26:27], 0, v[3:4]
	v_not_b32_e32 v4, v4
	v_ashrrev_i32_e32 v4, 31, v4
	v_and_b32_e32 v2, exec_lo, v2
	v_xor_b32_e32 v35, s27, v4
	v_xor_b32_e32 v4, s26, v4
	v_and_b32_e32 v2, v2, v4
	v_lshlrev_b32_e32 v4, 29, v22
	v_cmp_gt_i64_e64 s[26:27], 0, v[3:4]
	v_not_b32_e32 v4, v4
	v_and_b32_e32 v1, exec_hi, v1
	v_ashrrev_i32_e32 v4, 31, v4
	v_and_b32_e32 v1, v1, v35
	v_xor_b32_e32 v35, s27, v4
	v_xor_b32_e32 v4, s26, v4
	v_and_b32_e32 v2, v2, v4
	v_lshlrev_b32_e32 v4, 28, v22
	v_cmp_gt_i64_e64 s[26:27], 0, v[3:4]
	v_not_b32_e32 v4, v4
	v_ashrrev_i32_e32 v4, 31, v4
	v_and_b32_e32 v1, v1, v35
	v_xor_b32_e32 v35, s27, v4
	v_xor_b32_e32 v4, s26, v4
	v_and_b32_e32 v2, v2, v4
	v_lshlrev_b32_e32 v4, 27, v22
	v_cmp_gt_i64_e64 s[26:27], 0, v[3:4]
	v_not_b32_e32 v4, v4
	;; [unrolled: 8-line block ×4, first 2 shown]
	v_ashrrev_i32_e32 v4, 31, v4
	v_and_b32_e32 v1, v1, v35
	v_xor_b32_e32 v35, s27, v4
	v_xor_b32_e32 v4, s26, v4
	v_and_b32_e32 v1, v1, v35
	v_and_b32_e32 v35, v2, v4
	v_lshlrev_b32_e32 v4, 24, v22
	v_cmp_gt_i64_e64 s[26:27], 0, v[3:4]
	v_not_b32_e32 v2, v4
	v_ashrrev_i32_e32 v2, 31, v2
	v_xor_b32_e32 v4, s27, v2
	v_xor_b32_e32 v36, s26, v2
	v_and_b32_e32 v2, v1, v4
	v_and_b32_e32 v1, v35, v36
	v_mbcnt_lo_u32_b32 v4, v1, 0
	v_mbcnt_hi_u32_b32 v35, v2, v4
	v_cmp_ne_u64_e64 s[26:27], 0, v[1:2]
	v_cmp_eq_u32_e64 s[28:29], 0, v35
	s_and_b64 s[28:29], s[26:27], s[28:29]
	v_add_u32_e32 v36, v12, v5
	; wave barrier
	s_and_saveexec_b64 s[26:27], s[28:29]
	s_cbranch_execz .LBB87_6
; %bb.5:                                ;   in Loop: Header=BB87_2 Depth=1
	v_bcnt_u32_b32 v1, v1, 0
	v_bcnt_u32_b32 v1, v2, v1
	s_waitcnt lgkmcnt(0)
	v_add_u32_e32 v1, v34, v1
	ds_write_b32 v36, v1 offset:20
.LBB87_6:                               ;   in Loop: Header=BB87_2 Depth=1
	s_or_b64 exec, exec, s[26:27]
	v_and_b32_e32 v1, 0xff, v21
	v_mul_u32_u24_e32 v5, 20, v1
	v_mad_u32_u24 v1, v1, 20, v12
	; wave barrier
	ds_read_b32 v37, v1 offset:20
	v_and_b32_e32 v1, 1, v21
	v_add_co_u32_e64 v2, s[26:27], -1, v1
	v_addc_co_u32_e64 v4, s[26:27], 0, -1, s[26:27]
	v_cmp_ne_u32_e64 s[26:27], 0, v1
	v_xor_b32_e32 v1, s27, v4
	v_lshlrev_b32_e32 v4, 30, v21
	v_xor_b32_e32 v2, s26, v2
	v_cmp_gt_i64_e64 s[26:27], 0, v[3:4]
	v_not_b32_e32 v4, v4
	v_ashrrev_i32_e32 v4, 31, v4
	v_and_b32_e32 v2, exec_lo, v2
	v_xor_b32_e32 v38, s27, v4
	v_xor_b32_e32 v4, s26, v4
	v_and_b32_e32 v2, v2, v4
	v_lshlrev_b32_e32 v4, 29, v21
	v_cmp_gt_i64_e64 s[26:27], 0, v[3:4]
	v_not_b32_e32 v4, v4
	v_and_b32_e32 v1, exec_hi, v1
	v_ashrrev_i32_e32 v4, 31, v4
	v_and_b32_e32 v1, v1, v38
	v_xor_b32_e32 v38, s27, v4
	v_xor_b32_e32 v4, s26, v4
	v_and_b32_e32 v2, v2, v4
	v_lshlrev_b32_e32 v4, 28, v21
	v_cmp_gt_i64_e64 s[26:27], 0, v[3:4]
	v_not_b32_e32 v4, v4
	v_ashrrev_i32_e32 v4, 31, v4
	v_and_b32_e32 v1, v1, v38
	v_xor_b32_e32 v38, s27, v4
	v_xor_b32_e32 v4, s26, v4
	v_and_b32_e32 v2, v2, v4
	v_lshlrev_b32_e32 v4, 27, v21
	v_cmp_gt_i64_e64 s[26:27], 0, v[3:4]
	v_not_b32_e32 v4, v4
	v_ashrrev_i32_e32 v4, 31, v4
	v_and_b32_e32 v1, v1, v38
	v_xor_b32_e32 v38, s27, v4
	v_xor_b32_e32 v4, s26, v4
	v_and_b32_e32 v2, v2, v4
	v_lshlrev_b32_e32 v4, 26, v21
	v_cmp_gt_i64_e64 s[26:27], 0, v[3:4]
	v_not_b32_e32 v4, v4
	v_ashrrev_i32_e32 v4, 31, v4
	v_and_b32_e32 v1, v1, v38
	v_xor_b32_e32 v38, s27, v4
	v_xor_b32_e32 v4, s26, v4
	v_and_b32_e32 v2, v2, v4
	v_lshlrev_b32_e32 v4, 25, v21
	v_cmp_gt_i64_e64 s[26:27], 0, v[3:4]
	v_not_b32_e32 v4, v4
	v_ashrrev_i32_e32 v4, 31, v4
	v_and_b32_e32 v1, v1, v38
	v_xor_b32_e32 v38, s27, v4
	v_xor_b32_e32 v4, s26, v4
	v_and_b32_e32 v1, v1, v38
	v_and_b32_e32 v38, v2, v4
	v_lshlrev_b32_e32 v4, 24, v21
	v_cmp_gt_i64_e64 s[26:27], 0, v[3:4]
	v_not_b32_e32 v2, v4
	v_ashrrev_i32_e32 v2, 31, v2
	v_xor_b32_e32 v4, s27, v2
	v_xor_b32_e32 v39, s26, v2
	v_and_b32_e32 v2, v1, v4
	v_and_b32_e32 v1, v38, v39
	v_mbcnt_lo_u32_b32 v4, v1, 0
	v_mbcnt_hi_u32_b32 v38, v2, v4
	v_cmp_ne_u64_e64 s[26:27], 0, v[1:2]
	v_cmp_eq_u32_e64 s[28:29], 0, v38
	s_and_b64 s[28:29], s[26:27], s[28:29]
	v_add_u32_e32 v39, v12, v5
	; wave barrier
	s_and_saveexec_b64 s[26:27], s[28:29]
	s_cbranch_execz .LBB87_8
; %bb.7:                                ;   in Loop: Header=BB87_2 Depth=1
	v_bcnt_u32_b32 v1, v1, 0
	v_bcnt_u32_b32 v1, v2, v1
	s_waitcnt lgkmcnt(0)
	v_add_u32_e32 v1, v37, v1
	ds_write_b32 v39, v1 offset:20
.LBB87_8:                               ;   in Loop: Header=BB87_2 Depth=1
	s_or_b64 exec, exec, s[26:27]
	v_and_b32_e32 v1, 0xff, v20
	v_mul_u32_u24_e32 v5, 20, v1
	v_mad_u32_u24 v1, v1, 20, v12
	; wave barrier
	ds_read_b32 v40, v1 offset:20
	v_and_b32_e32 v1, 1, v20
	v_add_co_u32_e64 v2, s[26:27], -1, v1
	v_addc_co_u32_e64 v4, s[26:27], 0, -1, s[26:27]
	v_cmp_ne_u32_e64 s[26:27], 0, v1
	v_xor_b32_e32 v1, s27, v4
	v_lshlrev_b32_e32 v4, 30, v20
	v_xor_b32_e32 v2, s26, v2
	v_cmp_gt_i64_e64 s[26:27], 0, v[3:4]
	v_not_b32_e32 v4, v4
	v_ashrrev_i32_e32 v4, 31, v4
	v_and_b32_e32 v2, exec_lo, v2
	v_xor_b32_e32 v41, s27, v4
	v_xor_b32_e32 v4, s26, v4
	v_and_b32_e32 v2, v2, v4
	v_lshlrev_b32_e32 v4, 29, v20
	v_cmp_gt_i64_e64 s[26:27], 0, v[3:4]
	v_not_b32_e32 v4, v4
	v_and_b32_e32 v1, exec_hi, v1
	v_ashrrev_i32_e32 v4, 31, v4
	v_and_b32_e32 v1, v1, v41
	v_xor_b32_e32 v41, s27, v4
	v_xor_b32_e32 v4, s26, v4
	v_and_b32_e32 v2, v2, v4
	v_lshlrev_b32_e32 v4, 28, v20
	v_cmp_gt_i64_e64 s[26:27], 0, v[3:4]
	v_not_b32_e32 v4, v4
	v_ashrrev_i32_e32 v4, 31, v4
	v_and_b32_e32 v1, v1, v41
	v_xor_b32_e32 v41, s27, v4
	v_xor_b32_e32 v4, s26, v4
	v_and_b32_e32 v2, v2, v4
	v_lshlrev_b32_e32 v4, 27, v20
	v_cmp_gt_i64_e64 s[26:27], 0, v[3:4]
	v_not_b32_e32 v4, v4
	;; [unrolled: 8-line block ×4, first 2 shown]
	v_ashrrev_i32_e32 v4, 31, v4
	v_and_b32_e32 v1, v1, v41
	v_xor_b32_e32 v41, s27, v4
	v_xor_b32_e32 v4, s26, v4
	v_and_b32_e32 v1, v1, v41
	v_and_b32_e32 v41, v2, v4
	v_lshlrev_b32_e32 v4, 24, v20
	v_cmp_gt_i64_e64 s[26:27], 0, v[3:4]
	v_not_b32_e32 v2, v4
	v_ashrrev_i32_e32 v2, 31, v2
	v_xor_b32_e32 v4, s27, v2
	v_xor_b32_e32 v42, s26, v2
	v_and_b32_e32 v2, v1, v4
	v_and_b32_e32 v1, v41, v42
	v_mbcnt_lo_u32_b32 v4, v1, 0
	v_mbcnt_hi_u32_b32 v41, v2, v4
	v_cmp_ne_u64_e64 s[26:27], 0, v[1:2]
	v_cmp_eq_u32_e64 s[28:29], 0, v41
	s_and_b64 s[28:29], s[26:27], s[28:29]
	v_add_u32_e32 v42, v12, v5
	; wave barrier
	s_and_saveexec_b64 s[26:27], s[28:29]
	s_cbranch_execz .LBB87_10
; %bb.9:                                ;   in Loop: Header=BB87_2 Depth=1
	v_bcnt_u32_b32 v1, v1, 0
	v_bcnt_u32_b32 v1, v2, v1
	s_waitcnt lgkmcnt(0)
	v_add_u32_e32 v1, v40, v1
	ds_write_b32 v42, v1 offset:20
.LBB87_10:                              ;   in Loop: Header=BB87_2 Depth=1
	s_or_b64 exec, exec, s[26:27]
	v_and_b32_e32 v1, 0xff, v19
	v_mul_u32_u24_e32 v5, 20, v1
	v_mad_u32_u24 v1, v1, 20, v12
	; wave barrier
	ds_read_b32 v43, v1 offset:20
	v_and_b32_e32 v1, 1, v19
	v_add_co_u32_e64 v2, s[26:27], -1, v1
	v_addc_co_u32_e64 v4, s[26:27], 0, -1, s[26:27]
	v_cmp_ne_u32_e64 s[26:27], 0, v1
	v_xor_b32_e32 v1, s27, v4
	v_lshlrev_b32_e32 v4, 30, v19
	v_xor_b32_e32 v2, s26, v2
	v_cmp_gt_i64_e64 s[26:27], 0, v[3:4]
	v_not_b32_e32 v4, v4
	v_ashrrev_i32_e32 v4, 31, v4
	v_and_b32_e32 v2, exec_lo, v2
	v_xor_b32_e32 v44, s27, v4
	v_xor_b32_e32 v4, s26, v4
	v_and_b32_e32 v2, v2, v4
	v_lshlrev_b32_e32 v4, 29, v19
	v_cmp_gt_i64_e64 s[26:27], 0, v[3:4]
	v_not_b32_e32 v4, v4
	v_and_b32_e32 v1, exec_hi, v1
	v_ashrrev_i32_e32 v4, 31, v4
	v_and_b32_e32 v1, v1, v44
	v_xor_b32_e32 v44, s27, v4
	v_xor_b32_e32 v4, s26, v4
	v_and_b32_e32 v2, v2, v4
	v_lshlrev_b32_e32 v4, 28, v19
	v_cmp_gt_i64_e64 s[26:27], 0, v[3:4]
	v_not_b32_e32 v4, v4
	v_ashrrev_i32_e32 v4, 31, v4
	v_and_b32_e32 v1, v1, v44
	v_xor_b32_e32 v44, s27, v4
	v_xor_b32_e32 v4, s26, v4
	v_and_b32_e32 v2, v2, v4
	v_lshlrev_b32_e32 v4, 27, v19
	v_cmp_gt_i64_e64 s[26:27], 0, v[3:4]
	v_not_b32_e32 v4, v4
	;; [unrolled: 8-line block ×4, first 2 shown]
	v_ashrrev_i32_e32 v4, 31, v4
	v_and_b32_e32 v1, v1, v44
	v_xor_b32_e32 v44, s27, v4
	v_xor_b32_e32 v4, s26, v4
	v_and_b32_e32 v1, v1, v44
	v_and_b32_e32 v44, v2, v4
	v_lshlrev_b32_e32 v4, 24, v19
	v_cmp_gt_i64_e64 s[26:27], 0, v[3:4]
	v_not_b32_e32 v2, v4
	v_ashrrev_i32_e32 v2, 31, v2
	v_xor_b32_e32 v4, s27, v2
	v_xor_b32_e32 v45, s26, v2
	v_and_b32_e32 v2, v1, v4
	v_and_b32_e32 v1, v44, v45
	v_mbcnt_lo_u32_b32 v4, v1, 0
	v_mbcnt_hi_u32_b32 v44, v2, v4
	v_cmp_ne_u64_e64 s[26:27], 0, v[1:2]
	v_cmp_eq_u32_e64 s[28:29], 0, v44
	s_and_b64 s[28:29], s[26:27], s[28:29]
	v_add_u32_e32 v45, v12, v5
	; wave barrier
	s_and_saveexec_b64 s[26:27], s[28:29]
	s_cbranch_execz .LBB87_12
; %bb.11:                               ;   in Loop: Header=BB87_2 Depth=1
	v_bcnt_u32_b32 v1, v1, 0
	v_bcnt_u32_b32 v1, v2, v1
	s_waitcnt lgkmcnt(0)
	v_add_u32_e32 v1, v43, v1
	ds_write_b32 v45, v1 offset:20
.LBB87_12:                              ;   in Loop: Header=BB87_2 Depth=1
	s_or_b64 exec, exec, s[26:27]
	v_and_b32_e32 v1, 0xff, v18
	v_mul_u32_u24_e32 v5, 20, v1
	v_mad_u32_u24 v1, v1, 20, v12
	; wave barrier
	ds_read_b32 v46, v1 offset:20
	v_and_b32_e32 v1, 1, v18
	v_add_co_u32_e64 v2, s[26:27], -1, v1
	v_addc_co_u32_e64 v4, s[26:27], 0, -1, s[26:27]
	v_cmp_ne_u32_e64 s[26:27], 0, v1
	v_xor_b32_e32 v1, s27, v4
	v_lshlrev_b32_e32 v4, 30, v18
	v_xor_b32_e32 v2, s26, v2
	v_cmp_gt_i64_e64 s[26:27], 0, v[3:4]
	v_not_b32_e32 v4, v4
	v_ashrrev_i32_e32 v4, 31, v4
	v_and_b32_e32 v2, exec_lo, v2
	v_xor_b32_e32 v47, s27, v4
	v_xor_b32_e32 v4, s26, v4
	v_and_b32_e32 v2, v2, v4
	v_lshlrev_b32_e32 v4, 29, v18
	v_cmp_gt_i64_e64 s[26:27], 0, v[3:4]
	v_not_b32_e32 v4, v4
	v_and_b32_e32 v1, exec_hi, v1
	v_ashrrev_i32_e32 v4, 31, v4
	v_and_b32_e32 v1, v1, v47
	v_xor_b32_e32 v47, s27, v4
	v_xor_b32_e32 v4, s26, v4
	v_and_b32_e32 v2, v2, v4
	v_lshlrev_b32_e32 v4, 28, v18
	v_cmp_gt_i64_e64 s[26:27], 0, v[3:4]
	v_not_b32_e32 v4, v4
	v_ashrrev_i32_e32 v4, 31, v4
	v_and_b32_e32 v1, v1, v47
	v_xor_b32_e32 v47, s27, v4
	v_xor_b32_e32 v4, s26, v4
	v_and_b32_e32 v2, v2, v4
	v_lshlrev_b32_e32 v4, 27, v18
	v_cmp_gt_i64_e64 s[26:27], 0, v[3:4]
	v_not_b32_e32 v4, v4
	;; [unrolled: 8-line block ×4, first 2 shown]
	v_ashrrev_i32_e32 v4, 31, v4
	v_and_b32_e32 v1, v1, v47
	v_xor_b32_e32 v47, s27, v4
	v_xor_b32_e32 v4, s26, v4
	v_and_b32_e32 v1, v1, v47
	v_and_b32_e32 v47, v2, v4
	v_lshlrev_b32_e32 v4, 24, v18
	v_cmp_gt_i64_e64 s[26:27], 0, v[3:4]
	v_not_b32_e32 v2, v4
	v_ashrrev_i32_e32 v2, 31, v2
	v_xor_b32_e32 v4, s27, v2
	v_xor_b32_e32 v48, s26, v2
	v_and_b32_e32 v2, v1, v4
	v_and_b32_e32 v1, v47, v48
	v_mbcnt_lo_u32_b32 v4, v1, 0
	v_mbcnt_hi_u32_b32 v47, v2, v4
	v_cmp_ne_u64_e64 s[26:27], 0, v[1:2]
	v_cmp_eq_u32_e64 s[28:29], 0, v47
	s_and_b64 s[28:29], s[26:27], s[28:29]
	v_add_u32_e32 v48, v12, v5
	; wave barrier
	s_and_saveexec_b64 s[26:27], s[28:29]
	s_cbranch_execz .LBB87_14
; %bb.13:                               ;   in Loop: Header=BB87_2 Depth=1
	v_bcnt_u32_b32 v1, v1, 0
	v_bcnt_u32_b32 v1, v2, v1
	s_waitcnt lgkmcnt(0)
	v_add_u32_e32 v1, v46, v1
	ds_write_b32 v48, v1 offset:20
.LBB87_14:                              ;   in Loop: Header=BB87_2 Depth=1
	s_or_b64 exec, exec, s[26:27]
	v_and_b32_e32 v1, 0xff, v17
	v_mul_u32_u24_e32 v5, 20, v1
	v_mad_u32_u24 v1, v1, 20, v12
	; wave barrier
	ds_read_b32 v49, v1 offset:20
	v_and_b32_e32 v1, 1, v17
	v_add_co_u32_e64 v2, s[26:27], -1, v1
	v_addc_co_u32_e64 v4, s[26:27], 0, -1, s[26:27]
	v_cmp_ne_u32_e64 s[26:27], 0, v1
	v_xor_b32_e32 v1, s27, v4
	v_lshlrev_b32_e32 v4, 30, v17
	v_xor_b32_e32 v2, s26, v2
	v_cmp_gt_i64_e64 s[26:27], 0, v[3:4]
	v_not_b32_e32 v4, v4
	v_ashrrev_i32_e32 v4, 31, v4
	v_and_b32_e32 v2, exec_lo, v2
	v_xor_b32_e32 v50, s27, v4
	v_xor_b32_e32 v4, s26, v4
	v_and_b32_e32 v2, v2, v4
	v_lshlrev_b32_e32 v4, 29, v17
	v_cmp_gt_i64_e64 s[26:27], 0, v[3:4]
	v_not_b32_e32 v4, v4
	v_and_b32_e32 v1, exec_hi, v1
	v_ashrrev_i32_e32 v4, 31, v4
	v_and_b32_e32 v1, v1, v50
	v_xor_b32_e32 v50, s27, v4
	v_xor_b32_e32 v4, s26, v4
	v_and_b32_e32 v2, v2, v4
	v_lshlrev_b32_e32 v4, 28, v17
	v_cmp_gt_i64_e64 s[26:27], 0, v[3:4]
	v_not_b32_e32 v4, v4
	v_ashrrev_i32_e32 v4, 31, v4
	v_and_b32_e32 v1, v1, v50
	v_xor_b32_e32 v50, s27, v4
	v_xor_b32_e32 v4, s26, v4
	v_and_b32_e32 v2, v2, v4
	v_lshlrev_b32_e32 v4, 27, v17
	v_cmp_gt_i64_e64 s[26:27], 0, v[3:4]
	v_not_b32_e32 v4, v4
	;; [unrolled: 8-line block ×4, first 2 shown]
	v_ashrrev_i32_e32 v4, 31, v4
	v_and_b32_e32 v1, v1, v50
	v_xor_b32_e32 v50, s27, v4
	v_xor_b32_e32 v4, s26, v4
	v_and_b32_e32 v1, v1, v50
	v_and_b32_e32 v50, v2, v4
	v_lshlrev_b32_e32 v4, 24, v17
	v_cmp_gt_i64_e64 s[26:27], 0, v[3:4]
	v_not_b32_e32 v2, v4
	v_ashrrev_i32_e32 v2, 31, v2
	v_xor_b32_e32 v4, s27, v2
	v_xor_b32_e32 v51, s26, v2
	v_and_b32_e32 v2, v1, v4
	v_and_b32_e32 v1, v50, v51
	v_mbcnt_lo_u32_b32 v4, v1, 0
	v_mbcnt_hi_u32_b32 v50, v2, v4
	v_cmp_ne_u64_e64 s[26:27], 0, v[1:2]
	v_cmp_eq_u32_e64 s[28:29], 0, v50
	s_and_b64 s[28:29], s[26:27], s[28:29]
	v_add_u32_e32 v52, v12, v5
	; wave barrier
	s_and_saveexec_b64 s[26:27], s[28:29]
	s_cbranch_execz .LBB87_16
; %bb.15:                               ;   in Loop: Header=BB87_2 Depth=1
	v_bcnt_u32_b32 v1, v1, 0
	v_bcnt_u32_b32 v1, v2, v1
	s_waitcnt lgkmcnt(0)
	v_add_u32_e32 v1, v49, v1
	ds_write_b32 v52, v1 offset:20
.LBB87_16:                              ;   in Loop: Header=BB87_2 Depth=1
	s_or_b64 exec, exec, s[26:27]
	v_and_b32_e32 v1, 0xff, v16
	v_mul_u32_u24_e32 v5, 20, v1
	v_mad_u32_u24 v1, v1, 20, v12
	; wave barrier
	ds_read_b32 v51, v1 offset:20
	v_and_b32_e32 v1, 1, v16
	v_add_co_u32_e64 v2, s[26:27], -1, v1
	v_addc_co_u32_e64 v4, s[26:27], 0, -1, s[26:27]
	v_cmp_ne_u32_e64 s[26:27], 0, v1
	v_xor_b32_e32 v1, s27, v4
	v_lshlrev_b32_e32 v4, 30, v16
	v_xor_b32_e32 v2, s26, v2
	v_cmp_gt_i64_e64 s[26:27], 0, v[3:4]
	v_not_b32_e32 v4, v4
	v_ashrrev_i32_e32 v4, 31, v4
	v_and_b32_e32 v2, exec_lo, v2
	v_xor_b32_e32 v53, s27, v4
	v_xor_b32_e32 v4, s26, v4
	v_and_b32_e32 v2, v2, v4
	v_lshlrev_b32_e32 v4, 29, v16
	v_cmp_gt_i64_e64 s[26:27], 0, v[3:4]
	v_not_b32_e32 v4, v4
	v_and_b32_e32 v1, exec_hi, v1
	v_ashrrev_i32_e32 v4, 31, v4
	v_and_b32_e32 v1, v1, v53
	v_xor_b32_e32 v53, s27, v4
	v_xor_b32_e32 v4, s26, v4
	v_and_b32_e32 v2, v2, v4
	v_lshlrev_b32_e32 v4, 28, v16
	v_cmp_gt_i64_e64 s[26:27], 0, v[3:4]
	v_not_b32_e32 v4, v4
	v_ashrrev_i32_e32 v4, 31, v4
	v_and_b32_e32 v1, v1, v53
	v_xor_b32_e32 v53, s27, v4
	v_xor_b32_e32 v4, s26, v4
	v_and_b32_e32 v2, v2, v4
	v_lshlrev_b32_e32 v4, 27, v16
	v_cmp_gt_i64_e64 s[26:27], 0, v[3:4]
	v_not_b32_e32 v4, v4
	;; [unrolled: 8-line block ×4, first 2 shown]
	v_ashrrev_i32_e32 v4, 31, v4
	v_and_b32_e32 v1, v1, v53
	v_xor_b32_e32 v53, s27, v4
	v_xor_b32_e32 v4, s26, v4
	v_and_b32_e32 v1, v1, v53
	v_and_b32_e32 v53, v2, v4
	v_lshlrev_b32_e32 v4, 24, v16
	v_cmp_gt_i64_e64 s[26:27], 0, v[3:4]
	v_not_b32_e32 v2, v4
	v_ashrrev_i32_e32 v2, 31, v2
	v_xor_b32_e32 v4, s27, v2
	v_xor_b32_e32 v54, s26, v2
	v_and_b32_e32 v2, v1, v4
	v_and_b32_e32 v1, v53, v54
	v_mbcnt_lo_u32_b32 v4, v1, 0
	v_mbcnt_hi_u32_b32 v53, v2, v4
	v_cmp_ne_u64_e64 s[26:27], 0, v[1:2]
	v_cmp_eq_u32_e64 s[28:29], 0, v53
	s_and_b64 s[28:29], s[26:27], s[28:29]
	v_add_u32_e32 v54, v12, v5
	; wave barrier
	s_and_saveexec_b64 s[26:27], s[28:29]
	s_cbranch_execz .LBB87_18
; %bb.17:                               ;   in Loop: Header=BB87_2 Depth=1
	v_bcnt_u32_b32 v1, v1, 0
	v_bcnt_u32_b32 v1, v2, v1
	s_waitcnt lgkmcnt(0)
	v_add_u32_e32 v1, v51, v1
	ds_write_b32 v54, v1 offset:20
.LBB87_18:                              ;   in Loop: Header=BB87_2 Depth=1
	s_or_b64 exec, exec, s[26:27]
	; wave barrier
	s_waitcnt lgkmcnt(0)
	s_barrier
	ds_read2_b32 v[4:5], v6 offset0:5 offset1:6
	ds_read2_b32 v[1:2], v6 offset0:7 offset1:8
	s_waitcnt lgkmcnt(1)
	v_add_u32_e32 v55, v5, v4
	s_waitcnt lgkmcnt(0)
	v_add3_u32 v2, v55, v1, v2
	s_nop 1
	v_mov_b32_dpp v55, v2 row_shr:1 row_mask:0xf bank_mask:0xf
	v_cndmask_b32_e64 v55, v55, 0, s[8:9]
	v_add_u32_e32 v2, v55, v2
	s_nop 1
	v_mov_b32_dpp v55, v2 row_shr:2 row_mask:0xf bank_mask:0xf
	v_cndmask_b32_e64 v55, 0, v55, s[10:11]
	v_add_u32_e32 v2, v2, v55
	;; [unrolled: 4-line block ×4, first 2 shown]
	s_nop 1
	v_mov_b32_dpp v55, v2 row_bcast:15 row_mask:0xf bank_mask:0xf
	v_cndmask_b32_e64 v55, v55, 0, s[16:17]
	v_add_u32_e32 v2, v2, v55
	s_nop 1
	v_mov_b32_dpp v55, v2 row_bcast:31 row_mask:0xf bank_mask:0xf
	v_cndmask_b32_e64 v55, 0, v55, s[6:7]
	v_add_u32_e32 v2, v2, v55
	s_and_saveexec_b64 s[26:27], s[24:25]
; %bb.19:                               ;   in Loop: Header=BB87_2 Depth=1
	ds_write_b32 v9, v2
; %bb.20:                               ;   in Loop: Header=BB87_2 Depth=1
	s_or_b64 exec, exec, s[26:27]
	s_waitcnt lgkmcnt(0)
	s_barrier
	s_and_saveexec_b64 s[26:27], vcc
	s_cbranch_execz .LBB87_22
; %bb.21:                               ;   in Loop: Header=BB87_2 Depth=1
	ds_read_b32 v55, v14
	s_waitcnt lgkmcnt(0)
	s_nop 0
	v_mov_b32_dpp v56, v55 row_shr:1 row_mask:0xf bank_mask:0xf
	v_cndmask_b32_e64 v56, v56, 0, s[18:19]
	v_add_u32_e32 v55, v56, v55
	s_nop 1
	v_mov_b32_dpp v56, v55 row_shr:2 row_mask:0xf bank_mask:0xf
	v_cndmask_b32_e64 v56, 0, v56, s[20:21]
	v_add_u32_e32 v55, v55, v56
	;; [unrolled: 4-line block ×3, first 2 shown]
	ds_write_b32 v14, v55
.LBB87_22:                              ;   in Loop: Header=BB87_2 Depth=1
	s_or_b64 exec, exec, s[26:27]
	v_mov_b32_e32 v55, 0
	s_waitcnt lgkmcnt(0)
	s_barrier
	s_and_saveexec_b64 s[26:27], s[0:1]
	s_cbranch_execz .LBB87_1
; %bb.23:                               ;   in Loop: Header=BB87_2 Depth=1
	ds_read_b32 v55, v10
	s_branch .LBB87_1
.LBB87_24:
	v_lshrrev_b32_e32 v6, 8, v4
	s_waitcnt lgkmcnt(0)
	v_lshrrev_b32_e32 v7, 8, v1
	s_add_u32 s0, s30, s33
	v_add_u16_e32 v3, v4, v1
	v_add_u16_e32 v6, v6, v7
	v_add_u16_sdwa v7, v4, v1 dst_sel:DWORD dst_unused:UNUSED_PAD src0_sel:WORD_1 src1_sel:WORD_1
	v_add_u16_sdwa v4, v4, v1 dst_sel:DWORD dst_unused:UNUSED_PAD src0_sel:BYTE_3 src1_sel:BYTE_3
	v_lshrrev_b32_e32 v1, 8, v5
	v_lshrrev_b32_e32 v9, 8, v2
	s_addc_u32 s1, s31, 0
	v_add_u16_e32 v9, v1, v9
	v_mov_b32_e32 v1, s1
	v_add_co_u32_e32 v0, vcc, s0, v0
	v_addc_co_u32_e32 v1, vcc, 0, v1, vcc
	v_add_u16_e32 v8, v5, v2
	v_add_u16_sdwa v10, v5, v2 dst_sel:DWORD dst_unused:UNUSED_PAD src0_sel:WORD_1 src1_sel:WORD_1
	v_add_u16_sdwa v2, v5, v2 dst_sel:DWORD dst_unused:UNUSED_PAD src0_sel:BYTE_3 src1_sel:BYTE_3
	global_store_byte v[0:1], v3, off
	global_store_byte v[0:1], v6, off offset:320
	global_store_byte v[0:1], v7, off offset:640
	;; [unrolled: 1-line block ×7, first 2 shown]
	s_endpgm
	.section	.rodata,"a",@progbits
	.p2align	6, 0x0
	.amdhsa_kernel _Z17sort_pairs_kernelI22helper_blocked_blockedaLj320ELj8ELj10EEvPKT0_PS1_
		.amdhsa_group_segment_fixed_size 5152
		.amdhsa_private_segment_fixed_size 0
		.amdhsa_kernarg_size 272
		.amdhsa_user_sgpr_count 6
		.amdhsa_user_sgpr_private_segment_buffer 1
		.amdhsa_user_sgpr_dispatch_ptr 0
		.amdhsa_user_sgpr_queue_ptr 0
		.amdhsa_user_sgpr_kernarg_segment_ptr 1
		.amdhsa_user_sgpr_dispatch_id 0
		.amdhsa_user_sgpr_flat_scratch_init 0
		.amdhsa_user_sgpr_private_segment_size 0
		.amdhsa_uses_dynamic_stack 0
		.amdhsa_system_sgpr_private_segment_wavefront_offset 0
		.amdhsa_system_sgpr_workgroup_id_x 1
		.amdhsa_system_sgpr_workgroup_id_y 0
		.amdhsa_system_sgpr_workgroup_id_z 0
		.amdhsa_system_sgpr_workgroup_info 0
		.amdhsa_system_vgpr_workitem_id 2
		.amdhsa_next_free_vgpr 57
		.amdhsa_next_free_sgpr 38
		.amdhsa_reserve_vcc 1
		.amdhsa_reserve_flat_scratch 0
		.amdhsa_float_round_mode_32 0
		.amdhsa_float_round_mode_16_64 0
		.amdhsa_float_denorm_mode_32 3
		.amdhsa_float_denorm_mode_16_64 3
		.amdhsa_dx10_clamp 1
		.amdhsa_ieee_mode 1
		.amdhsa_fp16_overflow 0
		.amdhsa_exception_fp_ieee_invalid_op 0
		.amdhsa_exception_fp_denorm_src 0
		.amdhsa_exception_fp_ieee_div_zero 0
		.amdhsa_exception_fp_ieee_overflow 0
		.amdhsa_exception_fp_ieee_underflow 0
		.amdhsa_exception_fp_ieee_inexact 0
		.amdhsa_exception_int_div_zero 0
	.end_amdhsa_kernel
	.section	.text._Z17sort_pairs_kernelI22helper_blocked_blockedaLj320ELj8ELj10EEvPKT0_PS1_,"axG",@progbits,_Z17sort_pairs_kernelI22helper_blocked_blockedaLj320ELj8ELj10EEvPKT0_PS1_,comdat
.Lfunc_end87:
	.size	_Z17sort_pairs_kernelI22helper_blocked_blockedaLj320ELj8ELj10EEvPKT0_PS1_, .Lfunc_end87-_Z17sort_pairs_kernelI22helper_blocked_blockedaLj320ELj8ELj10EEvPKT0_PS1_
                                        ; -- End function
	.set _Z17sort_pairs_kernelI22helper_blocked_blockedaLj320ELj8ELj10EEvPKT0_PS1_.num_vgpr, 57
	.set _Z17sort_pairs_kernelI22helper_blocked_blockedaLj320ELj8ELj10EEvPKT0_PS1_.num_agpr, 0
	.set _Z17sort_pairs_kernelI22helper_blocked_blockedaLj320ELj8ELj10EEvPKT0_PS1_.numbered_sgpr, 38
	.set _Z17sort_pairs_kernelI22helper_blocked_blockedaLj320ELj8ELj10EEvPKT0_PS1_.num_named_barrier, 0
	.set _Z17sort_pairs_kernelI22helper_blocked_blockedaLj320ELj8ELj10EEvPKT0_PS1_.private_seg_size, 0
	.set _Z17sort_pairs_kernelI22helper_blocked_blockedaLj320ELj8ELj10EEvPKT0_PS1_.uses_vcc, 1
	.set _Z17sort_pairs_kernelI22helper_blocked_blockedaLj320ELj8ELj10EEvPKT0_PS1_.uses_flat_scratch, 0
	.set _Z17sort_pairs_kernelI22helper_blocked_blockedaLj320ELj8ELj10EEvPKT0_PS1_.has_dyn_sized_stack, 0
	.set _Z17sort_pairs_kernelI22helper_blocked_blockedaLj320ELj8ELj10EEvPKT0_PS1_.has_recursion, 0
	.set _Z17sort_pairs_kernelI22helper_blocked_blockedaLj320ELj8ELj10EEvPKT0_PS1_.has_indirect_call, 0
	.section	.AMDGPU.csdata,"",@progbits
; Kernel info:
; codeLenInByte = 5176
; TotalNumSgprs: 42
; NumVgprs: 57
; ScratchSize: 0
; MemoryBound: 0
; FloatMode: 240
; IeeeMode: 1
; LDSByteSize: 5152 bytes/workgroup (compile time only)
; SGPRBlocks: 5
; VGPRBlocks: 14
; NumSGPRsForWavesPerEU: 42
; NumVGPRsForWavesPerEU: 57
; Occupancy: 4
; WaveLimiterHint : 1
; COMPUTE_PGM_RSRC2:SCRATCH_EN: 0
; COMPUTE_PGM_RSRC2:USER_SGPR: 6
; COMPUTE_PGM_RSRC2:TRAP_HANDLER: 0
; COMPUTE_PGM_RSRC2:TGID_X_EN: 1
; COMPUTE_PGM_RSRC2:TGID_Y_EN: 0
; COMPUTE_PGM_RSRC2:TGID_Z_EN: 0
; COMPUTE_PGM_RSRC2:TIDIG_COMP_CNT: 2
	.section	.text._Z16sort_keys_kernelI22helper_blocked_blockedaLj512ELj1ELj10EEvPKT0_PS1_,"axG",@progbits,_Z16sort_keys_kernelI22helper_blocked_blockedaLj512ELj1ELj10EEvPKT0_PS1_,comdat
	.protected	_Z16sort_keys_kernelI22helper_blocked_blockedaLj512ELj1ELj10EEvPKT0_PS1_ ; -- Begin function _Z16sort_keys_kernelI22helper_blocked_blockedaLj512ELj1ELj10EEvPKT0_PS1_
	.globl	_Z16sort_keys_kernelI22helper_blocked_blockedaLj512ELj1ELj10EEvPKT0_PS1_
	.p2align	8
	.type	_Z16sort_keys_kernelI22helper_blocked_blockedaLj512ELj1ELj10EEvPKT0_PS1_,@function
_Z16sort_keys_kernelI22helper_blocked_blockedaLj512ELj1ELj10EEvPKT0_PS1_: ; @_Z16sort_keys_kernelI22helper_blocked_blockedaLj512ELj1ELj10EEvPKT0_PS1_
; %bb.0:
	s_load_dwordx4 s[28:31], s[4:5], 0x0
	s_load_dword s24, s[4:5], 0x1c
	s_lshl_b32 s33, s6, 9
	v_mbcnt_lo_u32_b32 v4, -1, 0
	v_mbcnt_hi_u32_b32 v4, -1, v4
	s_waitcnt lgkmcnt(0)
	s_add_u32 s0, s28, s33
	s_addc_u32 s1, s29, 0
	global_load_ubyte v3, v0, s[0:1]
	s_lshr_b32 s25, s24, 16
	s_and_b32 s24, s24, 0xffff
	v_mad_u32_u24 v1, v2, s25, v1
	v_mad_u64_u32 v[1:2], s[24:25], v1, s24, v[0:1]
	v_or_b32_e32 v6, 63, v0
	s_mov_b32 s10, 0
	v_cmp_eq_u32_e64 s[6:7], v0, v6
	v_subrev_co_u32_e64 v6, s[8:9], 1, v4
	v_and_b32_e32 v16, 64, v4
	v_lshrrev_b32_e32 v7, 4, v0
	s_mov_b32 s12, s10
	v_cmp_lt_i32_e64 s[20:21], v6, v16
	v_mul_u32_u24_e32 v13, 3, v0
	s_mov_b32 s11, s10
	s_mov_b32 s13, s10
	v_and_b32_e32 v14, 15, v4
	v_and_b32_e32 v15, 16, v4
	v_cmp_lt_u32_e64 s[4:5], 31, v4
	v_and_b32_e32 v12, 28, v7
	v_and_b32_e32 v17, 7, v4
	v_mov_b32_e32 v7, s10
	v_mov_b32_e32 v9, s12
	v_cndmask_b32_e64 v4, v6, v4, s[20:21]
	v_lshrrev_b32_e32 v1, 4, v1
	v_mov_b32_e32 v5, 0
	s_mov_b32 s34, 10
	v_lshlrev_b32_e32 v11, 4, v0
	v_cmp_gt_u32_e32 vcc, 8, v0
	v_cmp_lt_u32_e64 s[0:1], 63, v0
	v_cmp_eq_u32_e64 s[2:3], 0, v0
	v_mov_b32_e32 v8, s11
	v_mov_b32_e32 v10, s13
	v_add_u32_e32 v13, v0, v13
	v_cmp_eq_u32_e64 s[10:11], 0, v14
	v_cmp_lt_u32_e64 s[12:13], 1, v14
	v_cmp_lt_u32_e64 s[14:15], 3, v14
	;; [unrolled: 1-line block ×3, first 2 shown]
	v_cmp_eq_u32_e64 s[18:19], 0, v15
	v_cmp_eq_u32_e64 s[20:21], 0, v17
	v_cmp_lt_u32_e64 s[22:23], 1, v17
	v_cmp_lt_u32_e64 s[24:25], 3, v17
	v_add_u32_e32 v14, -4, v12
	v_lshlrev_b32_e32 v15, 2, v4
	v_and_b32_e32 v16, 0xffffffc, v1
	v_mov_b32_e32 v17, 5
	s_waitcnt vmcnt(0)
	v_xor_b32_e32 v18, 0xffffff80, v3
	s_branch .LBB88_2
.LBB88_1:                               ;   in Loop: Header=BB88_2 Depth=1
	s_or_b64 exec, exec, s[26:27]
	s_waitcnt lgkmcnt(0)
	v_add_u32_e32 v4, v20, v4
	ds_bpermute_b32 v4, v15, v4
	s_add_i32 s34, s34, -1
	s_cmp_eq_u32 s34, 0
	s_waitcnt lgkmcnt(0)
	v_cndmask_b32_e64 v4, v4, v20, s[8:9]
	v_cndmask_b32_e64 v20, v4, 0, s[2:3]
	v_add_u32_e32 v21, v20, v1
	v_add_u32_e32 v1, v21, v2
	;; [unrolled: 1-line block ×3, first 2 shown]
	ds_write2_b64 v11, v[20:21], v[1:2] offset0:4 offset1:5
	s_waitcnt lgkmcnt(0)
	s_barrier
	ds_read_b32 v1, v19 offset:32
	s_waitcnt lgkmcnt(0)
	s_barrier
	v_add_u32_e32 v1, v1, v6
	ds_write_b8 v1, v18
	s_waitcnt lgkmcnt(0)
	s_barrier
	ds_read_u8 v18, v0
	s_cbranch_scc1 .LBB88_10
.LBB88_2:                               ; =>This Inner Loop Header: Depth=1
	s_waitcnt lgkmcnt(0)
	v_and_b32_e32 v1, 1, v18
	v_add_co_u32_e64 v2, s[26:27], -1, v1
	v_addc_co_u32_e64 v4, s[26:27], 0, -1, s[26:27]
	v_cmp_ne_u32_e64 s[26:27], 0, v1
	v_lshlrev_b32_e32 v6, 30, v18
	v_xor_b32_e32 v1, s27, v4
	v_xor_b32_e32 v2, s26, v2
	v_cmp_gt_i64_e64 s[26:27], 0, v[5:6]
	v_not_b32_e32 v4, v6
	v_ashrrev_i32_e32 v4, 31, v4
	v_and_b32_e32 v1, exec_hi, v1
	v_xor_b32_e32 v6, s27, v4
	v_and_b32_e32 v2, exec_lo, v2
	v_xor_b32_e32 v4, s26, v4
	v_and_b32_e32 v1, v1, v6
	v_lshlrev_b32_e32 v6, 29, v18
	v_and_b32_e32 v2, v2, v4
	v_cmp_gt_i64_e64 s[26:27], 0, v[5:6]
	v_not_b32_e32 v4, v6
	v_ashrrev_i32_e32 v4, 31, v4
	v_xor_b32_e32 v6, s27, v4
	v_xor_b32_e32 v4, s26, v4
	v_and_b32_e32 v1, v1, v6
	v_lshlrev_b32_e32 v6, 28, v18
	v_and_b32_e32 v2, v2, v4
	v_cmp_gt_i64_e64 s[26:27], 0, v[5:6]
	v_not_b32_e32 v4, v6
	v_ashrrev_i32_e32 v4, 31, v4
	v_xor_b32_e32 v6, s27, v4
	v_xor_b32_e32 v4, s26, v4
	v_and_b32_e32 v1, v1, v6
	v_lshlrev_b32_e32 v6, 27, v18
	v_and_b32_e32 v2, v2, v4
	v_cmp_gt_i64_e64 s[26:27], 0, v[5:6]
	v_not_b32_e32 v4, v6
	v_ashrrev_i32_e32 v4, 31, v4
	v_xor_b32_e32 v6, s27, v4
	v_xor_b32_e32 v4, s26, v4
	v_and_b32_e32 v1, v1, v6
	v_lshlrev_b32_e32 v6, 26, v18
	v_and_b32_e32 v2, v2, v4
	v_cmp_gt_i64_e64 s[26:27], 0, v[5:6]
	v_not_b32_e32 v4, v6
	v_ashrrev_i32_e32 v4, 31, v4
	v_xor_b32_e32 v6, s27, v4
	v_xor_b32_e32 v4, s26, v4
	v_and_b32_e32 v1, v1, v6
	v_lshlrev_b32_e32 v6, 25, v18
	v_and_b32_e32 v2, v2, v4
	v_cmp_gt_i64_e64 s[26:27], 0, v[5:6]
	v_not_b32_e32 v4, v6
	v_ashrrev_i32_e32 v4, 31, v4
	v_xor_b32_e32 v6, s27, v4
	v_xor_b32_e32 v4, s26, v4
	v_and_b32_e32 v1, v1, v6
	v_lshlrev_b32_e32 v6, 24, v18
	v_and_b32_e32 v4, v2, v4
	v_cmp_gt_i64_e64 s[26:27], 0, v[5:6]
	v_not_b32_e32 v2, v6
	v_ashrrev_i32_e32 v2, 31, v2
	v_xor_b32_e32 v6, s27, v2
	v_xor_b32_e32 v19, s26, v2
	v_and_b32_e32 v2, v1, v6
	v_and_b32_e32 v1, v4, v19
	v_mbcnt_lo_u32_b32 v4, v1, 0
	v_mbcnt_hi_u32_b32 v6, v2, v4
	v_cmp_ne_u64_e64 s[26:27], 0, v[1:2]
	v_lshlrev_b32_sdwa v3, v17, v18 dst_sel:DWORD dst_unused:UNUSED_PAD src0_sel:DWORD src1_sel:BYTE_0
	v_cmp_eq_u32_e64 s[28:29], 0, v6
	s_and_b64 s[28:29], s[26:27], s[28:29]
	v_add_u32_e32 v19, v16, v3
	ds_write2_b64 v11, v[7:8], v[9:10] offset0:4 offset1:5
	s_waitcnt lgkmcnt(0)
	s_barrier
	; wave barrier
	s_and_saveexec_b64 s[26:27], s[28:29]
; %bb.3:                                ;   in Loop: Header=BB88_2 Depth=1
	v_bcnt_u32_b32 v1, v1, 0
	v_bcnt_u32_b32 v1, v2, v1
	ds_write_b32 v19, v1 offset:32
; %bb.4:                                ;   in Loop: Header=BB88_2 Depth=1
	s_or_b64 exec, exec, s[26:27]
	; wave barrier
	s_waitcnt lgkmcnt(0)
	s_barrier
	ds_read2_b64 v[1:4], v11 offset0:4 offset1:5
	s_waitcnt lgkmcnt(0)
	v_add_u32_e32 v20, v2, v1
	v_add3_u32 v4, v20, v3, v4
	s_nop 1
	v_mov_b32_dpp v20, v4 row_shr:1 row_mask:0xf bank_mask:0xf
	v_cndmask_b32_e64 v20, v20, 0, s[10:11]
	v_add_u32_e32 v4, v20, v4
	s_nop 1
	v_mov_b32_dpp v20, v4 row_shr:2 row_mask:0xf bank_mask:0xf
	v_cndmask_b32_e64 v20, 0, v20, s[12:13]
	v_add_u32_e32 v4, v4, v20
	;; [unrolled: 4-line block ×4, first 2 shown]
	s_nop 1
	v_mov_b32_dpp v20, v4 row_bcast:15 row_mask:0xf bank_mask:0xf
	v_cndmask_b32_e64 v20, v20, 0, s[18:19]
	v_add_u32_e32 v4, v4, v20
	s_nop 1
	v_mov_b32_dpp v20, v4 row_bcast:31 row_mask:0xf bank_mask:0xf
	v_cndmask_b32_e64 v20, 0, v20, s[4:5]
	v_add_u32_e32 v4, v4, v20
	s_and_saveexec_b64 s[26:27], s[6:7]
; %bb.5:                                ;   in Loop: Header=BB88_2 Depth=1
	ds_write_b32 v12, v4
; %bb.6:                                ;   in Loop: Header=BB88_2 Depth=1
	s_or_b64 exec, exec, s[26:27]
	s_waitcnt lgkmcnt(0)
	s_barrier
	s_and_saveexec_b64 s[26:27], vcc
	s_cbranch_execz .LBB88_8
; %bb.7:                                ;   in Loop: Header=BB88_2 Depth=1
	ds_read_b32 v20, v13
	s_waitcnt lgkmcnt(0)
	s_nop 0
	v_mov_b32_dpp v21, v20 row_shr:1 row_mask:0xf bank_mask:0xf
	v_cndmask_b32_e64 v21, v21, 0, s[20:21]
	v_add_u32_e32 v20, v21, v20
	s_nop 1
	v_mov_b32_dpp v21, v20 row_shr:2 row_mask:0xf bank_mask:0xf
	v_cndmask_b32_e64 v21, 0, v21, s[22:23]
	v_add_u32_e32 v20, v20, v21
	;; [unrolled: 4-line block ×3, first 2 shown]
	ds_write_b32 v13, v20
.LBB88_8:                               ;   in Loop: Header=BB88_2 Depth=1
	s_or_b64 exec, exec, s[26:27]
	v_mov_b32_e32 v20, 0
	s_waitcnt lgkmcnt(0)
	s_barrier
	s_and_saveexec_b64 s[26:27], s[0:1]
	s_cbranch_execz .LBB88_1
; %bb.9:                                ;   in Loop: Header=BB88_2 Depth=1
	ds_read_b32 v20, v14
	s_branch .LBB88_1
.LBB88_10:
	s_add_u32 s0, s30, s33
	s_addc_u32 s1, s31, 0
	v_mov_b32_e32 v1, s1
	v_add_co_u32_e32 v0, vcc, s0, v0
	s_waitcnt lgkmcnt(0)
	v_xor_b32_e32 v2, 0x80, v18
	v_addc_co_u32_e32 v1, vcc, 0, v1, vcc
	global_store_byte v[0:1], v2, off
	s_endpgm
	.section	.rodata,"a",@progbits
	.p2align	6, 0x0
	.amdhsa_kernel _Z16sort_keys_kernelI22helper_blocked_blockedaLj512ELj1ELj10EEvPKT0_PS1_
		.amdhsa_group_segment_fixed_size 8224
		.amdhsa_private_segment_fixed_size 0
		.amdhsa_kernarg_size 272
		.amdhsa_user_sgpr_count 6
		.amdhsa_user_sgpr_private_segment_buffer 1
		.amdhsa_user_sgpr_dispatch_ptr 0
		.amdhsa_user_sgpr_queue_ptr 0
		.amdhsa_user_sgpr_kernarg_segment_ptr 1
		.amdhsa_user_sgpr_dispatch_id 0
		.amdhsa_user_sgpr_flat_scratch_init 0
		.amdhsa_user_sgpr_private_segment_size 0
		.amdhsa_uses_dynamic_stack 0
		.amdhsa_system_sgpr_private_segment_wavefront_offset 0
		.amdhsa_system_sgpr_workgroup_id_x 1
		.amdhsa_system_sgpr_workgroup_id_y 0
		.amdhsa_system_sgpr_workgroup_id_z 0
		.amdhsa_system_sgpr_workgroup_info 0
		.amdhsa_system_vgpr_workitem_id 2
		.amdhsa_next_free_vgpr 22
		.amdhsa_next_free_sgpr 35
		.amdhsa_reserve_vcc 1
		.amdhsa_reserve_flat_scratch 0
		.amdhsa_float_round_mode_32 0
		.amdhsa_float_round_mode_16_64 0
		.amdhsa_float_denorm_mode_32 3
		.amdhsa_float_denorm_mode_16_64 3
		.amdhsa_dx10_clamp 1
		.amdhsa_ieee_mode 1
		.amdhsa_fp16_overflow 0
		.amdhsa_exception_fp_ieee_invalid_op 0
		.amdhsa_exception_fp_denorm_src 0
		.amdhsa_exception_fp_ieee_div_zero 0
		.amdhsa_exception_fp_ieee_overflow 0
		.amdhsa_exception_fp_ieee_underflow 0
		.amdhsa_exception_fp_ieee_inexact 0
		.amdhsa_exception_int_div_zero 0
	.end_amdhsa_kernel
	.section	.text._Z16sort_keys_kernelI22helper_blocked_blockedaLj512ELj1ELj10EEvPKT0_PS1_,"axG",@progbits,_Z16sort_keys_kernelI22helper_blocked_blockedaLj512ELj1ELj10EEvPKT0_PS1_,comdat
.Lfunc_end88:
	.size	_Z16sort_keys_kernelI22helper_blocked_blockedaLj512ELj1ELj10EEvPKT0_PS1_, .Lfunc_end88-_Z16sort_keys_kernelI22helper_blocked_blockedaLj512ELj1ELj10EEvPKT0_PS1_
                                        ; -- End function
	.set _Z16sort_keys_kernelI22helper_blocked_blockedaLj512ELj1ELj10EEvPKT0_PS1_.num_vgpr, 22
	.set _Z16sort_keys_kernelI22helper_blocked_blockedaLj512ELj1ELj10EEvPKT0_PS1_.num_agpr, 0
	.set _Z16sort_keys_kernelI22helper_blocked_blockedaLj512ELj1ELj10EEvPKT0_PS1_.numbered_sgpr, 35
	.set _Z16sort_keys_kernelI22helper_blocked_blockedaLj512ELj1ELj10EEvPKT0_PS1_.num_named_barrier, 0
	.set _Z16sort_keys_kernelI22helper_blocked_blockedaLj512ELj1ELj10EEvPKT0_PS1_.private_seg_size, 0
	.set _Z16sort_keys_kernelI22helper_blocked_blockedaLj512ELj1ELj10EEvPKT0_PS1_.uses_vcc, 1
	.set _Z16sort_keys_kernelI22helper_blocked_blockedaLj512ELj1ELj10EEvPKT0_PS1_.uses_flat_scratch, 0
	.set _Z16sort_keys_kernelI22helper_blocked_blockedaLj512ELj1ELj10EEvPKT0_PS1_.has_dyn_sized_stack, 0
	.set _Z16sort_keys_kernelI22helper_blocked_blockedaLj512ELj1ELj10EEvPKT0_PS1_.has_recursion, 0
	.set _Z16sort_keys_kernelI22helper_blocked_blockedaLj512ELj1ELj10EEvPKT0_PS1_.has_indirect_call, 0
	.section	.AMDGPU.csdata,"",@progbits
; Kernel info:
; codeLenInByte = 1228
; TotalNumSgprs: 39
; NumVgprs: 22
; ScratchSize: 0
; MemoryBound: 0
; FloatMode: 240
; IeeeMode: 1
; LDSByteSize: 8224 bytes/workgroup (compile time only)
; SGPRBlocks: 4
; VGPRBlocks: 5
; NumSGPRsForWavesPerEU: 39
; NumVGPRsForWavesPerEU: 22
; Occupancy: 10
; WaveLimiterHint : 0
; COMPUTE_PGM_RSRC2:SCRATCH_EN: 0
; COMPUTE_PGM_RSRC2:USER_SGPR: 6
; COMPUTE_PGM_RSRC2:TRAP_HANDLER: 0
; COMPUTE_PGM_RSRC2:TGID_X_EN: 1
; COMPUTE_PGM_RSRC2:TGID_Y_EN: 0
; COMPUTE_PGM_RSRC2:TGID_Z_EN: 0
; COMPUTE_PGM_RSRC2:TIDIG_COMP_CNT: 2
	.section	.text._Z17sort_pairs_kernelI22helper_blocked_blockedaLj512ELj1ELj10EEvPKT0_PS1_,"axG",@progbits,_Z17sort_pairs_kernelI22helper_blocked_blockedaLj512ELj1ELj10EEvPKT0_PS1_,comdat
	.protected	_Z17sort_pairs_kernelI22helper_blocked_blockedaLj512ELj1ELj10EEvPKT0_PS1_ ; -- Begin function _Z17sort_pairs_kernelI22helper_blocked_blockedaLj512ELj1ELj10EEvPKT0_PS1_
	.globl	_Z17sort_pairs_kernelI22helper_blocked_blockedaLj512ELj1ELj10EEvPKT0_PS1_
	.p2align	8
	.type	_Z17sort_pairs_kernelI22helper_blocked_blockedaLj512ELj1ELj10EEvPKT0_PS1_,@function
_Z17sort_pairs_kernelI22helper_blocked_blockedaLj512ELj1ELj10EEvPKT0_PS1_: ; @_Z17sort_pairs_kernelI22helper_blocked_blockedaLj512ELj1ELj10EEvPKT0_PS1_
; %bb.0:
	s_load_dwordx4 s[28:31], s[4:5], 0x0
	s_load_dword s24, s[4:5], 0x1c
	s_lshl_b32 s33, s6, 9
	v_mbcnt_lo_u32_b32 v4, -1, 0
	v_mbcnt_hi_u32_b32 v4, -1, v4
	s_waitcnt lgkmcnt(0)
	s_add_u32 s0, s28, s33
	s_addc_u32 s1, s29, 0
	global_load_ubyte v3, v0, s[0:1]
	s_lshr_b32 s25, s24, 16
	s_and_b32 s24, s24, 0xffff
	v_mad_u32_u24 v1, v2, s25, v1
	v_mad_u64_u32 v[1:2], s[24:25], v1, s24, v[0:1]
	v_or_b32_e32 v6, 63, v0
	s_mov_b32 s10, 0
	v_cmp_eq_u32_e64 s[6:7], v0, v6
	v_subrev_co_u32_e64 v6, s[8:9], 1, v4
	v_and_b32_e32 v16, 64, v4
	v_lshrrev_b32_e32 v7, 4, v0
	s_mov_b32 s12, s10
	v_cmp_lt_i32_e64 s[20:21], v6, v16
	v_mul_u32_u24_e32 v13, 3, v0
	s_mov_b32 s11, s10
	s_mov_b32 s13, s10
	v_and_b32_e32 v14, 15, v4
	v_and_b32_e32 v15, 16, v4
	v_cmp_lt_u32_e64 s[4:5], 31, v4
	v_and_b32_e32 v12, 28, v7
	v_and_b32_e32 v17, 7, v4
	v_mov_b32_e32 v7, s10
	v_mov_b32_e32 v9, s12
	v_cndmask_b32_e64 v4, v6, v4, s[20:21]
	v_lshrrev_b32_e32 v1, 4, v1
	v_mov_b32_e32 v5, 0
	s_mov_b32 s34, 10
	v_lshlrev_b32_e32 v11, 4, v0
	v_cmp_gt_u32_e32 vcc, 8, v0
	v_cmp_lt_u32_e64 s[0:1], 63, v0
	v_cmp_eq_u32_e64 s[2:3], 0, v0
	v_mov_b32_e32 v8, s11
	v_mov_b32_e32 v10, s13
	v_add_u32_e32 v13, v0, v13
	v_cmp_eq_u32_e64 s[10:11], 0, v14
	v_cmp_lt_u32_e64 s[12:13], 1, v14
	v_cmp_lt_u32_e64 s[14:15], 3, v14
	;; [unrolled: 1-line block ×3, first 2 shown]
	v_cmp_eq_u32_e64 s[18:19], 0, v15
	v_cmp_eq_u32_e64 s[20:21], 0, v17
	v_cmp_lt_u32_e64 s[22:23], 1, v17
	v_cmp_lt_u32_e64 s[24:25], 3, v17
	v_add_u32_e32 v14, -4, v12
	v_lshlrev_b32_e32 v15, 2, v4
	v_and_b32_e32 v16, 0xffffffc, v1
	v_mov_b32_e32 v17, 5
	s_waitcnt vmcnt(0)
	v_add_u16_e32 v18, 1, v3
	v_xor_b32_e32 v19, 0xffffff80, v3
	s_branch .LBB89_2
.LBB89_1:                               ;   in Loop: Header=BB89_2 Depth=1
	s_or_b64 exec, exec, s[26:27]
	s_waitcnt lgkmcnt(0)
	v_add_u32_e32 v4, v21, v4
	ds_bpermute_b32 v4, v15, v4
	s_add_i32 s34, s34, -1
	s_cmp_eq_u32 s34, 0
	s_waitcnt lgkmcnt(0)
	v_cndmask_b32_e64 v4, v4, v21, s[8:9]
	v_cndmask_b32_e64 v21, v4, 0, s[2:3]
	v_add_u32_e32 v22, v21, v1
	v_add_u32_e32 v1, v22, v2
	;; [unrolled: 1-line block ×3, first 2 shown]
	ds_write2_b64 v11, v[21:22], v[1:2] offset0:4 offset1:5
	s_waitcnt lgkmcnt(0)
	s_barrier
	ds_read_b32 v1, v20 offset:32
	s_waitcnt lgkmcnt(0)
	s_barrier
	v_add_u32_e32 v1, v1, v6
	ds_write_b8 v1, v19
	s_waitcnt lgkmcnt(0)
	s_barrier
	ds_read_u8 v19, v0
	s_waitcnt lgkmcnt(0)
	s_barrier
	ds_write_b8 v1, v18
	s_waitcnt lgkmcnt(0)
	s_barrier
	ds_read_u8 v18, v0
	s_cbranch_scc1 .LBB89_10
.LBB89_2:                               ; =>This Inner Loop Header: Depth=1
	v_and_b32_e32 v1, 1, v19
	v_add_co_u32_e64 v2, s[26:27], -1, v1
	v_addc_co_u32_e64 v4, s[26:27], 0, -1, s[26:27]
	v_cmp_ne_u32_e64 s[26:27], 0, v1
	v_lshlrev_b32_e32 v6, 30, v19
	v_xor_b32_e32 v1, s27, v4
	v_xor_b32_e32 v2, s26, v2
	v_cmp_gt_i64_e64 s[26:27], 0, v[5:6]
	v_not_b32_e32 v4, v6
	v_ashrrev_i32_e32 v4, 31, v4
	v_and_b32_e32 v1, exec_hi, v1
	v_xor_b32_e32 v6, s27, v4
	v_and_b32_e32 v2, exec_lo, v2
	v_xor_b32_e32 v4, s26, v4
	v_and_b32_e32 v1, v1, v6
	v_lshlrev_b32_e32 v6, 29, v19
	v_and_b32_e32 v2, v2, v4
	v_cmp_gt_i64_e64 s[26:27], 0, v[5:6]
	v_not_b32_e32 v4, v6
	v_ashrrev_i32_e32 v4, 31, v4
	v_xor_b32_e32 v6, s27, v4
	v_xor_b32_e32 v4, s26, v4
	v_and_b32_e32 v1, v1, v6
	v_lshlrev_b32_e32 v6, 28, v19
	v_and_b32_e32 v2, v2, v4
	v_cmp_gt_i64_e64 s[26:27], 0, v[5:6]
	v_not_b32_e32 v4, v6
	v_ashrrev_i32_e32 v4, 31, v4
	v_xor_b32_e32 v6, s27, v4
	;; [unrolled: 8-line block ×6, first 2 shown]
	v_xor_b32_e32 v20, s26, v2
	v_and_b32_e32 v2, v1, v6
	v_and_b32_e32 v1, v4, v20
	v_mbcnt_lo_u32_b32 v4, v1, 0
	v_mbcnt_hi_u32_b32 v6, v2, v4
	v_cmp_ne_u64_e64 s[26:27], 0, v[1:2]
	v_lshlrev_b32_sdwa v3, v17, v19 dst_sel:DWORD dst_unused:UNUSED_PAD src0_sel:DWORD src1_sel:BYTE_0
	v_cmp_eq_u32_e64 s[28:29], 0, v6
	s_and_b64 s[28:29], s[26:27], s[28:29]
	v_add_u32_e32 v20, v16, v3
	ds_write2_b64 v11, v[7:8], v[9:10] offset0:4 offset1:5
	s_waitcnt lgkmcnt(0)
	s_barrier
	; wave barrier
	s_and_saveexec_b64 s[26:27], s[28:29]
; %bb.3:                                ;   in Loop: Header=BB89_2 Depth=1
	v_bcnt_u32_b32 v1, v1, 0
	v_bcnt_u32_b32 v1, v2, v1
	ds_write_b32 v20, v1 offset:32
; %bb.4:                                ;   in Loop: Header=BB89_2 Depth=1
	s_or_b64 exec, exec, s[26:27]
	; wave barrier
	s_waitcnt lgkmcnt(0)
	s_barrier
	ds_read2_b64 v[1:4], v11 offset0:4 offset1:5
	s_waitcnt lgkmcnt(0)
	v_add_u32_e32 v21, v2, v1
	v_add3_u32 v4, v21, v3, v4
	s_nop 1
	v_mov_b32_dpp v21, v4 row_shr:1 row_mask:0xf bank_mask:0xf
	v_cndmask_b32_e64 v21, v21, 0, s[10:11]
	v_add_u32_e32 v4, v21, v4
	s_nop 1
	v_mov_b32_dpp v21, v4 row_shr:2 row_mask:0xf bank_mask:0xf
	v_cndmask_b32_e64 v21, 0, v21, s[12:13]
	v_add_u32_e32 v4, v4, v21
	;; [unrolled: 4-line block ×4, first 2 shown]
	s_nop 1
	v_mov_b32_dpp v21, v4 row_bcast:15 row_mask:0xf bank_mask:0xf
	v_cndmask_b32_e64 v21, v21, 0, s[18:19]
	v_add_u32_e32 v4, v4, v21
	s_nop 1
	v_mov_b32_dpp v21, v4 row_bcast:31 row_mask:0xf bank_mask:0xf
	v_cndmask_b32_e64 v21, 0, v21, s[4:5]
	v_add_u32_e32 v4, v4, v21
	s_and_saveexec_b64 s[26:27], s[6:7]
; %bb.5:                                ;   in Loop: Header=BB89_2 Depth=1
	ds_write_b32 v12, v4
; %bb.6:                                ;   in Loop: Header=BB89_2 Depth=1
	s_or_b64 exec, exec, s[26:27]
	s_waitcnt lgkmcnt(0)
	s_barrier
	s_and_saveexec_b64 s[26:27], vcc
	s_cbranch_execz .LBB89_8
; %bb.7:                                ;   in Loop: Header=BB89_2 Depth=1
	ds_read_b32 v21, v13
	s_waitcnt lgkmcnt(0)
	s_nop 0
	v_mov_b32_dpp v22, v21 row_shr:1 row_mask:0xf bank_mask:0xf
	v_cndmask_b32_e64 v22, v22, 0, s[20:21]
	v_add_u32_e32 v21, v22, v21
	s_nop 1
	v_mov_b32_dpp v22, v21 row_shr:2 row_mask:0xf bank_mask:0xf
	v_cndmask_b32_e64 v22, 0, v22, s[22:23]
	v_add_u32_e32 v21, v21, v22
	;; [unrolled: 4-line block ×3, first 2 shown]
	ds_write_b32 v13, v21
.LBB89_8:                               ;   in Loop: Header=BB89_2 Depth=1
	s_or_b64 exec, exec, s[26:27]
	v_mov_b32_e32 v21, 0
	s_waitcnt lgkmcnt(0)
	s_barrier
	s_and_saveexec_b64 s[26:27], s[0:1]
	s_cbranch_execz .LBB89_1
; %bb.9:                                ;   in Loop: Header=BB89_2 Depth=1
	ds_read_b32 v21, v14
	s_branch .LBB89_1
.LBB89_10:
	s_add_u32 s0, s30, s33
	s_waitcnt lgkmcnt(0)
	v_add_u16_e32 v1, v18, v19
	s_addc_u32 s1, s31, 0
	v_add_u16_e32 v2, 0xff80, v1
	v_mov_b32_e32 v1, s1
	v_add_co_u32_e32 v0, vcc, s0, v0
	v_addc_co_u32_e32 v1, vcc, 0, v1, vcc
	global_store_byte v[0:1], v2, off
	s_endpgm
	.section	.rodata,"a",@progbits
	.p2align	6, 0x0
	.amdhsa_kernel _Z17sort_pairs_kernelI22helper_blocked_blockedaLj512ELj1ELj10EEvPKT0_PS1_
		.amdhsa_group_segment_fixed_size 8224
		.amdhsa_private_segment_fixed_size 0
		.amdhsa_kernarg_size 272
		.amdhsa_user_sgpr_count 6
		.amdhsa_user_sgpr_private_segment_buffer 1
		.amdhsa_user_sgpr_dispatch_ptr 0
		.amdhsa_user_sgpr_queue_ptr 0
		.amdhsa_user_sgpr_kernarg_segment_ptr 1
		.amdhsa_user_sgpr_dispatch_id 0
		.amdhsa_user_sgpr_flat_scratch_init 0
		.amdhsa_user_sgpr_private_segment_size 0
		.amdhsa_uses_dynamic_stack 0
		.amdhsa_system_sgpr_private_segment_wavefront_offset 0
		.amdhsa_system_sgpr_workgroup_id_x 1
		.amdhsa_system_sgpr_workgroup_id_y 0
		.amdhsa_system_sgpr_workgroup_id_z 0
		.amdhsa_system_sgpr_workgroup_info 0
		.amdhsa_system_vgpr_workitem_id 2
		.amdhsa_next_free_vgpr 23
		.amdhsa_next_free_sgpr 35
		.amdhsa_reserve_vcc 1
		.amdhsa_reserve_flat_scratch 0
		.amdhsa_float_round_mode_32 0
		.amdhsa_float_round_mode_16_64 0
		.amdhsa_float_denorm_mode_32 3
		.amdhsa_float_denorm_mode_16_64 3
		.amdhsa_dx10_clamp 1
		.amdhsa_ieee_mode 1
		.amdhsa_fp16_overflow 0
		.amdhsa_exception_fp_ieee_invalid_op 0
		.amdhsa_exception_fp_denorm_src 0
		.amdhsa_exception_fp_ieee_div_zero 0
		.amdhsa_exception_fp_ieee_overflow 0
		.amdhsa_exception_fp_ieee_underflow 0
		.amdhsa_exception_fp_ieee_inexact 0
		.amdhsa_exception_int_div_zero 0
	.end_amdhsa_kernel
	.section	.text._Z17sort_pairs_kernelI22helper_blocked_blockedaLj512ELj1ELj10EEvPKT0_PS1_,"axG",@progbits,_Z17sort_pairs_kernelI22helper_blocked_blockedaLj512ELj1ELj10EEvPKT0_PS1_,comdat
.Lfunc_end89:
	.size	_Z17sort_pairs_kernelI22helper_blocked_blockedaLj512ELj1ELj10EEvPKT0_PS1_, .Lfunc_end89-_Z17sort_pairs_kernelI22helper_blocked_blockedaLj512ELj1ELj10EEvPKT0_PS1_
                                        ; -- End function
	.set _Z17sort_pairs_kernelI22helper_blocked_blockedaLj512ELj1ELj10EEvPKT0_PS1_.num_vgpr, 23
	.set _Z17sort_pairs_kernelI22helper_blocked_blockedaLj512ELj1ELj10EEvPKT0_PS1_.num_agpr, 0
	.set _Z17sort_pairs_kernelI22helper_blocked_blockedaLj512ELj1ELj10EEvPKT0_PS1_.numbered_sgpr, 35
	.set _Z17sort_pairs_kernelI22helper_blocked_blockedaLj512ELj1ELj10EEvPKT0_PS1_.num_named_barrier, 0
	.set _Z17sort_pairs_kernelI22helper_blocked_blockedaLj512ELj1ELj10EEvPKT0_PS1_.private_seg_size, 0
	.set _Z17sort_pairs_kernelI22helper_blocked_blockedaLj512ELj1ELj10EEvPKT0_PS1_.uses_vcc, 1
	.set _Z17sort_pairs_kernelI22helper_blocked_blockedaLj512ELj1ELj10EEvPKT0_PS1_.uses_flat_scratch, 0
	.set _Z17sort_pairs_kernelI22helper_blocked_blockedaLj512ELj1ELj10EEvPKT0_PS1_.has_dyn_sized_stack, 0
	.set _Z17sort_pairs_kernelI22helper_blocked_blockedaLj512ELj1ELj10EEvPKT0_PS1_.has_recursion, 0
	.set _Z17sort_pairs_kernelI22helper_blocked_blockedaLj512ELj1ELj10EEvPKT0_PS1_.has_indirect_call, 0
	.section	.AMDGPU.csdata,"",@progbits
; Kernel info:
; codeLenInByte = 1264
; TotalNumSgprs: 39
; NumVgprs: 23
; ScratchSize: 0
; MemoryBound: 0
; FloatMode: 240
; IeeeMode: 1
; LDSByteSize: 8224 bytes/workgroup (compile time only)
; SGPRBlocks: 4
; VGPRBlocks: 5
; NumSGPRsForWavesPerEU: 39
; NumVGPRsForWavesPerEU: 23
; Occupancy: 10
; WaveLimiterHint : 0
; COMPUTE_PGM_RSRC2:SCRATCH_EN: 0
; COMPUTE_PGM_RSRC2:USER_SGPR: 6
; COMPUTE_PGM_RSRC2:TRAP_HANDLER: 0
; COMPUTE_PGM_RSRC2:TGID_X_EN: 1
; COMPUTE_PGM_RSRC2:TGID_Y_EN: 0
; COMPUTE_PGM_RSRC2:TGID_Z_EN: 0
; COMPUTE_PGM_RSRC2:TIDIG_COMP_CNT: 2
	.section	.text._Z16sort_keys_kernelI22helper_blocked_blockedaLj512ELj3ELj10EEvPKT0_PS1_,"axG",@progbits,_Z16sort_keys_kernelI22helper_blocked_blockedaLj512ELj3ELj10EEvPKT0_PS1_,comdat
	.protected	_Z16sort_keys_kernelI22helper_blocked_blockedaLj512ELj3ELj10EEvPKT0_PS1_ ; -- Begin function _Z16sort_keys_kernelI22helper_blocked_blockedaLj512ELj3ELj10EEvPKT0_PS1_
	.globl	_Z16sort_keys_kernelI22helper_blocked_blockedaLj512ELj3ELj10EEvPKT0_PS1_
	.p2align	8
	.type	_Z16sort_keys_kernelI22helper_blocked_blockedaLj512ELj3ELj10EEvPKT0_PS1_,@function
_Z16sort_keys_kernelI22helper_blocked_blockedaLj512ELj3ELj10EEvPKT0_PS1_: ; @_Z16sort_keys_kernelI22helper_blocked_blockedaLj512ELj3ELj10EEvPKT0_PS1_
; %bb.0:
	s_load_dwordx4 s[28:31], s[4:5], 0x0
	s_load_dword s2, s[4:5], 0x1c
	s_mul_i32 s33, s6, 0x600
	v_mbcnt_lo_u32_b32 v7, -1, 0
	v_mbcnt_hi_u32_b32 v7, -1, v7
	s_waitcnt lgkmcnt(0)
	s_add_u32 s0, s28, s33
	s_addc_u32 s1, s29, 0
	global_load_ubyte v6, v0, s[0:1] offset:1024
	global_load_ubyte v4, v0, s[0:1] offset:512
	global_load_ubyte v3, v0, s[0:1]
	s_lshr_b32 s0, s2, 16
	s_and_b32 s1, s2, 0xffff
	v_mad_u32_u24 v1, v2, s0, v1
	v_mad_u64_u32 v[1:2], s[0:1], v1, s1, v[0:1]
	v_and_b32_e32 v10, 64, v7
	s_mov_b32 s26, 0
	v_lshrrev_b32_e32 v1, 4, v1
	v_and_b32_e32 v12, 0xffffffc, v1
	v_and_b32_e32 v1, 15, v7
	v_cmp_eq_u32_e32 vcc, 0, v1
	v_cmp_lt_u32_e64 s[0:1], 1, v1
	v_cmp_lt_u32_e64 s[2:3], 3, v1
	;; [unrolled: 1-line block ×3, first 2 shown]
	v_and_b32_e32 v1, 16, v7
	v_cmp_eq_u32_e64 s[6:7], 0, v1
	v_or_b32_e32 v1, 63, v0
	v_cmp_eq_u32_e64 s[10:11], v0, v1
	v_subrev_co_u32_e64 v1, s[16:17], 1, v7
	v_lshrrev_b32_e32 v8, 6, v0
	v_cmp_lt_i32_e64 s[18:19], v1, v10
	v_mul_u32_u24_e32 v2, 0xc0, v8
	v_mul_u32_u24_e32 v9, 3, v7
	v_lshlrev_b32_e32 v11, 4, v0
	v_cndmask_b32_e64 v1, v1, v7, s[18:19]
	s_mov_b32 s28, s26
	v_cmp_lt_u32_e64 s[8:9], 31, v7
	v_lshlrev_b32_e32 v13, 2, v1
	v_mad_i32_i24 v14, v0, -13, v11
	v_lshlrev_b32_e32 v15, 2, v8
	v_and_b32_e32 v1, 7, v7
	v_add_u32_e32 v17, v9, v2
	v_add_u32_e32 v18, v7, v2
	s_mov_b32 s27, s26
	s_mov_b32 s29, s26
	v_mov_b32_e32 v7, s26
	v_mov_b32_e32 v9, s28
	;; [unrolled: 1-line block ×3, first 2 shown]
	v_cmp_gt_u32_e64 s[12:13], 8, v0
	v_cmp_lt_u32_e64 s[14:15], 63, v0
	v_cmp_eq_u32_e64 s[18:19], 0, v0
	v_cmp_eq_u32_e64 s[20:21], 0, v1
	v_cmp_lt_u32_e64 s[22:23], 1, v1
	v_cmp_lt_u32_e64 s[24:25], 3, v1
	v_add_u32_e32 v16, -4, v15
	s_mov_b32 s34, 10
	v_mov_b32_e32 v8, s27
	v_mov_b32_e32 v10, s29
	;; [unrolled: 1-line block ×3, first 2 shown]
	v_add_u32_e32 v20, v14, v0
	s_branch .LBB90_2
.LBB90_1:                               ;   in Loop: Header=BB90_2 Depth=1
	s_or_b64 exec, exec, s[26:27]
	s_waitcnt lgkmcnt(0)
	v_add_u32_e32 v4, v31, v4
	ds_bpermute_b32 v4, v13, v4
	s_add_i32 s34, s34, -1
	s_cmp_eq_u32 s34, 0
	s_waitcnt lgkmcnt(0)
	v_cndmask_b32_e64 v4, v4, v31, s[16:17]
	v_cndmask_b32_e64 v31, v4, 0, s[18:19]
	v_add_u32_e32 v32, v31, v1
	v_add_u32_e32 v1, v32, v2
	;; [unrolled: 1-line block ×3, first 2 shown]
	ds_write2_b64 v11, v[31:32], v[1:2] offset0:4 offset1:5
	s_waitcnt lgkmcnt(0)
	s_barrier
	ds_read_b32 v1, v25 offset:32
	ds_read_b32 v2, v27 offset:32
	;; [unrolled: 1-line block ×3, first 2 shown]
	s_waitcnt lgkmcnt(0)
	s_barrier
	v_add_u32_e32 v1, v1, v24
	ds_write_b8 v1, v23
	v_add3_u32 v1, v28, v26, v2
	ds_write_b8 v1, v22
	v_add3_u32 v1, v6, v29, v3
	ds_write_b8 v1, v21
	s_waitcnt lgkmcnt(0)
	s_barrier
	ds_read_u8 v1, v14
	ds_read_u16 v2, v14 offset:1
	s_waitcnt lgkmcnt(1)
	v_xor_b32_e32 v3, 0xffffff80, v1
	s_waitcnt lgkmcnt(0)
	v_and_b32_e32 v1, 0xffffff00, v2
	v_xor_b32_e32 v1, 0xffff8000, v1
	v_xor_b32_e32 v2, 0x80, v2
	v_or_b32_sdwa v4, v2, v1 dst_sel:DWORD dst_unused:UNUSED_PAD src0_sel:BYTE_0 src1_sel:DWORD
	v_lshrrev_b16_e32 v6, 8, v1
	s_cbranch_scc1 .LBB90_14
.LBB90_2:                               ; =>This Inner Loop Header: Depth=1
	s_waitcnt vmcnt(0)
	v_xor_b32_e32 v1, 0x80, v3
	v_xor_b32_e32 v2, 0x80, v4
	;; [unrolled: 1-line block ×3, first 2 shown]
	ds_write_b8 v17, v1
	ds_write_b8 v17, v2 offset:1
	ds_write_b8 v17, v3 offset:2
	; wave barrier
	ds_read_u8 v23, v18
	ds_read_u8 v22, v18 offset:64
	ds_read_u8 v21, v18 offset:128
	; wave barrier
	s_waitcnt lgkmcnt(2)
	v_and_b32_e32 v1, 1, v23
	v_add_co_u32_e64 v2, s[26:27], -1, v1
	v_addc_co_u32_e64 v4, s[26:27], 0, -1, s[26:27]
	v_cmp_ne_u32_e64 s[26:27], 0, v1
	v_lshlrev_b32_e32 v6, 30, v23
	v_xor_b32_e32 v1, s27, v4
	v_xor_b32_e32 v2, s26, v2
	v_cmp_gt_i64_e64 s[26:27], 0, v[5:6]
	v_not_b32_e32 v4, v6
	v_ashrrev_i32_e32 v4, 31, v4
	v_and_b32_e32 v1, exec_hi, v1
	v_xor_b32_e32 v6, s27, v4
	v_and_b32_e32 v2, exec_lo, v2
	v_xor_b32_e32 v4, s26, v4
	v_and_b32_e32 v1, v1, v6
	v_lshlrev_b32_e32 v6, 29, v23
	v_and_b32_e32 v2, v2, v4
	v_cmp_gt_i64_e64 s[26:27], 0, v[5:6]
	v_not_b32_e32 v4, v6
	v_ashrrev_i32_e32 v4, 31, v4
	v_xor_b32_e32 v6, s27, v4
	v_xor_b32_e32 v4, s26, v4
	v_and_b32_e32 v1, v1, v6
	v_lshlrev_b32_e32 v6, 28, v23
	v_and_b32_e32 v2, v2, v4
	v_cmp_gt_i64_e64 s[26:27], 0, v[5:6]
	v_not_b32_e32 v4, v6
	v_ashrrev_i32_e32 v4, 31, v4
	v_xor_b32_e32 v6, s27, v4
	;; [unrolled: 8-line block ×6, first 2 shown]
	v_xor_b32_e32 v24, s26, v2
	v_and_b32_e32 v2, v1, v6
	v_and_b32_e32 v1, v4, v24
	v_mbcnt_lo_u32_b32 v4, v1, 0
	v_mbcnt_hi_u32_b32 v24, v2, v4
	v_cmp_ne_u64_e64 s[26:27], 0, v[1:2]
	v_lshlrev_b32_sdwa v3, v19, v23 dst_sel:DWORD dst_unused:UNUSED_PAD src0_sel:DWORD src1_sel:BYTE_0
	v_cmp_eq_u32_e64 s[28:29], 0, v24
	s_and_b64 s[28:29], s[26:27], s[28:29]
	v_add_u32_e32 v25, v12, v3
	; wave barrier
	s_waitcnt lgkmcnt(0)
	s_barrier
	ds_write2_b64 v11, v[7:8], v[9:10] offset0:4 offset1:5
	s_waitcnt lgkmcnt(0)
	s_barrier
	; wave barrier
	s_and_saveexec_b64 s[26:27], s[28:29]
; %bb.3:                                ;   in Loop: Header=BB90_2 Depth=1
	v_bcnt_u32_b32 v1, v1, 0
	v_bcnt_u32_b32 v1, v2, v1
	ds_write_b32 v25, v1 offset:32
; %bb.4:                                ;   in Loop: Header=BB90_2 Depth=1
	s_or_b64 exec, exec, s[26:27]
	v_lshlrev_b32_sdwa v1, v19, v22 dst_sel:DWORD dst_unused:UNUSED_PAD src0_sel:DWORD src1_sel:BYTE_0
	v_add_u32_e32 v27, v12, v1
	v_and_b32_e32 v1, 1, v22
	v_add_co_u32_e64 v2, s[26:27], -1, v1
	v_addc_co_u32_e64 v3, s[26:27], 0, -1, s[26:27]
	v_cmp_ne_u32_e64 s[26:27], 0, v1
	v_lshlrev_b32_e32 v6, 30, v22
	v_xor_b32_e32 v1, s27, v3
	v_xor_b32_e32 v2, s26, v2
	v_cmp_gt_i64_e64 s[26:27], 0, v[5:6]
	v_not_b32_e32 v3, v6
	v_ashrrev_i32_e32 v3, 31, v3
	v_and_b32_e32 v2, exec_lo, v2
	v_xor_b32_e32 v4, s27, v3
	v_xor_b32_e32 v3, s26, v3
	v_lshlrev_b32_e32 v6, 29, v22
	v_and_b32_e32 v2, v2, v3
	v_cmp_gt_i64_e64 s[26:27], 0, v[5:6]
	v_not_b32_e32 v3, v6
	v_and_b32_e32 v1, exec_hi, v1
	v_ashrrev_i32_e32 v3, 31, v3
	v_and_b32_e32 v1, v1, v4
	v_xor_b32_e32 v4, s27, v3
	v_xor_b32_e32 v3, s26, v3
	v_lshlrev_b32_e32 v6, 28, v22
	v_and_b32_e32 v2, v2, v3
	v_cmp_gt_i64_e64 s[26:27], 0, v[5:6]
	v_not_b32_e32 v3, v6
	v_ashrrev_i32_e32 v3, 31, v3
	v_and_b32_e32 v1, v1, v4
	v_xor_b32_e32 v4, s27, v3
	v_xor_b32_e32 v3, s26, v3
	v_lshlrev_b32_e32 v6, 27, v22
	v_and_b32_e32 v2, v2, v3
	v_cmp_gt_i64_e64 s[26:27], 0, v[5:6]
	v_not_b32_e32 v3, v6
	v_ashrrev_i32_e32 v3, 31, v3
	v_and_b32_e32 v1, v1, v4
	v_xor_b32_e32 v4, s27, v3
	v_xor_b32_e32 v3, s26, v3
	v_lshlrev_b32_e32 v6, 26, v22
	v_and_b32_e32 v2, v2, v3
	v_cmp_gt_i64_e64 s[26:27], 0, v[5:6]
	v_not_b32_e32 v3, v6
	v_ashrrev_i32_e32 v3, 31, v3
	v_and_b32_e32 v1, v1, v4
	v_xor_b32_e32 v4, s27, v3
	v_xor_b32_e32 v3, s26, v3
	v_lshlrev_b32_e32 v6, 25, v22
	v_and_b32_e32 v2, v2, v3
	v_cmp_gt_i64_e64 s[26:27], 0, v[5:6]
	v_not_b32_e32 v3, v6
	v_ashrrev_i32_e32 v3, 31, v3
	v_and_b32_e32 v1, v1, v4
	v_xor_b32_e32 v4, s27, v3
	v_xor_b32_e32 v3, s26, v3
	v_lshlrev_b32_e32 v6, 24, v22
	v_and_b32_e32 v3, v2, v3
	v_cmp_gt_i64_e64 s[26:27], 0, v[5:6]
	v_not_b32_e32 v2, v6
	v_ashrrev_i32_e32 v2, 31, v2
	v_and_b32_e32 v1, v1, v4
	v_xor_b32_e32 v4, s27, v2
	v_xor_b32_e32 v6, s26, v2
	; wave barrier
	ds_read_b32 v26, v27 offset:32
	v_and_b32_e32 v2, v1, v4
	v_and_b32_e32 v1, v3, v6
	v_mbcnt_lo_u32_b32 v3, v1, 0
	v_mbcnt_hi_u32_b32 v28, v2, v3
	v_cmp_ne_u64_e64 s[26:27], 0, v[1:2]
	v_cmp_eq_u32_e64 s[28:29], 0, v28
	s_and_b64 s[28:29], s[26:27], s[28:29]
	; wave barrier
	s_and_saveexec_b64 s[26:27], s[28:29]
	s_cbranch_execz .LBB90_6
; %bb.5:                                ;   in Loop: Header=BB90_2 Depth=1
	v_bcnt_u32_b32 v1, v1, 0
	v_bcnt_u32_b32 v1, v2, v1
	s_waitcnt lgkmcnt(0)
	v_add_u32_e32 v1, v26, v1
	ds_write_b32 v27, v1 offset:32
.LBB90_6:                               ;   in Loop: Header=BB90_2 Depth=1
	s_or_b64 exec, exec, s[26:27]
	v_lshlrev_b32_sdwa v1, v19, v21 dst_sel:DWORD dst_unused:UNUSED_PAD src0_sel:DWORD src1_sel:BYTE_0
	v_add_u32_e32 v30, v12, v1
	v_and_b32_e32 v1, 1, v21
	v_add_co_u32_e64 v2, s[26:27], -1, v1
	v_addc_co_u32_e64 v3, s[26:27], 0, -1, s[26:27]
	v_cmp_ne_u32_e64 s[26:27], 0, v1
	v_lshlrev_b32_e32 v6, 30, v21
	v_xor_b32_e32 v1, s27, v3
	v_xor_b32_e32 v2, s26, v2
	v_cmp_gt_i64_e64 s[26:27], 0, v[5:6]
	v_not_b32_e32 v3, v6
	v_ashrrev_i32_e32 v3, 31, v3
	v_and_b32_e32 v2, exec_lo, v2
	v_xor_b32_e32 v4, s27, v3
	v_xor_b32_e32 v3, s26, v3
	v_lshlrev_b32_e32 v6, 29, v21
	v_and_b32_e32 v2, v2, v3
	v_cmp_gt_i64_e64 s[26:27], 0, v[5:6]
	v_not_b32_e32 v3, v6
	v_and_b32_e32 v1, exec_hi, v1
	v_ashrrev_i32_e32 v3, 31, v3
	v_and_b32_e32 v1, v1, v4
	v_xor_b32_e32 v4, s27, v3
	v_xor_b32_e32 v3, s26, v3
	v_lshlrev_b32_e32 v6, 28, v21
	v_and_b32_e32 v2, v2, v3
	v_cmp_gt_i64_e64 s[26:27], 0, v[5:6]
	v_not_b32_e32 v3, v6
	v_ashrrev_i32_e32 v3, 31, v3
	v_and_b32_e32 v1, v1, v4
	v_xor_b32_e32 v4, s27, v3
	v_xor_b32_e32 v3, s26, v3
	v_lshlrev_b32_e32 v6, 27, v21
	v_and_b32_e32 v2, v2, v3
	v_cmp_gt_i64_e64 s[26:27], 0, v[5:6]
	v_not_b32_e32 v3, v6
	;; [unrolled: 8-line block ×5, first 2 shown]
	v_ashrrev_i32_e32 v2, 31, v2
	v_and_b32_e32 v1, v1, v4
	v_xor_b32_e32 v4, s27, v2
	v_xor_b32_e32 v6, s26, v2
	; wave barrier
	ds_read_b32 v29, v30 offset:32
	v_and_b32_e32 v2, v1, v4
	v_and_b32_e32 v1, v3, v6
	v_mbcnt_lo_u32_b32 v3, v1, 0
	v_mbcnt_hi_u32_b32 v6, v2, v3
	v_cmp_ne_u64_e64 s[26:27], 0, v[1:2]
	v_cmp_eq_u32_e64 s[28:29], 0, v6
	s_and_b64 s[28:29], s[26:27], s[28:29]
	; wave barrier
	s_and_saveexec_b64 s[26:27], s[28:29]
	s_cbranch_execz .LBB90_8
; %bb.7:                                ;   in Loop: Header=BB90_2 Depth=1
	v_bcnt_u32_b32 v1, v1, 0
	v_bcnt_u32_b32 v1, v2, v1
	s_waitcnt lgkmcnt(0)
	v_add_u32_e32 v1, v29, v1
	ds_write_b32 v30, v1 offset:32
.LBB90_8:                               ;   in Loop: Header=BB90_2 Depth=1
	s_or_b64 exec, exec, s[26:27]
	; wave barrier
	s_waitcnt lgkmcnt(0)
	s_barrier
	ds_read2_b64 v[1:4], v11 offset0:4 offset1:5
	s_waitcnt lgkmcnt(0)
	v_add_u32_e32 v31, v2, v1
	v_add3_u32 v4, v31, v3, v4
	s_nop 1
	v_mov_b32_dpp v31, v4 row_shr:1 row_mask:0xf bank_mask:0xf
	v_cndmask_b32_e64 v31, v31, 0, vcc
	v_add_u32_e32 v4, v31, v4
	s_nop 1
	v_mov_b32_dpp v31, v4 row_shr:2 row_mask:0xf bank_mask:0xf
	v_cndmask_b32_e64 v31, 0, v31, s[0:1]
	v_add_u32_e32 v4, v4, v31
	s_nop 1
	v_mov_b32_dpp v31, v4 row_shr:4 row_mask:0xf bank_mask:0xf
	v_cndmask_b32_e64 v31, 0, v31, s[2:3]
	;; [unrolled: 4-line block ×3, first 2 shown]
	v_add_u32_e32 v4, v4, v31
	s_nop 1
	v_mov_b32_dpp v31, v4 row_bcast:15 row_mask:0xf bank_mask:0xf
	v_cndmask_b32_e64 v31, v31, 0, s[6:7]
	v_add_u32_e32 v4, v4, v31
	s_nop 1
	v_mov_b32_dpp v31, v4 row_bcast:31 row_mask:0xf bank_mask:0xf
	v_cndmask_b32_e64 v31, 0, v31, s[8:9]
	v_add_u32_e32 v4, v4, v31
	s_and_saveexec_b64 s[26:27], s[10:11]
; %bb.9:                                ;   in Loop: Header=BB90_2 Depth=1
	ds_write_b32 v15, v4
; %bb.10:                               ;   in Loop: Header=BB90_2 Depth=1
	s_or_b64 exec, exec, s[26:27]
	s_waitcnt lgkmcnt(0)
	s_barrier
	s_and_saveexec_b64 s[26:27], s[12:13]
	s_cbranch_execz .LBB90_12
; %bb.11:                               ;   in Loop: Header=BB90_2 Depth=1
	ds_read_b32 v31, v20
	s_waitcnt lgkmcnt(0)
	s_nop 0
	v_mov_b32_dpp v32, v31 row_shr:1 row_mask:0xf bank_mask:0xf
	v_cndmask_b32_e64 v32, v32, 0, s[20:21]
	v_add_u32_e32 v31, v32, v31
	s_nop 1
	v_mov_b32_dpp v32, v31 row_shr:2 row_mask:0xf bank_mask:0xf
	v_cndmask_b32_e64 v32, 0, v32, s[22:23]
	v_add_u32_e32 v31, v31, v32
	s_nop 1
	v_mov_b32_dpp v32, v31 row_shr:4 row_mask:0xf bank_mask:0xf
	v_cndmask_b32_e64 v32, 0, v32, s[24:25]
	v_add_u32_e32 v31, v31, v32
	ds_write_b32 v20, v31
.LBB90_12:                              ;   in Loop: Header=BB90_2 Depth=1
	s_or_b64 exec, exec, s[26:27]
	v_mov_b32_e32 v31, 0
	s_waitcnt lgkmcnt(0)
	s_barrier
	s_and_saveexec_b64 s[26:27], s[14:15]
	s_cbranch_execz .LBB90_1
; %bb.13:                               ;   in Loop: Header=BB90_2 Depth=1
	ds_read_b32 v31, v16
	s_branch .LBB90_1
.LBB90_14:
	s_add_u32 s0, s30, s33
	s_addc_u32 s1, s31, 0
	v_mov_b32_e32 v1, s1
	v_add_co_u32_e32 v0, vcc, s0, v0
	v_and_b32_e32 v2, 0xffff, v4
	v_addc_co_u32_e32 v1, vcc, 0, v1, vcc
	global_store_byte v[0:1], v3, off
	global_store_byte v[0:1], v2, off offset:512
	v_lshrrev_b16_e32 v2, 8, v2
	global_store_byte v[0:1], v2, off offset:1024
	s_endpgm
	.section	.rodata,"a",@progbits
	.p2align	6, 0x0
	.amdhsa_kernel _Z16sort_keys_kernelI22helper_blocked_blockedaLj512ELj3ELj10EEvPKT0_PS1_
		.amdhsa_group_segment_fixed_size 8224
		.amdhsa_private_segment_fixed_size 0
		.amdhsa_kernarg_size 272
		.amdhsa_user_sgpr_count 6
		.amdhsa_user_sgpr_private_segment_buffer 1
		.amdhsa_user_sgpr_dispatch_ptr 0
		.amdhsa_user_sgpr_queue_ptr 0
		.amdhsa_user_sgpr_kernarg_segment_ptr 1
		.amdhsa_user_sgpr_dispatch_id 0
		.amdhsa_user_sgpr_flat_scratch_init 0
		.amdhsa_user_sgpr_private_segment_size 0
		.amdhsa_uses_dynamic_stack 0
		.amdhsa_system_sgpr_private_segment_wavefront_offset 0
		.amdhsa_system_sgpr_workgroup_id_x 1
		.amdhsa_system_sgpr_workgroup_id_y 0
		.amdhsa_system_sgpr_workgroup_id_z 0
		.amdhsa_system_sgpr_workgroup_info 0
		.amdhsa_system_vgpr_workitem_id 2
		.amdhsa_next_free_vgpr 33
		.amdhsa_next_free_sgpr 35
		.amdhsa_reserve_vcc 1
		.amdhsa_reserve_flat_scratch 0
		.amdhsa_float_round_mode_32 0
		.amdhsa_float_round_mode_16_64 0
		.amdhsa_float_denorm_mode_32 3
		.amdhsa_float_denorm_mode_16_64 3
		.amdhsa_dx10_clamp 1
		.amdhsa_ieee_mode 1
		.amdhsa_fp16_overflow 0
		.amdhsa_exception_fp_ieee_invalid_op 0
		.amdhsa_exception_fp_denorm_src 0
		.amdhsa_exception_fp_ieee_div_zero 0
		.amdhsa_exception_fp_ieee_overflow 0
		.amdhsa_exception_fp_ieee_underflow 0
		.amdhsa_exception_fp_ieee_inexact 0
		.amdhsa_exception_int_div_zero 0
	.end_amdhsa_kernel
	.section	.text._Z16sort_keys_kernelI22helper_blocked_blockedaLj512ELj3ELj10EEvPKT0_PS1_,"axG",@progbits,_Z16sort_keys_kernelI22helper_blocked_blockedaLj512ELj3ELj10EEvPKT0_PS1_,comdat
.Lfunc_end90:
	.size	_Z16sort_keys_kernelI22helper_blocked_blockedaLj512ELj3ELj10EEvPKT0_PS1_, .Lfunc_end90-_Z16sort_keys_kernelI22helper_blocked_blockedaLj512ELj3ELj10EEvPKT0_PS1_
                                        ; -- End function
	.set _Z16sort_keys_kernelI22helper_blocked_blockedaLj512ELj3ELj10EEvPKT0_PS1_.num_vgpr, 33
	.set _Z16sort_keys_kernelI22helper_blocked_blockedaLj512ELj3ELj10EEvPKT0_PS1_.num_agpr, 0
	.set _Z16sort_keys_kernelI22helper_blocked_blockedaLj512ELj3ELj10EEvPKT0_PS1_.numbered_sgpr, 35
	.set _Z16sort_keys_kernelI22helper_blocked_blockedaLj512ELj3ELj10EEvPKT0_PS1_.num_named_barrier, 0
	.set _Z16sort_keys_kernelI22helper_blocked_blockedaLj512ELj3ELj10EEvPKT0_PS1_.private_seg_size, 0
	.set _Z16sort_keys_kernelI22helper_blocked_blockedaLj512ELj3ELj10EEvPKT0_PS1_.uses_vcc, 1
	.set _Z16sort_keys_kernelI22helper_blocked_blockedaLj512ELj3ELj10EEvPKT0_PS1_.uses_flat_scratch, 0
	.set _Z16sort_keys_kernelI22helper_blocked_blockedaLj512ELj3ELj10EEvPKT0_PS1_.has_dyn_sized_stack, 0
	.set _Z16sort_keys_kernelI22helper_blocked_blockedaLj512ELj3ELj10EEvPKT0_PS1_.has_recursion, 0
	.set _Z16sort_keys_kernelI22helper_blocked_blockedaLj512ELj3ELj10EEvPKT0_PS1_.has_indirect_call, 0
	.section	.AMDGPU.csdata,"",@progbits
; Kernel info:
; codeLenInByte = 2260
; TotalNumSgprs: 39
; NumVgprs: 33
; ScratchSize: 0
; MemoryBound: 0
; FloatMode: 240
; IeeeMode: 1
; LDSByteSize: 8224 bytes/workgroup (compile time only)
; SGPRBlocks: 4
; VGPRBlocks: 8
; NumSGPRsForWavesPerEU: 39
; NumVGPRsForWavesPerEU: 33
; Occupancy: 7
; WaveLimiterHint : 1
; COMPUTE_PGM_RSRC2:SCRATCH_EN: 0
; COMPUTE_PGM_RSRC2:USER_SGPR: 6
; COMPUTE_PGM_RSRC2:TRAP_HANDLER: 0
; COMPUTE_PGM_RSRC2:TGID_X_EN: 1
; COMPUTE_PGM_RSRC2:TGID_Y_EN: 0
; COMPUTE_PGM_RSRC2:TGID_Z_EN: 0
; COMPUTE_PGM_RSRC2:TIDIG_COMP_CNT: 2
	.section	.text._Z17sort_pairs_kernelI22helper_blocked_blockedaLj512ELj3ELj10EEvPKT0_PS1_,"axG",@progbits,_Z17sort_pairs_kernelI22helper_blocked_blockedaLj512ELj3ELj10EEvPKT0_PS1_,comdat
	.protected	_Z17sort_pairs_kernelI22helper_blocked_blockedaLj512ELj3ELj10EEvPKT0_PS1_ ; -- Begin function _Z17sort_pairs_kernelI22helper_blocked_blockedaLj512ELj3ELj10EEvPKT0_PS1_
	.globl	_Z17sort_pairs_kernelI22helper_blocked_blockedaLj512ELj3ELj10EEvPKT0_PS1_
	.p2align	8
	.type	_Z17sort_pairs_kernelI22helper_blocked_blockedaLj512ELj3ELj10EEvPKT0_PS1_,@function
_Z17sort_pairs_kernelI22helper_blocked_blockedaLj512ELj3ELj10EEvPKT0_PS1_: ; @_Z17sort_pairs_kernelI22helper_blocked_blockedaLj512ELj3ELj10EEvPKT0_PS1_
; %bb.0:
	s_load_dwordx4 s[28:31], s[4:5], 0x0
	s_load_dword s36, s[4:5], 0x1c
	s_mul_i32 s33, s6, 0x600
	v_mbcnt_lo_u32_b32 v7, -1, 0
	v_mbcnt_hi_u32_b32 v9, -1, v7
	s_waitcnt lgkmcnt(0)
	s_add_u32 s0, s28, s33
	s_addc_u32 s1, s29, 0
	global_load_ubyte v3, v0, s[0:1]
	global_load_ubyte v4, v0, s[0:1] offset:512
	global_load_ubyte v6, v0, s[0:1] offset:1024
	s_lshr_b32 s28, s36, 16
	s_and_b32 s29, s36, 0xffff
	v_mad_u32_u24 v1, v2, s28, v1
	v_mad_u64_u32 v[1:2], s[28:29], v1, s29, v[0:1]
	v_or_b32_e32 v8, 63, v0
	s_mov_b32 s22, 0
	v_lshrrev_b32_e32 v1, 4, v1
	v_and_b32_e32 v19, 0xffffffc, v1
	v_lshrrev_b32_e32 v7, 6, v0
	v_and_b32_e32 v16, 15, v9
	v_cmp_eq_u32_e64 s[6:7], v0, v8
	v_subrev_co_u32_e64 v18, s[8:9], 1, v9
	v_and_b32_e32 v8, 64, v9
	v_lshlrev_b32_e32 v12, 4, v0
	s_mov_b32 s23, s22
	s_mov_b32 s26, s22
	v_mul_u32_u24_e32 v10, 0xc0, v7
	v_mul_u32_u24_e32 v15, 3, v9
	v_lshlrev_b32_e32 v14, 2, v7
	v_cmp_eq_u32_e64 s[10:11], 0, v16
	v_cmp_lt_u32_e64 s[12:13], 1, v16
	v_cmp_lt_u32_e64 s[14:15], 3, v16
	;; [unrolled: 1-line block ×3, first 2 shown]
	v_and_b32_e32 v16, 7, v9
	v_cmp_lt_i32_e64 s[20:21], v18, v8
	v_mov_b32_e32 v7, s22
	s_mov_b32 s27, s22
	v_and_b32_e32 v17, 16, v9
	v_cmp_lt_u32_e64 s[4:5], 31, v9
	v_mad_i32_i24 v13, v0, -13, v12
	v_mov_b32_e32 v8, s23
	v_cndmask_b32_e64 v18, v18, v9, s[20:21]
	v_cmp_eq_u32_e64 s[20:21], 0, v16
	v_cmp_lt_u32_e64 s[22:23], 1, v16
	v_cmp_lt_u32_e64 s[24:25], 3, v16
	v_add_u32_e32 v15, v15, v10
	v_add_u32_e32 v16, v9, v10
	v_mov_b32_e32 v9, s26
	v_mov_b32_e32 v5, 0
	s_mov_b32 s34, 10
	s_mov_b32 s35, 0xc0c0104
	v_mov_b32_e32 v11, 5
	v_cmp_gt_u32_e32 vcc, 8, v0
	v_cmp_lt_u32_e64 s[0:1], 63, v0
	v_cmp_eq_u32_e64 s[2:3], 0, v0
	v_cmp_eq_u32_e64 s[18:19], 0, v17
	v_add_u32_e32 v17, v13, v0
	v_lshlrev_b32_e32 v18, 2, v18
	v_mov_b32_e32 v10, s27
	s_waitcnt vmcnt(2)
	v_add_u16_e32 v1, 1, v3
	s_waitcnt vmcnt(1)
	v_lshlrev_b16_e32 v2, 8, v4
	v_or_b32_sdwa v1, v2, v1 dst_sel:DWORD dst_unused:UNUSED_PAD src0_sel:DWORD src1_sel:BYTE_0
	s_waitcnt vmcnt(0)
	v_add_u16_e32 v2, 1, v6
	v_and_b32_e32 v2, 0xff, v2
	v_add_u16_e32 v1, 0x100, v1
	v_lshlrev_b32_e32 v2, 16, v2
	v_or_b32_e32 v1, v1, v2
	s_branch .LBB91_2
.LBB91_1:                               ;   in Loop: Header=BB91_2 Depth=1
	s_or_b64 exec, exec, s[26:27]
	s_waitcnt lgkmcnt(0)
	v_add_u32_e32 v4, v33, v4
	ds_bpermute_b32 v4, v18, v4
	s_add_i32 s34, s34, -1
	s_cmp_eq_u32 s34, 0
	s_waitcnt lgkmcnt(0)
	v_cndmask_b32_e64 v4, v4, v33, s[8:9]
	v_cndmask_b32_e64 v33, v4, 0, s[2:3]
	v_add_u32_e32 v34, v33, v1
	v_add_u32_e32 v1, v34, v2
	;; [unrolled: 1-line block ×3, first 2 shown]
	ds_write2_b64 v12, v[33:34], v[1:2] offset0:4 offset1:5
	s_waitcnt lgkmcnt(0)
	s_barrier
	ds_read_b32 v1, v27 offset:32
	ds_read_b32 v2, v29 offset:32
	;; [unrolled: 1-line block ×3, first 2 shown]
	s_waitcnt lgkmcnt(0)
	s_barrier
	v_add_u32_e32 v1, v1, v26
	v_add3_u32 v2, v30, v28, v2
	v_add3_u32 v3, v6, v31, v3
	ds_write_b8 v1, v22
	ds_write_b8 v2, v21
	;; [unrolled: 1-line block ×3, first 2 shown]
	s_waitcnt lgkmcnt(0)
	s_barrier
	ds_read_u8 v4, v13
	ds_read_u16 v6, v13 offset:1
	s_waitcnt lgkmcnt(0)
	s_barrier
	ds_write_b8 v1, v23
	ds_write_b8 v2, v24
	ds_write_b8 v3, v25
	s_waitcnt lgkmcnt(0)
	s_barrier
	ds_read_u16 v2, v13 offset:1
	ds_read_u8 v20, v13
	v_xor_b32_e32 v3, 0xffffff80, v4
	s_waitcnt lgkmcnt(1)
	v_lshlrev_b16_e32 v1, 8, v2
	v_lshrrev_b16_e32 v4, 8, v2
	v_lshlrev_b32_e32 v4, 16, v4
	s_waitcnt lgkmcnt(0)
	v_perm_b32 v1, v20, v1, s35
	v_or_b32_e32 v1, v1, v4
	v_and_b32_e32 v4, 0xffffff00, v6
	v_xor_b32_e32 v21, 0xffff8000, v4
	v_xor_b32_e32 v4, 0x80, v6
	v_or_b32_sdwa v4, v4, v21 dst_sel:DWORD dst_unused:UNUSED_PAD src0_sel:BYTE_0 src1_sel:DWORD
	v_lshrrev_b16_e32 v6, 8, v21
	s_cbranch_scc1 .LBB91_14
.LBB91_2:                               ; =>This Inner Loop Header: Depth=1
	v_xor_b32_e32 v2, 0x80, v3
	v_xor_b32_e32 v3, 0x80, v4
	;; [unrolled: 1-line block ×3, first 2 shown]
	ds_write_b8 v15, v2
	ds_write_b8 v15, v3 offset:1
	ds_write_b8 v15, v4 offset:2
	; wave barrier
	ds_read_u8 v22, v16
	ds_read_u8 v21, v16 offset:64
	ds_read_u8 v20, v16 offset:128
	v_lshrrev_b32_e32 v2, 8, v1
	; wave barrier
	ds_write_b8 v15, v1
	ds_write_b8 v15, v2 offset:1
	ds_write_b8_d16_hi v15, v1 offset:2
	s_waitcnt lgkmcnt(5)
	v_and_b32_e32 v1, 1, v22
	v_add_co_u32_e64 v2, s[26:27], -1, v1
	v_addc_co_u32_e64 v3, s[26:27], 0, -1, s[26:27]
	v_cmp_ne_u32_e64 s[26:27], 0, v1
	v_lshlrev_b32_e32 v6, 30, v22
	v_xor_b32_e32 v1, s27, v3
	v_xor_b32_e32 v2, s26, v2
	v_cmp_gt_i64_e64 s[26:27], 0, v[5:6]
	v_not_b32_e32 v3, v6
	v_ashrrev_i32_e32 v3, 31, v3
	v_and_b32_e32 v2, exec_lo, v2
	v_xor_b32_e32 v4, s27, v3
	v_xor_b32_e32 v3, s26, v3
	v_lshlrev_b32_e32 v6, 29, v22
	v_and_b32_e32 v2, v2, v3
	v_cmp_gt_i64_e64 s[26:27], 0, v[5:6]
	v_not_b32_e32 v3, v6
	v_and_b32_e32 v1, exec_hi, v1
	v_ashrrev_i32_e32 v3, 31, v3
	v_and_b32_e32 v1, v1, v4
	v_xor_b32_e32 v4, s27, v3
	v_xor_b32_e32 v3, s26, v3
	v_lshlrev_b32_e32 v6, 28, v22
	v_and_b32_e32 v2, v2, v3
	v_cmp_gt_i64_e64 s[26:27], 0, v[5:6]
	v_not_b32_e32 v3, v6
	v_ashrrev_i32_e32 v3, 31, v3
	v_and_b32_e32 v1, v1, v4
	v_xor_b32_e32 v4, s27, v3
	v_xor_b32_e32 v3, s26, v3
	v_lshlrev_b32_e32 v6, 27, v22
	v_and_b32_e32 v2, v2, v3
	v_cmp_gt_i64_e64 s[26:27], 0, v[5:6]
	v_not_b32_e32 v3, v6
	;; [unrolled: 8-line block ×5, first 2 shown]
	v_ashrrev_i32_e32 v2, 31, v2
	; wave barrier
	v_and_b32_e32 v1, v1, v4
	v_xor_b32_e32 v4, s27, v2
	v_xor_b32_e32 v6, s26, v2
	ds_read_u8 v23, v16
	ds_read_u8 v24, v16 offset:64
	ds_read_u8 v25, v16 offset:128
	v_and_b32_e32 v2, v1, v4
	v_and_b32_e32 v1, v3, v6
	v_mbcnt_lo_u32_b32 v3, v1, 0
	v_mbcnt_hi_u32_b32 v26, v2, v3
	v_cmp_ne_u64_e64 s[26:27], 0, v[1:2]
	v_cmp_eq_u32_e64 s[28:29], 0, v26
	v_lshlrev_b32_sdwa v3, v11, v22 dst_sel:DWORD dst_unused:UNUSED_PAD src0_sel:DWORD src1_sel:BYTE_0
	s_and_b64 s[28:29], s[26:27], s[28:29]
	v_add_u32_e32 v27, v19, v3
	s_waitcnt lgkmcnt(0)
	s_barrier
	ds_write2_b64 v12, v[7:8], v[9:10] offset0:4 offset1:5
	s_waitcnt lgkmcnt(0)
	s_barrier
	; wave barrier
	s_and_saveexec_b64 s[26:27], s[28:29]
; %bb.3:                                ;   in Loop: Header=BB91_2 Depth=1
	v_bcnt_u32_b32 v1, v1, 0
	v_bcnt_u32_b32 v1, v2, v1
	ds_write_b32 v27, v1 offset:32
; %bb.4:                                ;   in Loop: Header=BB91_2 Depth=1
	s_or_b64 exec, exec, s[26:27]
	v_lshlrev_b32_sdwa v1, v11, v21 dst_sel:DWORD dst_unused:UNUSED_PAD src0_sel:DWORD src1_sel:BYTE_0
	v_add_u32_e32 v29, v19, v1
	v_and_b32_e32 v1, 1, v21
	v_add_co_u32_e64 v2, s[26:27], -1, v1
	v_addc_co_u32_e64 v3, s[26:27], 0, -1, s[26:27]
	v_cmp_ne_u32_e64 s[26:27], 0, v1
	v_lshlrev_b32_e32 v6, 30, v21
	v_xor_b32_e32 v1, s27, v3
	v_xor_b32_e32 v2, s26, v2
	v_cmp_gt_i64_e64 s[26:27], 0, v[5:6]
	v_not_b32_e32 v3, v6
	v_ashrrev_i32_e32 v3, 31, v3
	v_and_b32_e32 v2, exec_lo, v2
	v_xor_b32_e32 v4, s27, v3
	v_xor_b32_e32 v3, s26, v3
	v_lshlrev_b32_e32 v6, 29, v21
	v_and_b32_e32 v2, v2, v3
	v_cmp_gt_i64_e64 s[26:27], 0, v[5:6]
	v_not_b32_e32 v3, v6
	v_and_b32_e32 v1, exec_hi, v1
	v_ashrrev_i32_e32 v3, 31, v3
	v_and_b32_e32 v1, v1, v4
	v_xor_b32_e32 v4, s27, v3
	v_xor_b32_e32 v3, s26, v3
	v_lshlrev_b32_e32 v6, 28, v21
	v_and_b32_e32 v2, v2, v3
	v_cmp_gt_i64_e64 s[26:27], 0, v[5:6]
	v_not_b32_e32 v3, v6
	v_ashrrev_i32_e32 v3, 31, v3
	v_and_b32_e32 v1, v1, v4
	v_xor_b32_e32 v4, s27, v3
	v_xor_b32_e32 v3, s26, v3
	v_lshlrev_b32_e32 v6, 27, v21
	v_and_b32_e32 v2, v2, v3
	v_cmp_gt_i64_e64 s[26:27], 0, v[5:6]
	v_not_b32_e32 v3, v6
	;; [unrolled: 8-line block ×5, first 2 shown]
	v_ashrrev_i32_e32 v2, 31, v2
	v_and_b32_e32 v1, v1, v4
	v_xor_b32_e32 v4, s27, v2
	v_xor_b32_e32 v6, s26, v2
	; wave barrier
	ds_read_b32 v28, v29 offset:32
	v_and_b32_e32 v2, v1, v4
	v_and_b32_e32 v1, v3, v6
	v_mbcnt_lo_u32_b32 v3, v1, 0
	v_mbcnt_hi_u32_b32 v30, v2, v3
	v_cmp_ne_u64_e64 s[26:27], 0, v[1:2]
	v_cmp_eq_u32_e64 s[28:29], 0, v30
	s_and_b64 s[28:29], s[26:27], s[28:29]
	; wave barrier
	s_and_saveexec_b64 s[26:27], s[28:29]
	s_cbranch_execz .LBB91_6
; %bb.5:                                ;   in Loop: Header=BB91_2 Depth=1
	v_bcnt_u32_b32 v1, v1, 0
	v_bcnt_u32_b32 v1, v2, v1
	s_waitcnt lgkmcnt(0)
	v_add_u32_e32 v1, v28, v1
	ds_write_b32 v29, v1 offset:32
.LBB91_6:                               ;   in Loop: Header=BB91_2 Depth=1
	s_or_b64 exec, exec, s[26:27]
	v_lshlrev_b32_sdwa v1, v11, v20 dst_sel:DWORD dst_unused:UNUSED_PAD src0_sel:DWORD src1_sel:BYTE_0
	v_add_u32_e32 v32, v19, v1
	v_and_b32_e32 v1, 1, v20
	v_add_co_u32_e64 v2, s[26:27], -1, v1
	v_addc_co_u32_e64 v3, s[26:27], 0, -1, s[26:27]
	v_cmp_ne_u32_e64 s[26:27], 0, v1
	v_lshlrev_b32_e32 v6, 30, v20
	v_xor_b32_e32 v1, s27, v3
	v_xor_b32_e32 v2, s26, v2
	v_cmp_gt_i64_e64 s[26:27], 0, v[5:6]
	v_not_b32_e32 v3, v6
	v_ashrrev_i32_e32 v3, 31, v3
	v_and_b32_e32 v2, exec_lo, v2
	v_xor_b32_e32 v4, s27, v3
	v_xor_b32_e32 v3, s26, v3
	v_lshlrev_b32_e32 v6, 29, v20
	v_and_b32_e32 v2, v2, v3
	v_cmp_gt_i64_e64 s[26:27], 0, v[5:6]
	v_not_b32_e32 v3, v6
	v_and_b32_e32 v1, exec_hi, v1
	v_ashrrev_i32_e32 v3, 31, v3
	v_and_b32_e32 v1, v1, v4
	v_xor_b32_e32 v4, s27, v3
	v_xor_b32_e32 v3, s26, v3
	v_lshlrev_b32_e32 v6, 28, v20
	v_and_b32_e32 v2, v2, v3
	v_cmp_gt_i64_e64 s[26:27], 0, v[5:6]
	v_not_b32_e32 v3, v6
	v_ashrrev_i32_e32 v3, 31, v3
	v_and_b32_e32 v1, v1, v4
	v_xor_b32_e32 v4, s27, v3
	v_xor_b32_e32 v3, s26, v3
	v_lshlrev_b32_e32 v6, 27, v20
	v_and_b32_e32 v2, v2, v3
	v_cmp_gt_i64_e64 s[26:27], 0, v[5:6]
	v_not_b32_e32 v3, v6
	;; [unrolled: 8-line block ×5, first 2 shown]
	v_ashrrev_i32_e32 v2, 31, v2
	v_and_b32_e32 v1, v1, v4
	v_xor_b32_e32 v4, s27, v2
	v_xor_b32_e32 v6, s26, v2
	; wave barrier
	ds_read_b32 v31, v32 offset:32
	v_and_b32_e32 v2, v1, v4
	v_and_b32_e32 v1, v3, v6
	v_mbcnt_lo_u32_b32 v3, v1, 0
	v_mbcnt_hi_u32_b32 v6, v2, v3
	v_cmp_ne_u64_e64 s[26:27], 0, v[1:2]
	v_cmp_eq_u32_e64 s[28:29], 0, v6
	s_and_b64 s[28:29], s[26:27], s[28:29]
	; wave barrier
	s_and_saveexec_b64 s[26:27], s[28:29]
	s_cbranch_execz .LBB91_8
; %bb.7:                                ;   in Loop: Header=BB91_2 Depth=1
	v_bcnt_u32_b32 v1, v1, 0
	v_bcnt_u32_b32 v1, v2, v1
	s_waitcnt lgkmcnt(0)
	v_add_u32_e32 v1, v31, v1
	ds_write_b32 v32, v1 offset:32
.LBB91_8:                               ;   in Loop: Header=BB91_2 Depth=1
	s_or_b64 exec, exec, s[26:27]
	; wave barrier
	s_waitcnt lgkmcnt(0)
	s_barrier
	ds_read2_b64 v[1:4], v12 offset0:4 offset1:5
	s_waitcnt lgkmcnt(0)
	v_add_u32_e32 v33, v2, v1
	v_add3_u32 v4, v33, v3, v4
	s_nop 1
	v_mov_b32_dpp v33, v4 row_shr:1 row_mask:0xf bank_mask:0xf
	v_cndmask_b32_e64 v33, v33, 0, s[10:11]
	v_add_u32_e32 v4, v33, v4
	s_nop 1
	v_mov_b32_dpp v33, v4 row_shr:2 row_mask:0xf bank_mask:0xf
	v_cndmask_b32_e64 v33, 0, v33, s[12:13]
	v_add_u32_e32 v4, v4, v33
	;; [unrolled: 4-line block ×4, first 2 shown]
	s_nop 1
	v_mov_b32_dpp v33, v4 row_bcast:15 row_mask:0xf bank_mask:0xf
	v_cndmask_b32_e64 v33, v33, 0, s[18:19]
	v_add_u32_e32 v4, v4, v33
	s_nop 1
	v_mov_b32_dpp v33, v4 row_bcast:31 row_mask:0xf bank_mask:0xf
	v_cndmask_b32_e64 v33, 0, v33, s[4:5]
	v_add_u32_e32 v4, v4, v33
	s_and_saveexec_b64 s[26:27], s[6:7]
; %bb.9:                                ;   in Loop: Header=BB91_2 Depth=1
	ds_write_b32 v14, v4
; %bb.10:                               ;   in Loop: Header=BB91_2 Depth=1
	s_or_b64 exec, exec, s[26:27]
	s_waitcnt lgkmcnt(0)
	s_barrier
	s_and_saveexec_b64 s[26:27], vcc
	s_cbranch_execz .LBB91_12
; %bb.11:                               ;   in Loop: Header=BB91_2 Depth=1
	ds_read_b32 v33, v17
	s_waitcnt lgkmcnt(0)
	s_nop 0
	v_mov_b32_dpp v34, v33 row_shr:1 row_mask:0xf bank_mask:0xf
	v_cndmask_b32_e64 v34, v34, 0, s[20:21]
	v_add_u32_e32 v33, v34, v33
	s_nop 1
	v_mov_b32_dpp v34, v33 row_shr:2 row_mask:0xf bank_mask:0xf
	v_cndmask_b32_e64 v34, 0, v34, s[22:23]
	v_add_u32_e32 v33, v33, v34
	;; [unrolled: 4-line block ×3, first 2 shown]
	ds_write_b32 v17, v33
.LBB91_12:                              ;   in Loop: Header=BB91_2 Depth=1
	s_or_b64 exec, exec, s[26:27]
	v_mov_b32_e32 v33, 0
	s_waitcnt lgkmcnt(0)
	s_barrier
	s_and_saveexec_b64 s[26:27], s[0:1]
	s_cbranch_execz .LBB91_1
; %bb.13:                               ;   in Loop: Header=BB91_2 Depth=1
	v_add_u32_e32 v33, -4, v14
	ds_read_b32 v33, v33
	s_branch .LBB91_1
.LBB91_14:
	s_add_u32 s0, s30, s33
	s_addc_u32 s1, s31, 0
	v_mov_b32_e32 v1, s1
	v_add_co_u32_e32 v0, vcc, s0, v0
	v_add_u16_e32 v3, v3, v20
	v_addc_co_u32_e32 v1, vcc, 0, v1, vcc
	v_add_u16_sdwa v5, v6, v2 dst_sel:DWORD dst_unused:UNUSED_PAD src0_sel:DWORD src1_sel:BYTE_1
	v_add_u16_e32 v2, v4, v2
	global_store_byte v[0:1], v3, off
	global_store_byte v[0:1], v2, off offset:512
	global_store_byte v[0:1], v5, off offset:1024
	s_endpgm
	.section	.rodata,"a",@progbits
	.p2align	6, 0x0
	.amdhsa_kernel _Z17sort_pairs_kernelI22helper_blocked_blockedaLj512ELj3ELj10EEvPKT0_PS1_
		.amdhsa_group_segment_fixed_size 8224
		.amdhsa_private_segment_fixed_size 0
		.amdhsa_kernarg_size 272
		.amdhsa_user_sgpr_count 6
		.amdhsa_user_sgpr_private_segment_buffer 1
		.amdhsa_user_sgpr_dispatch_ptr 0
		.amdhsa_user_sgpr_queue_ptr 0
		.amdhsa_user_sgpr_kernarg_segment_ptr 1
		.amdhsa_user_sgpr_dispatch_id 0
		.amdhsa_user_sgpr_flat_scratch_init 0
		.amdhsa_user_sgpr_private_segment_size 0
		.amdhsa_uses_dynamic_stack 0
		.amdhsa_system_sgpr_private_segment_wavefront_offset 0
		.amdhsa_system_sgpr_workgroup_id_x 1
		.amdhsa_system_sgpr_workgroup_id_y 0
		.amdhsa_system_sgpr_workgroup_id_z 0
		.amdhsa_system_sgpr_workgroup_info 0
		.amdhsa_system_vgpr_workitem_id 2
		.amdhsa_next_free_vgpr 35
		.amdhsa_next_free_sgpr 37
		.amdhsa_reserve_vcc 1
		.amdhsa_reserve_flat_scratch 0
		.amdhsa_float_round_mode_32 0
		.amdhsa_float_round_mode_16_64 0
		.amdhsa_float_denorm_mode_32 3
		.amdhsa_float_denorm_mode_16_64 3
		.amdhsa_dx10_clamp 1
		.amdhsa_ieee_mode 1
		.amdhsa_fp16_overflow 0
		.amdhsa_exception_fp_ieee_invalid_op 0
		.amdhsa_exception_fp_denorm_src 0
		.amdhsa_exception_fp_ieee_div_zero 0
		.amdhsa_exception_fp_ieee_overflow 0
		.amdhsa_exception_fp_ieee_underflow 0
		.amdhsa_exception_fp_ieee_inexact 0
		.amdhsa_exception_int_div_zero 0
	.end_amdhsa_kernel
	.section	.text._Z17sort_pairs_kernelI22helper_blocked_blockedaLj512ELj3ELj10EEvPKT0_PS1_,"axG",@progbits,_Z17sort_pairs_kernelI22helper_blocked_blockedaLj512ELj3ELj10EEvPKT0_PS1_,comdat
.Lfunc_end91:
	.size	_Z17sort_pairs_kernelI22helper_blocked_blockedaLj512ELj3ELj10EEvPKT0_PS1_, .Lfunc_end91-_Z17sort_pairs_kernelI22helper_blocked_blockedaLj512ELj3ELj10EEvPKT0_PS1_
                                        ; -- End function
	.set _Z17sort_pairs_kernelI22helper_blocked_blockedaLj512ELj3ELj10EEvPKT0_PS1_.num_vgpr, 35
	.set _Z17sort_pairs_kernelI22helper_blocked_blockedaLj512ELj3ELj10EEvPKT0_PS1_.num_agpr, 0
	.set _Z17sort_pairs_kernelI22helper_blocked_blockedaLj512ELj3ELj10EEvPKT0_PS1_.numbered_sgpr, 37
	.set _Z17sort_pairs_kernelI22helper_blocked_blockedaLj512ELj3ELj10EEvPKT0_PS1_.num_named_barrier, 0
	.set _Z17sort_pairs_kernelI22helper_blocked_blockedaLj512ELj3ELj10EEvPKT0_PS1_.private_seg_size, 0
	.set _Z17sort_pairs_kernelI22helper_blocked_blockedaLj512ELj3ELj10EEvPKT0_PS1_.uses_vcc, 1
	.set _Z17sort_pairs_kernelI22helper_blocked_blockedaLj512ELj3ELj10EEvPKT0_PS1_.uses_flat_scratch, 0
	.set _Z17sort_pairs_kernelI22helper_blocked_blockedaLj512ELj3ELj10EEvPKT0_PS1_.has_dyn_sized_stack, 0
	.set _Z17sort_pairs_kernelI22helper_blocked_blockedaLj512ELj3ELj10EEvPKT0_PS1_.has_recursion, 0
	.set _Z17sort_pairs_kernelI22helper_blocked_blockedaLj512ELj3ELj10EEvPKT0_PS1_.has_indirect_call, 0
	.section	.AMDGPU.csdata,"",@progbits
; Kernel info:
; codeLenInByte = 2456
; TotalNumSgprs: 41
; NumVgprs: 35
; ScratchSize: 0
; MemoryBound: 0
; FloatMode: 240
; IeeeMode: 1
; LDSByteSize: 8224 bytes/workgroup (compile time only)
; SGPRBlocks: 5
; VGPRBlocks: 8
; NumSGPRsForWavesPerEU: 41
; NumVGPRsForWavesPerEU: 35
; Occupancy: 7
; WaveLimiterHint : 1
; COMPUTE_PGM_RSRC2:SCRATCH_EN: 0
; COMPUTE_PGM_RSRC2:USER_SGPR: 6
; COMPUTE_PGM_RSRC2:TRAP_HANDLER: 0
; COMPUTE_PGM_RSRC2:TGID_X_EN: 1
; COMPUTE_PGM_RSRC2:TGID_Y_EN: 0
; COMPUTE_PGM_RSRC2:TGID_Z_EN: 0
; COMPUTE_PGM_RSRC2:TIDIG_COMP_CNT: 2
	.section	.text._Z16sort_keys_kernelI22helper_blocked_blockedaLj512ELj4ELj10EEvPKT0_PS1_,"axG",@progbits,_Z16sort_keys_kernelI22helper_blocked_blockedaLj512ELj4ELj10EEvPKT0_PS1_,comdat
	.protected	_Z16sort_keys_kernelI22helper_blocked_blockedaLj512ELj4ELj10EEvPKT0_PS1_ ; -- Begin function _Z16sort_keys_kernelI22helper_blocked_blockedaLj512ELj4ELj10EEvPKT0_PS1_
	.globl	_Z16sort_keys_kernelI22helper_blocked_blockedaLj512ELj4ELj10EEvPKT0_PS1_
	.p2align	8
	.type	_Z16sort_keys_kernelI22helper_blocked_blockedaLj512ELj4ELj10EEvPKT0_PS1_,@function
_Z16sort_keys_kernelI22helper_blocked_blockedaLj512ELj4ELj10EEvPKT0_PS1_: ; @_Z16sort_keys_kernelI22helper_blocked_blockedaLj512ELj4ELj10EEvPKT0_PS1_
; %bb.0:
	s_load_dwordx4 s[40:43], s[4:5], 0x0
	s_load_dword s7, s[4:5], 0x1c
	s_lshl_b32 s33, s6, 11
	v_mbcnt_lo_u32_b32 v7, -1, 0
	v_mbcnt_hi_u32_b32 v7, -1, v7
	s_waitcnt lgkmcnt(0)
	s_add_u32 s0, s40, s33
	s_addc_u32 s1, s41, 0
	global_load_ubyte v6, v0, s[0:1] offset:1536
	global_load_ubyte v3, v0, s[0:1] offset:1024
	;; [unrolled: 1-line block ×3, first 2 shown]
	global_load_ubyte v4, v0, s[0:1]
	s_lshr_b32 s6, s7, 16
	s_and_b32 s7, s7, 0xffff
	v_mad_u32_u24 v1, v2, s6, v1
	v_mad_u64_u32 v[1:2], s[6:7], v1, s7, v[0:1]
	v_and_b32_e32 v9, 3, v7
	v_lshrrev_b32_e32 v8, 2, v7
	v_lshrrev_b32_e32 v1, 4, v1
	v_and_b32_e32 v16, 0xffffffc, v1
	v_and_b32_e32 v1, 15, v7
	v_cmp_eq_u32_e64 s[6:7], 0, v1
	v_cmp_lt_u32_e64 s[8:9], 1, v1
	v_cmp_lt_u32_e64 s[10:11], 3, v1
	;; [unrolled: 1-line block ×3, first 2 shown]
	v_and_b32_e32 v1, 16, v7
	v_cmp_eq_u32_e64 s[14:15], 0, v1
	v_or_b32_e32 v1, 63, v0
	v_cmp_eq_u32_e32 vcc, 3, v9
	v_cmp_eq_u32_e64 s[0:1], 2, v9
	v_cmp_eq_u32_e64 s[2:3], 1, v9
	;; [unrolled: 1-line block ×3, first 2 shown]
	v_and_b32_e32 v9, 64, v7
	v_cmp_eq_u32_e64 s[18:19], v0, v1
	v_subrev_co_u32_e64 v1, s[24:25], 1, v7
	s_mov_b32 s36, 0
	v_or_b32_e32 v10, v8, v9
	v_add_u32_e32 v8, 48, v8
	v_cmp_lt_i32_e64 s[26:27], v1, v9
	v_and_or_b32 v8, v8, 63, v9
	v_cndmask_b32_e64 v1, v1, v7, s[26:27]
	v_lshrrev_b32_e32 v2, 4, v0
	s_mov_b32 s38, s36
	v_lshlrev_b32_e32 v11, 2, v10
	v_lshlrev_b32_e32 v14, 2, v8
	;; [unrolled: 1-line block ×3, first 2 shown]
	v_cmp_lt_u32_e64 s[16:17], 31, v7
	v_lshlrev_b32_e32 v17, 2, v1
	v_mul_i32_i24_e32 v1, -12, v0
	v_and_b32_e32 v18, 28, v2
	v_and_b32_e32 v2, 7, v7
	s_mov_b32 s37, s36
	s_mov_b32 s39, s36
	v_mov_b32_e32 v7, s36
	v_mov_b32_e32 v9, s38
	;; [unrolled: 1-line block ×3, first 2 shown]
	v_add_u32_e32 v12, 64, v11
	s_movk_i32 s40, 0x80
	v_or_b32_e32 v13, 0x80, v11
	s_mov_b32 s41, 0xffff
	v_cmp_gt_u32_e64 s[20:21], 8, v0
	v_cmp_lt_u32_e64 s[22:23], 63, v0
	v_cmp_eq_u32_e64 s[26:27], 0, v0
	v_cmp_eq_u32_e64 s[28:29], 0, v2
	v_cmp_lt_u32_e64 s[30:31], 1, v2
	v_cmp_lt_u32_e64 s[34:35], 3, v2
	v_add_u32_e32 v19, -4, v18
	s_mov_b32 s44, 10
	s_movk_i32 s45, 0xff
	s_mov_b32 s46, 0x3020104
	s_mov_b32 s47, 0xffff0000
	;; [unrolled: 1-line block ×3, first 2 shown]
	v_mov_b32_e32 v8, s37
	s_movk_i32 s49, 0xff00
	v_add_u32_e32 v20, v15, v1
	v_mov_b32_e32 v21, 5
	v_mov_b32_e32 v10, s39
	s_branch .LBB92_2
.LBB92_1:                               ;   in Loop: Header=BB92_2 Depth=1
	s_or_b64 exec, exec, s[36:37]
	s_waitcnt lgkmcnt(0)
	v_add_u32_e32 v4, v36, v4
	ds_bpermute_b32 v4, v17, v4
	s_add_i32 s44, s44, -1
	s_cmp_eq_u32 s44, 0
	s_waitcnt lgkmcnt(0)
	v_cndmask_b32_e64 v4, v4, v36, s[24:25]
	v_cndmask_b32_e64 v36, v4, 0, s[26:27]
	v_add_u32_e32 v37, v36, v1
	v_add_u32_e32 v1, v37, v2
	;; [unrolled: 1-line block ×3, first 2 shown]
	ds_write2_b64 v15, v[36:37], v[1:2] offset0:4 offset1:5
	s_waitcnt lgkmcnt(0)
	s_barrier
	ds_read_b32 v1, v24 offset:32
	ds_read_b32 v2, v27 offset:32
	;; [unrolled: 1-line block ×4, first 2 shown]
	s_waitcnt lgkmcnt(0)
	v_add_u32_e32 v1, v1, v23
	s_barrier
	ds_write_b8 v1, v22
	v_add3_u32 v1, v28, v26, v2
	ds_write_b8 v1, v25
	v_add3_u32 v1, v32, v30, v3
	;; [unrolled: 2-line block ×3, first 2 shown]
	ds_write_b8 v1, v33
	s_waitcnt lgkmcnt(0)
	s_barrier
	ds_read_b32 v1, v20
	s_waitcnt lgkmcnt(0)
	v_and_b32_e32 v2, 0xffffff00, v1
	v_xor_b32_e32 v3, 0x80, v1
	v_or_b32_sdwa v2, v3, v2 dst_sel:DWORD dst_unused:UNUSED_PAD src0_sel:BYTE_0 src1_sel:DWORD
	v_add_u16_e32 v4, 0x8000, v2
	v_and_b32_sdwa v2, v1, s49 dst_sel:DWORD dst_unused:UNUSED_PAD src0_sel:WORD_1 src1_sel:DWORD
	v_xor_b32_sdwa v1, v1, s40 dst_sel:DWORD dst_unused:UNUSED_PAD src0_sel:WORD_1 src1_sel:DWORD
	v_or_b32_sdwa v1, v1, v2 dst_sel:DWORD dst_unused:UNUSED_PAD src0_sel:BYTE_0 src1_sel:DWORD
	v_add_u16_e32 v3, 0x8000, v1
	v_lshlrev_b32_e32 v2, 16, v3
	v_or_b32_e32 v1, v4, v2
	v_lshrrev_b32_e32 v22, 8, v1
	v_lshrrev_b32_e32 v6, 24, v2
	s_cbranch_scc1 .LBB92_16
.LBB92_2:                               ; =>This Inner Loop Header: Depth=1
	s_waitcnt vmcnt(0)
	v_xor_b32_e32 v1, 0x80, v4
	v_xor_b32_e32 v2, 0x80, v22
	v_and_b32_e32 v1, 0xff, v1
	ds_bpermute_b32 v4, v11, v1
	v_xor_b32_e32 v3, 0x80, v3
	v_and_b32_e32 v2, 0xff, v2
	ds_bpermute_b32 v22, v11, v2
	v_and_b32_e32 v3, 0xff, v3
	ds_bpermute_b32 v23, v11, v3
	v_xor_b32_e32 v6, 0x80, v6
	v_and_b32_e32 v6, 0xff, v6
	s_waitcnt lgkmcnt(2)
	v_and_b32_e32 v4, 0xff, v4
	ds_bpermute_b32 v24, v11, v6
	v_cndmask_b32_e64 v4, 0, v4, s[4:5]
	s_waitcnt lgkmcnt(2)
	v_and_b32_e32 v22, 0xff, v22
	v_cndmask_b32_e64 v4, v4, v22, s[2:3]
	s_waitcnt lgkmcnt(1)
	v_and_b32_e32 v22, 0xff, v23
	ds_bpermute_b32 v23, v12, v1
	v_cndmask_b32_e64 v4, v4, v22, s[0:1]
	s_waitcnt lgkmcnt(1)
	v_perm_b32 v22, v24, v4, s46
	v_cndmask_b32_e32 v4, v4, v22, vcc
	ds_bpermute_b32 v22, v12, v2
	s_waitcnt lgkmcnt(1)
	v_lshlrev_b16_e32 v23, 8, v23
	v_or_b32_sdwa v23, v4, v23 dst_sel:DWORD dst_unused:UNUSED_PAD src0_sel:BYTE_0 src1_sel:DWORD
	v_and_b32_e32 v23, 0xffff, v23
	v_cndmask_b32_e64 v4, v4, v23, s[4:5]
	ds_bpermute_b32 v23, v12, v3
	s_waitcnt lgkmcnt(1)
	v_lshlrev_b16_e32 v22, 8, v22
	v_or_b32_sdwa v22, v4, v22 dst_sel:DWORD dst_unused:UNUSED_PAD src0_sel:BYTE_0 src1_sel:DWORD
	v_and_b32_e32 v22, 0xffff, v22
	v_and_or_b32 v22, v4, s47, v22
	v_cndmask_b32_e64 v4, v4, v22, s[2:3]
	s_waitcnt lgkmcnt(0)
	v_lshlrev_b16_e32 v22, 8, v23
	ds_bpermute_b32 v23, v12, v6
	v_or_b32_sdwa v22, v4, v22 dst_sel:DWORD dst_unused:UNUSED_PAD src0_sel:BYTE_0 src1_sel:DWORD
	v_and_b32_e32 v22, 0xffff, v22
	v_and_or_b32 v22, v4, s47, v22
	v_cndmask_b32_e64 v4, v4, v22, s[0:1]
	s_waitcnt lgkmcnt(0)
	v_lshlrev_b16_e32 v22, 8, v23
	ds_bpermute_b32 v23, v13, v1
	v_or_b32_sdwa v22, v4, v22 dst_sel:DWORD dst_unused:UNUSED_PAD src0_sel:BYTE_0 src1_sel:DWORD
	v_and_b32_e32 v22, 0xffff, v22
	v_and_or_b32 v22, v4, s47, v22
	v_cndmask_b32_e32 v4, v4, v22, vcc
	ds_bpermute_b32 v22, v13, v2
	s_waitcnt lgkmcnt(1)
	v_perm_b32 v23, v23, v4, s48
	v_lshlrev_b32_e32 v23, 16, v23
	v_and_or_b32 v23, v4, s41, v23
	v_cndmask_b32_e64 v4, v4, v23, s[4:5]
	ds_bpermute_b32 v23, v13, v3
	s_waitcnt lgkmcnt(1)
	v_perm_b32 v22, v22, v4, s48
	v_lshlrev_b32_e32 v22, 16, v22
	v_and_or_b32 v22, v4, s41, v22
	v_cndmask_b32_e64 v4, v4, v22, s[2:3]
	;; [unrolled: 6-line block ×3, first 2 shown]
	ds_bpermute_b32 v1, v14, v1
	s_waitcnt lgkmcnt(1)
	v_perm_b32 v22, v22, v4, s48
	v_lshlrev_b32_e32 v22, 16, v22
	v_and_or_b32 v22, v4, s41, v22
	v_cndmask_b32_e32 v4, v4, v22, vcc
	ds_bpermute_b32 v2, v14, v2
	v_and_b32_sdwa v22, v4, s45 dst_sel:DWORD dst_unused:UNUSED_PAD src0_sel:WORD_1 src1_sel:DWORD
	s_waitcnt lgkmcnt(1)
	v_lshlrev_b16_e32 v1, 8, v1
	v_or_b32_sdwa v1, v22, v1 dst_sel:WORD_1 dst_unused:UNUSED_PAD src0_sel:DWORD src1_sel:DWORD
	v_and_or_b32 v1, v4, s41, v1
	v_cndmask_b32_e64 v1, v4, v1, s[4:5]
	ds_bpermute_b32 v3, v14, v3
	v_and_b32_sdwa v4, v1, s45 dst_sel:DWORD dst_unused:UNUSED_PAD src0_sel:WORD_1 src1_sel:DWORD
	s_waitcnt lgkmcnt(1)
	v_lshlrev_b16_e32 v2, 8, v2
	v_or_b32_sdwa v2, v4, v2 dst_sel:WORD_1 dst_unused:UNUSED_PAD src0_sel:DWORD src1_sel:DWORD
	v_and_or_b32 v2, v1, s41, v2
	v_cndmask_b32_e64 v1, v1, v2, s[2:3]
	ds_bpermute_b32 v4, v14, v6
	v_and_b32_sdwa v2, v1, s45 dst_sel:DWORD dst_unused:UNUSED_PAD src0_sel:WORD_1 src1_sel:DWORD
	s_waitcnt lgkmcnt(1)
	v_lshlrev_b16_e32 v3, 8, v3
	v_or_b32_sdwa v2, v2, v3 dst_sel:WORD_1 dst_unused:UNUSED_PAD src0_sel:DWORD src1_sel:DWORD
	v_and_or_b32 v2, v1, s41, v2
	v_cndmask_b32_e64 v1, v1, v2, s[0:1]
	v_and_b32_sdwa v2, v1, s45 dst_sel:DWORD dst_unused:UNUSED_PAD src0_sel:WORD_1 src1_sel:DWORD
	s_waitcnt lgkmcnt(0)
	v_lshlrev_b16_e32 v3, 8, v4
	v_or_b32_sdwa v2, v2, v3 dst_sel:WORD_1 dst_unused:UNUSED_PAD src0_sel:DWORD src1_sel:DWORD
	v_and_or_b32 v2, v1, s41, v2
	v_cndmask_b32_e32 v22, v1, v2, vcc
	v_and_b32_e32 v1, 1, v22
	v_add_co_u32_e64 v2, s[36:37], -1, v1
	v_addc_co_u32_e64 v4, s[36:37], 0, -1, s[36:37]
	v_cmp_ne_u32_e64 s[36:37], 0, v1
	v_lshlrev_b32_e32 v6, 30, v22
	v_xor_b32_e32 v1, s37, v4
	v_xor_b32_e32 v2, s36, v2
	v_cmp_gt_i64_e64 s[36:37], 0, v[5:6]
	v_not_b32_e32 v4, v6
	v_ashrrev_i32_e32 v4, 31, v4
	v_and_b32_e32 v1, exec_hi, v1
	v_xor_b32_e32 v6, s37, v4
	v_and_b32_e32 v2, exec_lo, v2
	v_xor_b32_e32 v4, s36, v4
	v_and_b32_e32 v1, v1, v6
	v_lshlrev_b32_e32 v6, 29, v22
	v_and_b32_e32 v2, v2, v4
	v_cmp_gt_i64_e64 s[36:37], 0, v[5:6]
	v_not_b32_e32 v4, v6
	v_ashrrev_i32_e32 v4, 31, v4
	v_xor_b32_e32 v6, s37, v4
	v_xor_b32_e32 v4, s36, v4
	v_and_b32_e32 v1, v1, v6
	v_lshlrev_b32_e32 v6, 28, v22
	v_and_b32_e32 v2, v2, v4
	v_cmp_gt_i64_e64 s[36:37], 0, v[5:6]
	v_not_b32_e32 v4, v6
	v_ashrrev_i32_e32 v4, 31, v4
	v_xor_b32_e32 v6, s37, v4
	;; [unrolled: 8-line block ×6, first 2 shown]
	v_xor_b32_e32 v23, s36, v2
	v_and_b32_e32 v2, v1, v6
	v_and_b32_e32 v1, v4, v23
	v_mbcnt_lo_u32_b32 v4, v1, 0
	v_mbcnt_hi_u32_b32 v23, v2, v4
	v_cmp_ne_u64_e64 s[36:37], 0, v[1:2]
	v_lshlrev_b32_sdwa v3, v21, v22 dst_sel:DWORD dst_unused:UNUSED_PAD src0_sel:DWORD src1_sel:BYTE_0
	v_cmp_eq_u32_e64 s[38:39], 0, v23
	s_and_b64 s[38:39], s[38:39], s[36:37]
	v_add_u32_e32 v24, v16, v3
	s_barrier
	ds_write2_b64 v15, v[7:8], v[9:10] offset0:4 offset1:5
	s_waitcnt lgkmcnt(0)
	s_barrier
	; wave barrier
	s_and_saveexec_b64 s[36:37], s[38:39]
; %bb.3:                                ;   in Loop: Header=BB92_2 Depth=1
	v_bcnt_u32_b32 v1, v1, 0
	v_bcnt_u32_b32 v1, v2, v1
	ds_write_b32 v24, v1 offset:32
; %bb.4:                                ;   in Loop: Header=BB92_2 Depth=1
	s_or_b64 exec, exec, s[36:37]
	v_lshlrev_b32_sdwa v1, v21, v22 dst_sel:DWORD dst_unused:UNUSED_PAD src0_sel:DWORD src1_sel:BYTE_1
	v_add_u32_e32 v27, v16, v1
	v_bfe_u32 v1, v22, 8, 1
	v_add_co_u32_e64 v2, s[36:37], -1, v1
	v_lshrrev_b32_e32 v25, 8, v22
	v_addc_co_u32_e64 v3, s[36:37], 0, -1, s[36:37]
	v_cmp_ne_u32_e64 s[36:37], 0, v1
	v_lshlrev_b32_e32 v6, 30, v25
	v_xor_b32_e32 v1, s37, v3
	v_xor_b32_e32 v2, s36, v2
	v_cmp_gt_i64_e64 s[36:37], 0, v[5:6]
	v_not_b32_e32 v3, v6
	v_ashrrev_i32_e32 v3, 31, v3
	v_and_b32_e32 v2, exec_lo, v2
	v_xor_b32_e32 v4, s37, v3
	v_xor_b32_e32 v3, s36, v3
	v_lshlrev_b32_e32 v6, 29, v25
	v_and_b32_e32 v2, v2, v3
	v_cmp_gt_i64_e64 s[36:37], 0, v[5:6]
	v_not_b32_e32 v3, v6
	v_and_b32_e32 v1, exec_hi, v1
	v_ashrrev_i32_e32 v3, 31, v3
	v_and_b32_e32 v1, v1, v4
	v_xor_b32_e32 v4, s37, v3
	v_xor_b32_e32 v3, s36, v3
	v_lshlrev_b32_e32 v6, 28, v25
	v_and_b32_e32 v2, v2, v3
	v_cmp_gt_i64_e64 s[36:37], 0, v[5:6]
	v_not_b32_e32 v3, v6
	v_ashrrev_i32_e32 v3, 31, v3
	v_and_b32_e32 v1, v1, v4
	v_xor_b32_e32 v4, s37, v3
	v_xor_b32_e32 v3, s36, v3
	v_lshlrev_b32_e32 v6, 27, v25
	v_and_b32_e32 v2, v2, v3
	v_cmp_gt_i64_e64 s[36:37], 0, v[5:6]
	v_not_b32_e32 v3, v6
	;; [unrolled: 8-line block ×5, first 2 shown]
	v_ashrrev_i32_e32 v2, 31, v2
	v_and_b32_e32 v1, v1, v4
	v_xor_b32_e32 v4, s37, v2
	v_xor_b32_e32 v6, s36, v2
	; wave barrier
	ds_read_b32 v26, v27 offset:32
	v_and_b32_e32 v2, v1, v4
	v_and_b32_e32 v1, v3, v6
	v_mbcnt_lo_u32_b32 v3, v1, 0
	v_mbcnt_hi_u32_b32 v28, v2, v3
	v_cmp_ne_u64_e64 s[36:37], 0, v[1:2]
	v_cmp_eq_u32_e64 s[38:39], 0, v28
	s_and_b64 s[38:39], s[36:37], s[38:39]
	; wave barrier
	s_and_saveexec_b64 s[36:37], s[38:39]
	s_cbranch_execz .LBB92_6
; %bb.5:                                ;   in Loop: Header=BB92_2 Depth=1
	v_bcnt_u32_b32 v1, v1, 0
	v_bcnt_u32_b32 v1, v2, v1
	s_waitcnt lgkmcnt(0)
	v_add_u32_e32 v1, v26, v1
	ds_write_b32 v27, v1 offset:32
.LBB92_6:                               ;   in Loop: Header=BB92_2 Depth=1
	s_or_b64 exec, exec, s[36:37]
	v_lshlrev_b32_sdwa v1, v21, v22 dst_sel:DWORD dst_unused:UNUSED_PAD src0_sel:DWORD src1_sel:BYTE_2
	v_add_u32_e32 v31, v16, v1
	v_bfe_u32 v1, v22, 16, 1
	v_add_co_u32_e64 v2, s[36:37], -1, v1
	v_lshrrev_b32_e32 v29, 16, v22
	v_addc_co_u32_e64 v3, s[36:37], 0, -1, s[36:37]
	v_cmp_ne_u32_e64 s[36:37], 0, v1
	v_lshlrev_b32_e32 v6, 30, v29
	v_xor_b32_e32 v1, s37, v3
	v_xor_b32_e32 v2, s36, v2
	v_cmp_gt_i64_e64 s[36:37], 0, v[5:6]
	v_not_b32_e32 v3, v6
	v_ashrrev_i32_e32 v3, 31, v3
	v_and_b32_e32 v2, exec_lo, v2
	v_xor_b32_e32 v4, s37, v3
	v_xor_b32_e32 v3, s36, v3
	v_lshlrev_b32_e32 v6, 29, v29
	v_and_b32_e32 v2, v2, v3
	v_cmp_gt_i64_e64 s[36:37], 0, v[5:6]
	v_not_b32_e32 v3, v6
	v_and_b32_e32 v1, exec_hi, v1
	v_ashrrev_i32_e32 v3, 31, v3
	v_and_b32_e32 v1, v1, v4
	v_xor_b32_e32 v4, s37, v3
	v_xor_b32_e32 v3, s36, v3
	v_lshlrev_b32_e32 v6, 28, v29
	v_and_b32_e32 v2, v2, v3
	v_cmp_gt_i64_e64 s[36:37], 0, v[5:6]
	v_not_b32_e32 v3, v6
	v_ashrrev_i32_e32 v3, 31, v3
	v_and_b32_e32 v1, v1, v4
	v_xor_b32_e32 v4, s37, v3
	v_xor_b32_e32 v3, s36, v3
	v_lshlrev_b32_e32 v6, 27, v29
	v_and_b32_e32 v2, v2, v3
	v_cmp_gt_i64_e64 s[36:37], 0, v[5:6]
	v_not_b32_e32 v3, v6
	;; [unrolled: 8-line block ×5, first 2 shown]
	v_ashrrev_i32_e32 v2, 31, v2
	v_and_b32_e32 v1, v1, v4
	v_xor_b32_e32 v4, s37, v2
	v_xor_b32_e32 v6, s36, v2
	; wave barrier
	ds_read_b32 v30, v31 offset:32
	v_and_b32_e32 v2, v1, v4
	v_and_b32_e32 v1, v3, v6
	v_mbcnt_lo_u32_b32 v3, v1, 0
	v_mbcnt_hi_u32_b32 v32, v2, v3
	v_cmp_ne_u64_e64 s[36:37], 0, v[1:2]
	v_cmp_eq_u32_e64 s[38:39], 0, v32
	s_and_b64 s[38:39], s[36:37], s[38:39]
	; wave barrier
	s_and_saveexec_b64 s[36:37], s[38:39]
	s_cbranch_execz .LBB92_8
; %bb.7:                                ;   in Loop: Header=BB92_2 Depth=1
	v_bcnt_u32_b32 v1, v1, 0
	v_bcnt_u32_b32 v1, v2, v1
	s_waitcnt lgkmcnt(0)
	v_add_u32_e32 v1, v30, v1
	ds_write_b32 v31, v1 offset:32
.LBB92_8:                               ;   in Loop: Header=BB92_2 Depth=1
	s_or_b64 exec, exec, s[36:37]
	v_lshrrev_b32_e32 v33, 24, v22
	v_lshlrev_b32_e32 v1, 5, v33
	v_add_u32_e32 v35, v16, v1
	v_bfe_u32 v1, v22, 24, 1
	v_add_co_u32_e64 v2, s[36:37], -1, v1
	v_addc_co_u32_e64 v3, s[36:37], 0, -1, s[36:37]
	v_cmp_ne_u32_e64 s[36:37], 0, v1
	v_lshlrev_b32_e32 v6, 30, v33
	v_xor_b32_e32 v1, s37, v3
	v_xor_b32_e32 v2, s36, v2
	v_cmp_gt_i64_e64 s[36:37], 0, v[5:6]
	v_not_b32_e32 v3, v6
	v_ashrrev_i32_e32 v3, 31, v3
	v_and_b32_e32 v2, exec_lo, v2
	v_xor_b32_e32 v4, s37, v3
	v_xor_b32_e32 v3, s36, v3
	v_lshlrev_b32_e32 v6, 29, v33
	v_and_b32_e32 v2, v2, v3
	v_cmp_gt_i64_e64 s[36:37], 0, v[5:6]
	v_not_b32_e32 v3, v6
	v_and_b32_e32 v1, exec_hi, v1
	v_ashrrev_i32_e32 v3, 31, v3
	v_and_b32_e32 v1, v1, v4
	v_xor_b32_e32 v4, s37, v3
	v_xor_b32_e32 v3, s36, v3
	v_lshlrev_b32_e32 v6, 28, v33
	v_and_b32_e32 v2, v2, v3
	v_cmp_gt_i64_e64 s[36:37], 0, v[5:6]
	v_not_b32_e32 v3, v6
	v_ashrrev_i32_e32 v3, 31, v3
	v_and_b32_e32 v1, v1, v4
	v_xor_b32_e32 v4, s37, v3
	v_xor_b32_e32 v3, s36, v3
	v_lshlrev_b32_e32 v6, 27, v33
	v_and_b32_e32 v2, v2, v3
	v_cmp_gt_i64_e64 s[36:37], 0, v[5:6]
	v_not_b32_e32 v3, v6
	;; [unrolled: 8-line block ×4, first 2 shown]
	v_ashrrev_i32_e32 v3, 31, v3
	v_and_b32_e32 v1, v1, v4
	v_xor_b32_e32 v4, s37, v3
	v_xor_b32_e32 v3, s36, v3
	v_and_b32_e32 v6, 0xff000000, v22
	v_and_b32_e32 v3, v2, v3
	v_cmp_gt_i64_e64 s[36:37], 0, v[5:6]
	v_not_b32_e32 v2, v6
	v_ashrrev_i32_e32 v2, 31, v2
	v_and_b32_e32 v1, v1, v4
	v_xor_b32_e32 v4, s37, v2
	v_xor_b32_e32 v6, s36, v2
	; wave barrier
	ds_read_b32 v34, v35 offset:32
	v_and_b32_e32 v2, v1, v4
	v_and_b32_e32 v1, v3, v6
	v_mbcnt_lo_u32_b32 v3, v1, 0
	v_mbcnt_hi_u32_b32 v6, v2, v3
	v_cmp_ne_u64_e64 s[36:37], 0, v[1:2]
	v_cmp_eq_u32_e64 s[38:39], 0, v6
	s_and_b64 s[38:39], s[36:37], s[38:39]
	; wave barrier
	s_and_saveexec_b64 s[36:37], s[38:39]
	s_cbranch_execz .LBB92_10
; %bb.9:                                ;   in Loop: Header=BB92_2 Depth=1
	v_bcnt_u32_b32 v1, v1, 0
	v_bcnt_u32_b32 v1, v2, v1
	s_waitcnt lgkmcnt(0)
	v_add_u32_e32 v1, v34, v1
	ds_write_b32 v35, v1 offset:32
.LBB92_10:                              ;   in Loop: Header=BB92_2 Depth=1
	s_or_b64 exec, exec, s[36:37]
	; wave barrier
	s_waitcnt lgkmcnt(0)
	s_barrier
	ds_read2_b64 v[1:4], v15 offset0:4 offset1:5
	s_waitcnt lgkmcnt(0)
	v_add_u32_e32 v36, v2, v1
	v_add3_u32 v4, v36, v3, v4
	s_nop 1
	v_mov_b32_dpp v36, v4 row_shr:1 row_mask:0xf bank_mask:0xf
	v_cndmask_b32_e64 v36, v36, 0, s[6:7]
	v_add_u32_e32 v4, v36, v4
	s_nop 1
	v_mov_b32_dpp v36, v4 row_shr:2 row_mask:0xf bank_mask:0xf
	v_cndmask_b32_e64 v36, 0, v36, s[8:9]
	v_add_u32_e32 v4, v4, v36
	;; [unrolled: 4-line block ×4, first 2 shown]
	s_nop 1
	v_mov_b32_dpp v36, v4 row_bcast:15 row_mask:0xf bank_mask:0xf
	v_cndmask_b32_e64 v36, v36, 0, s[14:15]
	v_add_u32_e32 v4, v4, v36
	s_nop 1
	v_mov_b32_dpp v36, v4 row_bcast:31 row_mask:0xf bank_mask:0xf
	v_cndmask_b32_e64 v36, 0, v36, s[16:17]
	v_add_u32_e32 v4, v4, v36
	s_and_saveexec_b64 s[36:37], s[18:19]
; %bb.11:                               ;   in Loop: Header=BB92_2 Depth=1
	ds_write_b32 v18, v4
; %bb.12:                               ;   in Loop: Header=BB92_2 Depth=1
	s_or_b64 exec, exec, s[36:37]
	s_waitcnt lgkmcnt(0)
	s_barrier
	s_and_saveexec_b64 s[36:37], s[20:21]
	s_cbranch_execz .LBB92_14
; %bb.13:                               ;   in Loop: Header=BB92_2 Depth=1
	ds_read_b32 v36, v20
	s_waitcnt lgkmcnt(0)
	s_nop 0
	v_mov_b32_dpp v37, v36 row_shr:1 row_mask:0xf bank_mask:0xf
	v_cndmask_b32_e64 v37, v37, 0, s[28:29]
	v_add_u32_e32 v36, v37, v36
	s_nop 1
	v_mov_b32_dpp v37, v36 row_shr:2 row_mask:0xf bank_mask:0xf
	v_cndmask_b32_e64 v37, 0, v37, s[30:31]
	v_add_u32_e32 v36, v36, v37
	;; [unrolled: 4-line block ×3, first 2 shown]
	ds_write_b32 v20, v36
.LBB92_14:                              ;   in Loop: Header=BB92_2 Depth=1
	s_or_b64 exec, exec, s[36:37]
	v_mov_b32_e32 v36, 0
	s_waitcnt lgkmcnt(0)
	s_barrier
	s_and_saveexec_b64 s[36:37], s[22:23]
	s_cbranch_execz .LBB92_1
; %bb.15:                               ;   in Loop: Header=BB92_2 Depth=1
	ds_read_b32 v36, v19
	s_branch .LBB92_1
.LBB92_16:
	s_add_u32 s0, s42, s33
	s_addc_u32 s1, s43, 0
	v_mov_b32_e32 v3, s1
	v_add_co_u32_e32 v2, vcc, s0, v0
	v_addc_co_u32_e32 v3, vcc, 0, v3, vcc
	v_lshrrev_b32_e32 v0, 8, v1
	global_store_byte v[2:3], v1, off
	global_store_byte v[2:3], v0, off offset:512
	global_store_byte_d16_hi v[2:3], v1, off offset:1024
	v_lshrrev_b32_e32 v0, 24, v1
	global_store_byte v[2:3], v0, off offset:1536
	s_endpgm
	.section	.rodata,"a",@progbits
	.p2align	6, 0x0
	.amdhsa_kernel _Z16sort_keys_kernelI22helper_blocked_blockedaLj512ELj4ELj10EEvPKT0_PS1_
		.amdhsa_group_segment_fixed_size 8224
		.amdhsa_private_segment_fixed_size 0
		.amdhsa_kernarg_size 272
		.amdhsa_user_sgpr_count 6
		.amdhsa_user_sgpr_private_segment_buffer 1
		.amdhsa_user_sgpr_dispatch_ptr 0
		.amdhsa_user_sgpr_queue_ptr 0
		.amdhsa_user_sgpr_kernarg_segment_ptr 1
		.amdhsa_user_sgpr_dispatch_id 0
		.amdhsa_user_sgpr_flat_scratch_init 0
		.amdhsa_user_sgpr_private_segment_size 0
		.amdhsa_uses_dynamic_stack 0
		.amdhsa_system_sgpr_private_segment_wavefront_offset 0
		.amdhsa_system_sgpr_workgroup_id_x 1
		.amdhsa_system_sgpr_workgroup_id_y 0
		.amdhsa_system_sgpr_workgroup_id_z 0
		.amdhsa_system_sgpr_workgroup_info 0
		.amdhsa_system_vgpr_workitem_id 2
		.amdhsa_next_free_vgpr 38
		.amdhsa_next_free_sgpr 50
		.amdhsa_reserve_vcc 1
		.amdhsa_reserve_flat_scratch 0
		.amdhsa_float_round_mode_32 0
		.amdhsa_float_round_mode_16_64 0
		.amdhsa_float_denorm_mode_32 3
		.amdhsa_float_denorm_mode_16_64 3
		.amdhsa_dx10_clamp 1
		.amdhsa_ieee_mode 1
		.amdhsa_fp16_overflow 0
		.amdhsa_exception_fp_ieee_invalid_op 0
		.amdhsa_exception_fp_denorm_src 0
		.amdhsa_exception_fp_ieee_div_zero 0
		.amdhsa_exception_fp_ieee_overflow 0
		.amdhsa_exception_fp_ieee_underflow 0
		.amdhsa_exception_fp_ieee_inexact 0
		.amdhsa_exception_int_div_zero 0
	.end_amdhsa_kernel
	.section	.text._Z16sort_keys_kernelI22helper_blocked_blockedaLj512ELj4ELj10EEvPKT0_PS1_,"axG",@progbits,_Z16sort_keys_kernelI22helper_blocked_blockedaLj512ELj4ELj10EEvPKT0_PS1_,comdat
.Lfunc_end92:
	.size	_Z16sort_keys_kernelI22helper_blocked_blockedaLj512ELj4ELj10EEvPKT0_PS1_, .Lfunc_end92-_Z16sort_keys_kernelI22helper_blocked_blockedaLj512ELj4ELj10EEvPKT0_PS1_
                                        ; -- End function
	.set _Z16sort_keys_kernelI22helper_blocked_blockedaLj512ELj4ELj10EEvPKT0_PS1_.num_vgpr, 38
	.set _Z16sort_keys_kernelI22helper_blocked_blockedaLj512ELj4ELj10EEvPKT0_PS1_.num_agpr, 0
	.set _Z16sort_keys_kernelI22helper_blocked_blockedaLj512ELj4ELj10EEvPKT0_PS1_.numbered_sgpr, 50
	.set _Z16sort_keys_kernelI22helper_blocked_blockedaLj512ELj4ELj10EEvPKT0_PS1_.num_named_barrier, 0
	.set _Z16sort_keys_kernelI22helper_blocked_blockedaLj512ELj4ELj10EEvPKT0_PS1_.private_seg_size, 0
	.set _Z16sort_keys_kernelI22helper_blocked_blockedaLj512ELj4ELj10EEvPKT0_PS1_.uses_vcc, 1
	.set _Z16sort_keys_kernelI22helper_blocked_blockedaLj512ELj4ELj10EEvPKT0_PS1_.uses_flat_scratch, 0
	.set _Z16sort_keys_kernelI22helper_blocked_blockedaLj512ELj4ELj10EEvPKT0_PS1_.has_dyn_sized_stack, 0
	.set _Z16sort_keys_kernelI22helper_blocked_blockedaLj512ELj4ELj10EEvPKT0_PS1_.has_recursion, 0
	.set _Z16sort_keys_kernelI22helper_blocked_blockedaLj512ELj4ELj10EEvPKT0_PS1_.has_indirect_call, 0
	.section	.AMDGPU.csdata,"",@progbits
; Kernel info:
; codeLenInByte = 3448
; TotalNumSgprs: 54
; NumVgprs: 38
; ScratchSize: 0
; MemoryBound: 0
; FloatMode: 240
; IeeeMode: 1
; LDSByteSize: 8224 bytes/workgroup (compile time only)
; SGPRBlocks: 6
; VGPRBlocks: 9
; NumSGPRsForWavesPerEU: 54
; NumVGPRsForWavesPerEU: 38
; Occupancy: 6
; WaveLimiterHint : 1
; COMPUTE_PGM_RSRC2:SCRATCH_EN: 0
; COMPUTE_PGM_RSRC2:USER_SGPR: 6
; COMPUTE_PGM_RSRC2:TRAP_HANDLER: 0
; COMPUTE_PGM_RSRC2:TGID_X_EN: 1
; COMPUTE_PGM_RSRC2:TGID_Y_EN: 0
; COMPUTE_PGM_RSRC2:TGID_Z_EN: 0
; COMPUTE_PGM_RSRC2:TIDIG_COMP_CNT: 2
	.section	.text._Z17sort_pairs_kernelI22helper_blocked_blockedaLj512ELj4ELj10EEvPKT0_PS1_,"axG",@progbits,_Z17sort_pairs_kernelI22helper_blocked_blockedaLj512ELj4ELj10EEvPKT0_PS1_,comdat
	.protected	_Z17sort_pairs_kernelI22helper_blocked_blockedaLj512ELj4ELj10EEvPKT0_PS1_ ; -- Begin function _Z17sort_pairs_kernelI22helper_blocked_blockedaLj512ELj4ELj10EEvPKT0_PS1_
	.globl	_Z17sort_pairs_kernelI22helper_blocked_blockedaLj512ELj4ELj10EEvPKT0_PS1_
	.p2align	8
	.type	_Z17sort_pairs_kernelI22helper_blocked_blockedaLj512ELj4ELj10EEvPKT0_PS1_,@function
_Z17sort_pairs_kernelI22helper_blocked_blockedaLj512ELj4ELj10EEvPKT0_PS1_: ; @_Z17sort_pairs_kernelI22helper_blocked_blockedaLj512ELj4ELj10EEvPKT0_PS1_
; %bb.0:
	s_load_dwordx4 s[40:43], s[4:5], 0x0
	s_load_dword s38, s[4:5], 0x1c
	s_lshl_b32 s33, s6, 11
	v_mbcnt_lo_u32_b32 v3, -1, 0
	v_mbcnt_hi_u32_b32 v3, -1, v3
	s_waitcnt lgkmcnt(0)
	s_add_u32 s0, s40, s33
	s_addc_u32 s1, s41, 0
	global_load_ubyte v22, v0, s[0:1]
	global_load_ubyte v23, v0, s[0:1] offset:512
	global_load_ubyte v4, v0, s[0:1] offset:1024
	;; [unrolled: 1-line block ×3, first 2 shown]
	s_lshr_b32 s39, s38, 16
	s_and_b32 s38, s38, 0xffff
	v_mad_u32_u24 v1, v2, s39, v1
	v_mad_u64_u32 v[1:2], s[38:39], v1, s38, v[0:1]
	v_lshrrev_b32_e32 v9, 4, v0
	v_lshrrev_b32_e32 v10, 2, v3
	v_and_b32_e32 v17, 64, v3
	v_and_b32_e32 v16, 15, v3
	v_subrev_co_u32_e64 v19, s[10:11], 1, v3
	v_and_b32_e32 v13, 28, v9
	v_and_b32_e32 v9, 7, v3
	v_cmp_eq_u32_e64 s[18:19], 0, v16
	v_cmp_lt_u32_e64 s[20:21], 1, v16
	v_cmp_lt_u32_e64 s[22:23], 3, v16
	;; [unrolled: 1-line block ×3, first 2 shown]
	v_or_b32_e32 v16, v10, v17
	v_add_u32_e32 v10, 48, v10
	v_cmp_lt_i32_e64 s[28:29], v19, v17
	v_and_b32_e32 v15, 3, v3
	v_and_b32_e32 v18, 16, v3
	v_cmp_lt_u32_e64 s[8:9], 31, v3
	v_cndmask_b32_e64 v3, v19, v3, s[28:29]
	v_cmp_eq_u32_e64 s[28:29], 0, v9
	v_cmp_lt_u32_e64 s[30:31], 1, v9
	v_cmp_lt_u32_e64 s[34:35], 3, v9
	v_and_or_b32 v9, v10, 63, v17
	v_lshrrev_b32_e32 v1, 4, v1
	s_mov_b32 s12, 0
	v_lshlrev_b32_e32 v17, 2, v3
	v_lshlrev_b32_e32 v20, 2, v9
	v_and_b32_e32 v21, 0xffffffc, v1
	s_movk_i32 s52, 0x100
	v_lshlrev_b32_e32 v12, 4, v0
	v_or_b32_e32 v7, 63, v0
	v_mul_i32_i24_e32 v8, -12, v0
	s_mov_b32 s36, s12
	s_mov_b32 s13, s12
	;; [unrolled: 1-line block ×3, first 2 shown]
	v_cmp_eq_u32_e64 s[6:7], v0, v7
	v_add_u32_e32 v14, v12, v8
	v_mov_b32_e32 v7, s12
	v_lshlrev_b32_e32 v16, 2, v16
	v_mov_b32_e32 v5, 0
	s_movk_i32 s40, 0xff
	s_movk_i32 s41, 0x80
	s_mov_b32 s44, 0xffff
	s_mov_b32 s45, 10
	;; [unrolled: 1-line block ×7, first 2 shown]
	s_movk_i32 s51, 0xff00
	v_mov_b32_e32 v11, 5
	v_cmp_gt_u32_e64 s[0:1], 8, v0
	v_cmp_lt_u32_e64 s[2:3], 63, v0
	v_cmp_eq_u32_e64 s[4:5], 0, v0
	v_mov_b32_e32 v8, s13
	v_cmp_eq_u32_e64 s[12:13], 3, v15
	v_cmp_eq_u32_e64 s[14:15], 2, v15
	;; [unrolled: 1-line block ×3, first 2 shown]
	v_cmp_eq_u32_e32 vcc, 0, v15
	v_cmp_eq_u32_e64 s[26:27], 0, v18
	v_add_u32_e32 v15, -4, v13
	v_add_u32_e32 v18, 64, v16
	v_or_b32_e32 v19, 0x80, v16
	s_waitcnt vmcnt(3)
	v_add_u16_e32 v1, 1, v22
	s_waitcnt vmcnt(2)
	v_lshlrev_b16_e32 v2, 8, v23
	s_waitcnt vmcnt(1)
	v_add_u16_e32 v3, 1, v4
	s_waitcnt vmcnt(0)
	v_lshlrev_b16_e32 v9, 8, v6
	v_or_b32_sdwa v1, v2, v1 dst_sel:DWORD dst_unused:UNUSED_PAD src0_sel:DWORD src1_sel:BYTE_0
	v_or_b32_sdwa v2, v9, v3 dst_sel:DWORD dst_unused:UNUSED_PAD src0_sel:DWORD src1_sel:BYTE_0
	v_add_u16_e32 v1, 0x100, v1
	v_add_u16_sdwa v2, v2, s52 dst_sel:WORD_1 dst_unused:UNUSED_PAD src0_sel:DWORD src1_sel:DWORD
	v_mov_b32_e32 v9, s36
	v_or_b32_e32 v3, v1, v2
	v_mov_b32_e32 v10, s37
	s_branch .LBB93_2
.LBB93_1:                               ;   in Loop: Header=BB93_2 Depth=1
	s_or_b64 exec, exec, s[36:37]
	v_cndmask_b32_sdwa v39, v5, v39, vcc dst_sel:DWORD dst_unused:UNUSED_PAD src0_sel:DWORD src1_sel:BYTE_0
	v_and_b32_e32 v41, 0xff, v41
	v_cndmask_b32_e64 v39, v39, v41, s[16:17]
	v_and_b32_e32 v41, 0xff, v42
	v_cndmask_b32_e64 v39, v39, v41, s[14:15]
	v_perm_b32 v41, v43, v39, s46
	v_cndmask_b32_e64 v39, v39, v41, s[12:13]
	v_perm_b32 v36, v39, v36, s49
	v_cndmask_b32_e32 v36, v39, v36, vcc
	v_perm_b32 v37, v36, v37, s49
	v_cndmask_b32_e64 v36, v36, v37, s[16:17]
	v_perm_b32 v37, v36, v38, s49
	v_cndmask_b32_e64 v36, v36, v37, s[14:15]
	;; [unrolled: 2-line block ×3, first 2 shown]
	v_perm_b32 v32, v32, v36, s48
	v_lshlrev_b32_e32 v32, 16, v32
	v_and_or_b32 v32, v36, s44, v32
	v_cndmask_b32_e32 v32, v36, v32, vcc
	v_perm_b32 v33, v33, v32, s48
	v_lshlrev_b32_e32 v33, 16, v33
	v_and_or_b32 v33, v32, s44, v33
	v_cndmask_b32_e64 v32, v32, v33, s[16:17]
	v_perm_b32 v33, v34, v32, s48
	v_lshlrev_b32_e32 v33, 16, v33
	v_and_or_b32 v33, v32, s44, v33
	v_cndmask_b32_e64 v32, v32, v33, s[14:15]
	;; [unrolled: 4-line block ×3, first 2 shown]
	v_perm_b32 v26, v32, v26, s50
	v_lshlrev_b32_e32 v26, 16, v26
	v_and_or_b32 v26, v32, s44, v26
	v_cndmask_b32_e32 v26, v32, v26, vcc
	v_perm_b32 v27, v26, v27, s50
	v_lshlrev_b32_e32 v27, 16, v27
	v_and_or_b32 v27, v26, s44, v27
	v_cndmask_b32_e64 v26, v26, v27, s[16:17]
	v_perm_b32 v27, v26, v28, s50
	s_waitcnt lgkmcnt(0)
	v_add_u32_e32 v4, v52, v4
	v_lshlrev_b32_e32 v27, 16, v27
	ds_bpermute_b32 v4, v17, v4
	v_and_or_b32 v27, v26, s44, v27
	v_cndmask_b32_e64 v26, v26, v27, s[14:15]
	v_perm_b32 v27, v26, v29, s50
	v_lshlrev_b32_e32 v27, 16, v27
	v_and_or_b32 v27, v26, s44, v27
	s_waitcnt lgkmcnt(0)
	v_cndmask_b32_e64 v4, v4, v52, s[10:11]
	v_cndmask_b32_e64 v28, v26, v27, s[12:13]
	;; [unrolled: 1-line block ×3, first 2 shown]
	v_add_u32_e32 v27, v26, v1
	v_add_u32_e32 v1, v27, v2
	;; [unrolled: 1-line block ×3, first 2 shown]
	ds_write2_b64 v12, v[26:27], v[1:2] offset0:4 offset1:5
	s_waitcnt lgkmcnt(0)
	s_barrier
	ds_read_b32 v1, v24 offset:32
	ds_read_b32 v2, v31 offset:32
	;; [unrolled: 1-line block ×4, first 2 shown]
	s_waitcnt lgkmcnt(0)
	v_add_u32_e32 v1, v1, v23
	v_add3_u32 v2, v44, v30, v2
	v_add3_u32 v3, v48, v46, v3
	;; [unrolled: 1-line block ×3, first 2 shown]
	s_barrier
	ds_write_b8 v1, v22
	ds_write_b8 v2, v25
	;; [unrolled: 1-line block ×4, first 2 shown]
	s_waitcnt lgkmcnt(0)
	s_barrier
	ds_read_b32 v6, v14
	v_lshrrev_b32_e32 v29, 8, v28
	v_lshrrev_b32_e32 v32, 24, v28
	s_waitcnt lgkmcnt(0)
	s_barrier
	ds_write_b8 v1, v28
	ds_write_b8 v2, v29
	ds_write_b8_d16_hi v3, v28
	ds_write_b8 v4, v32
	v_and_b32_e32 v1, 0xffffff00, v6
	v_xor_b32_e32 v2, 0x80, v6
	v_or_b32_sdwa v1, v2, v1 dst_sel:DWORD dst_unused:UNUSED_PAD src0_sel:BYTE_0 src1_sel:DWORD
	v_add_u16_e32 v22, 0x8000, v1
	v_and_b32_sdwa v1, v6, s51 dst_sel:DWORD dst_unused:UNUSED_PAD src0_sel:WORD_1 src1_sel:DWORD
	v_xor_b32_sdwa v2, v6, s41 dst_sel:DWORD dst_unused:UNUSED_PAD src0_sel:WORD_1 src1_sel:DWORD
	s_waitcnt lgkmcnt(0)
	s_barrier
	ds_read_b32 v3, v14
	v_or_b32_sdwa v1, v2, v1 dst_sel:DWORD dst_unused:UNUSED_PAD src0_sel:BYTE_0 src1_sel:DWORD
	v_add_u16_e32 v4, 0x8000, v1
	v_lshlrev_b32_e32 v1, 16, v4
	v_or_b32_e32 v2, v22, v1
	s_add_i32 s45, s45, -1
	v_lshrrev_b32_e32 v23, 8, v2
	s_cmp_eq_u32 s45, 0
	v_lshrrev_b32_e32 v6, 24, v1
	s_cbranch_scc1 .LBB93_16
.LBB93_2:                               ; =>This Inner Loop Header: Depth=1
	v_xor_b32_e32 v1, 0x80, v22
	v_xor_b32_e32 v2, 0x80, v23
	v_and_b32_e32 v1, 0xff, v1
	ds_bpermute_b32 v22, v16, v1
	v_and_b32_e32 v2, 0xff, v2
	v_xor_b32_e32 v4, 0x80, v4
	ds_bpermute_b32 v23, v16, v2
	v_and_b32_e32 v4, 0xff, v4
	ds_bpermute_b32 v24, v16, v4
	v_xor_b32_e32 v6, 0x80, v6
	v_and_b32_e32 v6, 0xff, v6
	s_waitcnt lgkmcnt(2)
	v_and_b32_e32 v22, 0xff, v22
	ds_bpermute_b32 v25, v16, v6
	v_cndmask_b32_e32 v22, 0, v22, vcc
	s_waitcnt lgkmcnt(2)
	v_and_b32_e32 v23, 0xff, v23
	v_cndmask_b32_e64 v22, v22, v23, s[16:17]
	s_waitcnt lgkmcnt(1)
	v_and_b32_e32 v23, 0xff, v24
	ds_bpermute_b32 v24, v18, v1
	v_cndmask_b32_e64 v22, v22, v23, s[14:15]
	s_waitcnt lgkmcnt(1)
	v_perm_b32 v23, v25, v22, s46
	v_cndmask_b32_e64 v22, v22, v23, s[12:13]
	ds_bpermute_b32 v23, v18, v2
	s_waitcnt lgkmcnt(1)
	v_lshlrev_b16_e32 v24, 8, v24
	v_or_b32_sdwa v24, v22, v24 dst_sel:DWORD dst_unused:UNUSED_PAD src0_sel:BYTE_0 src1_sel:DWORD
	v_and_b32_e32 v24, 0xffff, v24
	v_cndmask_b32_e32 v22, v22, v24, vcc
	ds_bpermute_b32 v24, v18, v4
	s_waitcnt lgkmcnt(1)
	v_lshlrev_b16_e32 v23, 8, v23
	v_or_b32_sdwa v23, v22, v23 dst_sel:DWORD dst_unused:UNUSED_PAD src0_sel:BYTE_0 src1_sel:DWORD
	v_and_b32_e32 v23, 0xffff, v23
	v_and_or_b32 v23, v22, s47, v23
	v_cndmask_b32_e64 v22, v22, v23, s[16:17]
	s_waitcnt lgkmcnt(0)
	v_lshlrev_b16_e32 v23, 8, v24
	ds_bpermute_b32 v24, v18, v6
	v_or_b32_sdwa v23, v22, v23 dst_sel:DWORD dst_unused:UNUSED_PAD src0_sel:BYTE_0 src1_sel:DWORD
	v_and_b32_e32 v23, 0xffff, v23
	v_and_or_b32 v23, v22, s47, v23
	v_cndmask_b32_e64 v22, v22, v23, s[14:15]
	s_waitcnt lgkmcnt(0)
	v_lshlrev_b16_e32 v23, 8, v24
	ds_bpermute_b32 v24, v19, v1
	v_or_b32_sdwa v23, v22, v23 dst_sel:DWORD dst_unused:UNUSED_PAD src0_sel:BYTE_0 src1_sel:DWORD
	v_and_b32_e32 v23, 0xffff, v23
	v_and_or_b32 v23, v22, s47, v23
	v_cndmask_b32_e64 v22, v22, v23, s[12:13]
	ds_bpermute_b32 v23, v19, v2
	s_waitcnt lgkmcnt(1)
	v_perm_b32 v24, v24, v22, s48
	v_lshlrev_b32_e32 v24, 16, v24
	v_and_or_b32 v24, v22, s44, v24
	v_cndmask_b32_e32 v22, v22, v24, vcc
	ds_bpermute_b32 v24, v19, v4
	s_waitcnt lgkmcnt(1)
	v_perm_b32 v23, v23, v22, s48
	v_lshlrev_b32_e32 v23, 16, v23
	v_and_or_b32 v23, v22, s44, v23
	v_cndmask_b32_e64 v22, v22, v23, s[16:17]
	ds_bpermute_b32 v23, v19, v6
	s_waitcnt lgkmcnt(1)
	v_perm_b32 v24, v24, v22, s48
	v_lshlrev_b32_e32 v24, 16, v24
	v_and_or_b32 v24, v22, s44, v24
	v_cndmask_b32_e64 v22, v22, v24, s[14:15]
	;; [unrolled: 6-line block ×3, first 2 shown]
	ds_bpermute_b32 v2, v20, v2
	v_and_b32_sdwa v23, v22, s40 dst_sel:DWORD dst_unused:UNUSED_PAD src0_sel:WORD_1 src1_sel:DWORD
	s_waitcnt lgkmcnt(1)
	v_lshlrev_b16_e32 v1, 8, v1
	v_or_b32_sdwa v1, v23, v1 dst_sel:WORD_1 dst_unused:UNUSED_PAD src0_sel:DWORD src1_sel:DWORD
	v_and_or_b32 v1, v22, s44, v1
	v_cndmask_b32_e32 v1, v22, v1, vcc
	ds_bpermute_b32 v4, v20, v4
	v_and_b32_sdwa v22, v1, s40 dst_sel:DWORD dst_unused:UNUSED_PAD src0_sel:WORD_1 src1_sel:DWORD
	s_waitcnt lgkmcnt(1)
	v_lshlrev_b16_e32 v2, 8, v2
	v_or_b32_sdwa v2, v22, v2 dst_sel:WORD_1 dst_unused:UNUSED_PAD src0_sel:DWORD src1_sel:DWORD
	v_and_or_b32 v2, v1, s44, v2
	v_cndmask_b32_e64 v1, v1, v2, s[16:17]
	ds_bpermute_b32 v6, v20, v6
	v_and_b32_sdwa v2, v1, s40 dst_sel:DWORD dst_unused:UNUSED_PAD src0_sel:WORD_1 src1_sel:DWORD
	s_waitcnt lgkmcnt(1)
	v_lshlrev_b16_e32 v4, 8, v4
	v_or_b32_sdwa v2, v2, v4 dst_sel:WORD_1 dst_unused:UNUSED_PAD src0_sel:DWORD src1_sel:DWORD
	v_and_or_b32 v2, v1, s44, v2
	v_cndmask_b32_e64 v1, v1, v2, s[14:15]
	v_and_b32_sdwa v2, v1, s40 dst_sel:DWORD dst_unused:UNUSED_PAD src0_sel:WORD_1 src1_sel:DWORD
	s_waitcnt lgkmcnt(0)
	v_lshlrev_b16_e32 v4, 8, v6
	v_or_b32_sdwa v2, v2, v4 dst_sel:WORD_1 dst_unused:UNUSED_PAD src0_sel:DWORD src1_sel:DWORD
	v_and_or_b32 v2, v1, s44, v2
	v_cndmask_b32_e64 v22, v1, v2, s[12:13]
	v_and_b32_e32 v1, 1, v22
	v_add_co_u32_e64 v2, s[36:37], -1, v1
	v_addc_co_u32_e64 v6, s[36:37], 0, -1, s[36:37]
	v_cmp_ne_u32_e64 s[36:37], 0, v1
	v_xor_b32_e32 v1, s37, v6
	v_lshlrev_b32_e32 v6, 30, v22
	v_xor_b32_e32 v2, s36, v2
	v_cmp_gt_i64_e64 s[36:37], 0, v[5:6]
	v_not_b32_e32 v6, v6
	v_ashrrev_i32_e32 v6, 31, v6
	v_and_b32_e32 v2, exec_lo, v2
	v_xor_b32_e32 v23, s37, v6
	v_xor_b32_e32 v6, s36, v6
	v_and_b32_e32 v2, v2, v6
	v_lshlrev_b32_e32 v6, 29, v22
	v_cmp_gt_i64_e64 s[36:37], 0, v[5:6]
	v_not_b32_e32 v6, v6
	v_and_b32_e32 v1, exec_hi, v1
	v_ashrrev_i32_e32 v6, 31, v6
	v_and_b32_e32 v1, v1, v23
	v_xor_b32_e32 v23, s37, v6
	v_xor_b32_e32 v6, s36, v6
	v_and_b32_e32 v2, v2, v6
	v_lshlrev_b32_e32 v6, 28, v22
	v_cmp_gt_i64_e64 s[36:37], 0, v[5:6]
	v_not_b32_e32 v6, v6
	v_ashrrev_i32_e32 v6, 31, v6
	v_and_b32_e32 v1, v1, v23
	v_xor_b32_e32 v23, s37, v6
	v_xor_b32_e32 v6, s36, v6
	v_and_b32_e32 v2, v2, v6
	v_lshlrev_b32_e32 v6, 27, v22
	v_cmp_gt_i64_e64 s[36:37], 0, v[5:6]
	v_not_b32_e32 v6, v6
	;; [unrolled: 8-line block ×4, first 2 shown]
	v_ashrrev_i32_e32 v6, 31, v6
	v_and_b32_e32 v1, v1, v23
	v_xor_b32_e32 v23, s37, v6
	v_xor_b32_e32 v6, s36, v6
	v_and_b32_e32 v1, v1, v23
	v_and_b32_e32 v23, v2, v6
	v_lshlrev_b32_e32 v6, 24, v22
	v_cmp_gt_i64_e64 s[36:37], 0, v[5:6]
	v_not_b32_e32 v2, v6
	v_ashrrev_i32_e32 v2, 31, v2
	v_xor_b32_e32 v6, s37, v2
	v_xor_b32_e32 v24, s36, v2
	v_and_b32_e32 v4, 0xff, v3
	v_and_b32_e32 v2, v1, v6
	;; [unrolled: 1-line block ×3, first 2 shown]
	v_bfe_u32 v6, v3, 8, 8
	v_bfe_u32 v23, v3, 16, 8
	v_lshrrev_b32_e32 v3, 24, v3
	ds_bpermute_b32 v39, v16, v4
	ds_bpermute_b32 v36, v18, v4
	;; [unrolled: 1-line block ×16, first 2 shown]
	v_mbcnt_lo_u32_b32 v3, v1, 0
	v_mbcnt_hi_u32_b32 v23, v2, v3
	v_cmp_ne_u64_e64 s[36:37], 0, v[1:2]
	v_cmp_eq_u32_e64 s[38:39], 0, v23
	v_lshlrev_b32_sdwa v3, v11, v22 dst_sel:DWORD dst_unused:UNUSED_PAD src0_sel:DWORD src1_sel:BYTE_0
	s_and_b64 s[38:39], s[36:37], s[38:39]
	v_add_u32_e32 v24, v21, v3
	s_waitcnt lgkmcnt(0)
	s_barrier
	ds_write2_b64 v12, v[7:8], v[9:10] offset0:4 offset1:5
	s_waitcnt lgkmcnt(0)
	s_barrier
	; wave barrier
	s_and_saveexec_b64 s[36:37], s[38:39]
; %bb.3:                                ;   in Loop: Header=BB93_2 Depth=1
	v_bcnt_u32_b32 v1, v1, 0
	v_bcnt_u32_b32 v1, v2, v1
	ds_write_b32 v24, v1 offset:32
; %bb.4:                                ;   in Loop: Header=BB93_2 Depth=1
	s_or_b64 exec, exec, s[36:37]
	v_lshlrev_b32_sdwa v1, v11, v22 dst_sel:DWORD dst_unused:UNUSED_PAD src0_sel:DWORD src1_sel:BYTE_1
	v_add_u32_e32 v31, v21, v1
	v_bfe_u32 v1, v22, 8, 1
	v_add_co_u32_e64 v2, s[36:37], -1, v1
	v_lshrrev_b32_e32 v25, 8, v22
	v_addc_co_u32_e64 v3, s[36:37], 0, -1, s[36:37]
	v_cmp_ne_u32_e64 s[36:37], 0, v1
	v_lshlrev_b32_e32 v6, 30, v25
	v_xor_b32_e32 v1, s37, v3
	v_xor_b32_e32 v2, s36, v2
	v_cmp_gt_i64_e64 s[36:37], 0, v[5:6]
	v_not_b32_e32 v3, v6
	v_ashrrev_i32_e32 v3, 31, v3
	v_and_b32_e32 v2, exec_lo, v2
	v_xor_b32_e32 v4, s37, v3
	v_xor_b32_e32 v3, s36, v3
	v_lshlrev_b32_e32 v6, 29, v25
	v_and_b32_e32 v2, v2, v3
	v_cmp_gt_i64_e64 s[36:37], 0, v[5:6]
	v_not_b32_e32 v3, v6
	v_and_b32_e32 v1, exec_hi, v1
	v_ashrrev_i32_e32 v3, 31, v3
	v_and_b32_e32 v1, v1, v4
	v_xor_b32_e32 v4, s37, v3
	v_xor_b32_e32 v3, s36, v3
	v_lshlrev_b32_e32 v6, 28, v25
	v_and_b32_e32 v2, v2, v3
	v_cmp_gt_i64_e64 s[36:37], 0, v[5:6]
	v_not_b32_e32 v3, v6
	v_ashrrev_i32_e32 v3, 31, v3
	v_and_b32_e32 v1, v1, v4
	v_xor_b32_e32 v4, s37, v3
	v_xor_b32_e32 v3, s36, v3
	v_lshlrev_b32_e32 v6, 27, v25
	v_and_b32_e32 v2, v2, v3
	v_cmp_gt_i64_e64 s[36:37], 0, v[5:6]
	v_not_b32_e32 v3, v6
	;; [unrolled: 8-line block ×5, first 2 shown]
	v_ashrrev_i32_e32 v2, 31, v2
	v_and_b32_e32 v1, v1, v4
	v_xor_b32_e32 v4, s37, v2
	v_xor_b32_e32 v6, s36, v2
	; wave barrier
	ds_read_b32 v30, v31 offset:32
	v_and_b32_e32 v2, v1, v4
	v_and_b32_e32 v1, v3, v6
	v_mbcnt_lo_u32_b32 v3, v1, 0
	v_mbcnt_hi_u32_b32 v44, v2, v3
	v_cmp_ne_u64_e64 s[36:37], 0, v[1:2]
	v_cmp_eq_u32_e64 s[38:39], 0, v44
	s_and_b64 s[38:39], s[36:37], s[38:39]
	; wave barrier
	s_and_saveexec_b64 s[36:37], s[38:39]
	s_cbranch_execz .LBB93_6
; %bb.5:                                ;   in Loop: Header=BB93_2 Depth=1
	v_bcnt_u32_b32 v1, v1, 0
	v_bcnt_u32_b32 v1, v2, v1
	s_waitcnt lgkmcnt(0)
	v_add_u32_e32 v1, v30, v1
	ds_write_b32 v31, v1 offset:32
.LBB93_6:                               ;   in Loop: Header=BB93_2 Depth=1
	s_or_b64 exec, exec, s[36:37]
	v_lshlrev_b32_sdwa v1, v11, v22 dst_sel:DWORD dst_unused:UNUSED_PAD src0_sel:DWORD src1_sel:BYTE_2
	v_add_u32_e32 v47, v21, v1
	v_bfe_u32 v1, v22, 16, 1
	v_add_co_u32_e64 v2, s[36:37], -1, v1
	v_lshrrev_b32_e32 v45, 16, v22
	v_addc_co_u32_e64 v3, s[36:37], 0, -1, s[36:37]
	v_cmp_ne_u32_e64 s[36:37], 0, v1
	v_lshlrev_b32_e32 v6, 30, v45
	v_xor_b32_e32 v1, s37, v3
	v_xor_b32_e32 v2, s36, v2
	v_cmp_gt_i64_e64 s[36:37], 0, v[5:6]
	v_not_b32_e32 v3, v6
	v_ashrrev_i32_e32 v3, 31, v3
	v_and_b32_e32 v2, exec_lo, v2
	v_xor_b32_e32 v4, s37, v3
	v_xor_b32_e32 v3, s36, v3
	v_lshlrev_b32_e32 v6, 29, v45
	v_and_b32_e32 v2, v2, v3
	v_cmp_gt_i64_e64 s[36:37], 0, v[5:6]
	v_not_b32_e32 v3, v6
	v_and_b32_e32 v1, exec_hi, v1
	v_ashrrev_i32_e32 v3, 31, v3
	v_and_b32_e32 v1, v1, v4
	v_xor_b32_e32 v4, s37, v3
	v_xor_b32_e32 v3, s36, v3
	v_lshlrev_b32_e32 v6, 28, v45
	v_and_b32_e32 v2, v2, v3
	v_cmp_gt_i64_e64 s[36:37], 0, v[5:6]
	v_not_b32_e32 v3, v6
	v_ashrrev_i32_e32 v3, 31, v3
	v_and_b32_e32 v1, v1, v4
	v_xor_b32_e32 v4, s37, v3
	v_xor_b32_e32 v3, s36, v3
	v_lshlrev_b32_e32 v6, 27, v45
	v_and_b32_e32 v2, v2, v3
	v_cmp_gt_i64_e64 s[36:37], 0, v[5:6]
	v_not_b32_e32 v3, v6
	v_ashrrev_i32_e32 v3, 31, v3
	v_and_b32_e32 v1, v1, v4
	v_xor_b32_e32 v4, s37, v3
	v_xor_b32_e32 v3, s36, v3
	v_lshlrev_b32_e32 v6, 26, v45
	v_and_b32_e32 v2, v2, v3
	v_cmp_gt_i64_e64 s[36:37], 0, v[5:6]
	v_not_b32_e32 v3, v6
	v_ashrrev_i32_e32 v3, 31, v3
	v_and_b32_e32 v1, v1, v4
	v_xor_b32_e32 v4, s37, v3
	v_xor_b32_e32 v3, s36, v3
	v_lshlrev_b32_e32 v6, 25, v45
	v_and_b32_e32 v2, v2, v3
	v_cmp_gt_i64_e64 s[36:37], 0, v[5:6]
	v_not_b32_e32 v3, v6
	v_ashrrev_i32_e32 v3, 31, v3
	v_and_b32_e32 v1, v1, v4
	v_xor_b32_e32 v4, s37, v3
	v_xor_b32_e32 v3, s36, v3
	v_lshlrev_b32_e32 v6, 24, v45
	v_and_b32_e32 v3, v2, v3
	v_cmp_gt_i64_e64 s[36:37], 0, v[5:6]
	v_not_b32_e32 v2, v6
	v_ashrrev_i32_e32 v2, 31, v2
	v_and_b32_e32 v1, v1, v4
	v_xor_b32_e32 v4, s37, v2
	v_xor_b32_e32 v6, s36, v2
	; wave barrier
	ds_read_b32 v46, v47 offset:32
	v_and_b32_e32 v2, v1, v4
	v_and_b32_e32 v1, v3, v6
	v_mbcnt_lo_u32_b32 v3, v1, 0
	v_mbcnt_hi_u32_b32 v48, v2, v3
	v_cmp_ne_u64_e64 s[36:37], 0, v[1:2]
	v_cmp_eq_u32_e64 s[38:39], 0, v48
	s_and_b64 s[38:39], s[36:37], s[38:39]
	; wave barrier
	s_and_saveexec_b64 s[36:37], s[38:39]
	s_cbranch_execz .LBB93_8
; %bb.7:                                ;   in Loop: Header=BB93_2 Depth=1
	v_bcnt_u32_b32 v1, v1, 0
	v_bcnt_u32_b32 v1, v2, v1
	s_waitcnt lgkmcnt(0)
	v_add_u32_e32 v1, v46, v1
	ds_write_b32 v47, v1 offset:32
.LBB93_8:                               ;   in Loop: Header=BB93_2 Depth=1
	s_or_b64 exec, exec, s[36:37]
	v_lshrrev_b32_e32 v49, 24, v22
	v_lshlrev_b32_e32 v1, 5, v49
	v_add_u32_e32 v51, v21, v1
	v_bfe_u32 v1, v22, 24, 1
	v_add_co_u32_e64 v2, s[36:37], -1, v1
	v_addc_co_u32_e64 v3, s[36:37], 0, -1, s[36:37]
	v_cmp_ne_u32_e64 s[36:37], 0, v1
	v_lshlrev_b32_e32 v6, 30, v49
	v_xor_b32_e32 v1, s37, v3
	v_xor_b32_e32 v2, s36, v2
	v_cmp_gt_i64_e64 s[36:37], 0, v[5:6]
	v_not_b32_e32 v3, v6
	v_ashrrev_i32_e32 v3, 31, v3
	v_and_b32_e32 v2, exec_lo, v2
	v_xor_b32_e32 v4, s37, v3
	v_xor_b32_e32 v3, s36, v3
	v_lshlrev_b32_e32 v6, 29, v49
	v_and_b32_e32 v2, v2, v3
	v_cmp_gt_i64_e64 s[36:37], 0, v[5:6]
	v_not_b32_e32 v3, v6
	v_and_b32_e32 v1, exec_hi, v1
	v_ashrrev_i32_e32 v3, 31, v3
	v_and_b32_e32 v1, v1, v4
	v_xor_b32_e32 v4, s37, v3
	v_xor_b32_e32 v3, s36, v3
	v_lshlrev_b32_e32 v6, 28, v49
	v_and_b32_e32 v2, v2, v3
	v_cmp_gt_i64_e64 s[36:37], 0, v[5:6]
	v_not_b32_e32 v3, v6
	v_ashrrev_i32_e32 v3, 31, v3
	v_and_b32_e32 v1, v1, v4
	v_xor_b32_e32 v4, s37, v3
	v_xor_b32_e32 v3, s36, v3
	v_lshlrev_b32_e32 v6, 27, v49
	v_and_b32_e32 v2, v2, v3
	v_cmp_gt_i64_e64 s[36:37], 0, v[5:6]
	v_not_b32_e32 v3, v6
	;; [unrolled: 8-line block ×4, first 2 shown]
	v_ashrrev_i32_e32 v3, 31, v3
	v_and_b32_e32 v1, v1, v4
	v_xor_b32_e32 v4, s37, v3
	v_xor_b32_e32 v3, s36, v3
	v_and_b32_e32 v6, 0xff000000, v22
	v_and_b32_e32 v3, v2, v3
	v_cmp_gt_i64_e64 s[36:37], 0, v[5:6]
	v_not_b32_e32 v2, v6
	v_ashrrev_i32_e32 v2, 31, v2
	v_and_b32_e32 v1, v1, v4
	v_xor_b32_e32 v4, s37, v2
	v_xor_b32_e32 v6, s36, v2
	; wave barrier
	ds_read_b32 v50, v51 offset:32
	v_and_b32_e32 v2, v1, v4
	v_and_b32_e32 v1, v3, v6
	v_mbcnt_lo_u32_b32 v3, v1, 0
	v_mbcnt_hi_u32_b32 v6, v2, v3
	v_cmp_ne_u64_e64 s[36:37], 0, v[1:2]
	v_cmp_eq_u32_e64 s[38:39], 0, v6
	s_and_b64 s[38:39], s[36:37], s[38:39]
	; wave barrier
	s_and_saveexec_b64 s[36:37], s[38:39]
	s_cbranch_execz .LBB93_10
; %bb.9:                                ;   in Loop: Header=BB93_2 Depth=1
	v_bcnt_u32_b32 v1, v1, 0
	v_bcnt_u32_b32 v1, v2, v1
	s_waitcnt lgkmcnt(0)
	v_add_u32_e32 v1, v50, v1
	ds_write_b32 v51, v1 offset:32
.LBB93_10:                              ;   in Loop: Header=BB93_2 Depth=1
	s_or_b64 exec, exec, s[36:37]
	; wave barrier
	s_waitcnt lgkmcnt(0)
	s_barrier
	ds_read2_b64 v[1:4], v12 offset0:4 offset1:5
	s_waitcnt lgkmcnt(0)
	v_add_u32_e32 v52, v2, v1
	v_add3_u32 v4, v52, v3, v4
	s_nop 1
	v_mov_b32_dpp v52, v4 row_shr:1 row_mask:0xf bank_mask:0xf
	v_cndmask_b32_e64 v52, v52, 0, s[18:19]
	v_add_u32_e32 v4, v52, v4
	s_nop 1
	v_mov_b32_dpp v52, v4 row_shr:2 row_mask:0xf bank_mask:0xf
	v_cndmask_b32_e64 v52, 0, v52, s[20:21]
	v_add_u32_e32 v4, v4, v52
	;; [unrolled: 4-line block ×4, first 2 shown]
	s_nop 1
	v_mov_b32_dpp v52, v4 row_bcast:15 row_mask:0xf bank_mask:0xf
	v_cndmask_b32_e64 v52, v52, 0, s[26:27]
	v_add_u32_e32 v4, v4, v52
	s_nop 1
	v_mov_b32_dpp v52, v4 row_bcast:31 row_mask:0xf bank_mask:0xf
	v_cndmask_b32_e64 v52, 0, v52, s[8:9]
	v_add_u32_e32 v4, v4, v52
	s_and_saveexec_b64 s[36:37], s[6:7]
; %bb.11:                               ;   in Loop: Header=BB93_2 Depth=1
	ds_write_b32 v13, v4
; %bb.12:                               ;   in Loop: Header=BB93_2 Depth=1
	s_or_b64 exec, exec, s[36:37]
	s_waitcnt lgkmcnt(0)
	s_barrier
	s_and_saveexec_b64 s[36:37], s[0:1]
	s_cbranch_execz .LBB93_14
; %bb.13:                               ;   in Loop: Header=BB93_2 Depth=1
	ds_read_b32 v52, v14
	s_waitcnt lgkmcnt(0)
	s_nop 0
	v_mov_b32_dpp v53, v52 row_shr:1 row_mask:0xf bank_mask:0xf
	v_cndmask_b32_e64 v53, v53, 0, s[28:29]
	v_add_u32_e32 v52, v53, v52
	s_nop 1
	v_mov_b32_dpp v53, v52 row_shr:2 row_mask:0xf bank_mask:0xf
	v_cndmask_b32_e64 v53, 0, v53, s[30:31]
	v_add_u32_e32 v52, v52, v53
	;; [unrolled: 4-line block ×3, first 2 shown]
	ds_write_b32 v14, v52
.LBB93_14:                              ;   in Loop: Header=BB93_2 Depth=1
	s_or_b64 exec, exec, s[36:37]
	v_mov_b32_e32 v52, 0
	s_waitcnt lgkmcnt(0)
	s_barrier
	s_and_saveexec_b64 s[36:37], s[2:3]
	s_cbranch_execz .LBB93_1
; %bb.15:                               ;   in Loop: Header=BB93_2 Depth=1
	ds_read_b32 v52, v15
	s_branch .LBB93_1
.LBB93_16:
	s_add_u32 s0, s42, s33
	s_waitcnt lgkmcnt(0)
	v_lshrrev_b32_e32 v1, 8, v3
	s_addc_u32 s1, s43, 0
	v_add_u16_e32 v5, v23, v1
	v_mov_b32_e32 v1, s1
	v_add_co_u32_e32 v0, vcc, s0, v0
	v_add_u16_e32 v2, v22, v3
	v_addc_co_u32_e32 v1, vcc, 0, v1, vcc
	v_add_u16_sdwa v4, v4, v3 dst_sel:DWORD dst_unused:UNUSED_PAD src0_sel:DWORD src1_sel:WORD_1
	v_add_u16_sdwa v3, v6, v3 dst_sel:DWORD dst_unused:UNUSED_PAD src0_sel:DWORD src1_sel:BYTE_3
	global_store_byte v[0:1], v2, off
	global_store_byte v[0:1], v5, off offset:512
	global_store_byte v[0:1], v4, off offset:1024
	;; [unrolled: 1-line block ×3, first 2 shown]
	s_endpgm
	.section	.rodata,"a",@progbits
	.p2align	6, 0x0
	.amdhsa_kernel _Z17sort_pairs_kernelI22helper_blocked_blockedaLj512ELj4ELj10EEvPKT0_PS1_
		.amdhsa_group_segment_fixed_size 8224
		.amdhsa_private_segment_fixed_size 0
		.amdhsa_kernarg_size 272
		.amdhsa_user_sgpr_count 6
		.amdhsa_user_sgpr_private_segment_buffer 1
		.amdhsa_user_sgpr_dispatch_ptr 0
		.amdhsa_user_sgpr_queue_ptr 0
		.amdhsa_user_sgpr_kernarg_segment_ptr 1
		.amdhsa_user_sgpr_dispatch_id 0
		.amdhsa_user_sgpr_flat_scratch_init 0
		.amdhsa_user_sgpr_private_segment_size 0
		.amdhsa_uses_dynamic_stack 0
		.amdhsa_system_sgpr_private_segment_wavefront_offset 0
		.amdhsa_system_sgpr_workgroup_id_x 1
		.amdhsa_system_sgpr_workgroup_id_y 0
		.amdhsa_system_sgpr_workgroup_id_z 0
		.amdhsa_system_sgpr_workgroup_info 0
		.amdhsa_system_vgpr_workitem_id 2
		.amdhsa_next_free_vgpr 54
		.amdhsa_next_free_sgpr 53
		.amdhsa_reserve_vcc 1
		.amdhsa_reserve_flat_scratch 0
		.amdhsa_float_round_mode_32 0
		.amdhsa_float_round_mode_16_64 0
		.amdhsa_float_denorm_mode_32 3
		.amdhsa_float_denorm_mode_16_64 3
		.amdhsa_dx10_clamp 1
		.amdhsa_ieee_mode 1
		.amdhsa_fp16_overflow 0
		.amdhsa_exception_fp_ieee_invalid_op 0
		.amdhsa_exception_fp_denorm_src 0
		.amdhsa_exception_fp_ieee_div_zero 0
		.amdhsa_exception_fp_ieee_overflow 0
		.amdhsa_exception_fp_ieee_underflow 0
		.amdhsa_exception_fp_ieee_inexact 0
		.amdhsa_exception_int_div_zero 0
	.end_amdhsa_kernel
	.section	.text._Z17sort_pairs_kernelI22helper_blocked_blockedaLj512ELj4ELj10EEvPKT0_PS1_,"axG",@progbits,_Z17sort_pairs_kernelI22helper_blocked_blockedaLj512ELj4ELj10EEvPKT0_PS1_,comdat
.Lfunc_end93:
	.size	_Z17sort_pairs_kernelI22helper_blocked_blockedaLj512ELj4ELj10EEvPKT0_PS1_, .Lfunc_end93-_Z17sort_pairs_kernelI22helper_blocked_blockedaLj512ELj4ELj10EEvPKT0_PS1_
                                        ; -- End function
	.set _Z17sort_pairs_kernelI22helper_blocked_blockedaLj512ELj4ELj10EEvPKT0_PS1_.num_vgpr, 54
	.set _Z17sort_pairs_kernelI22helper_blocked_blockedaLj512ELj4ELj10EEvPKT0_PS1_.num_agpr, 0
	.set _Z17sort_pairs_kernelI22helper_blocked_blockedaLj512ELj4ELj10EEvPKT0_PS1_.numbered_sgpr, 53
	.set _Z17sort_pairs_kernelI22helper_blocked_blockedaLj512ELj4ELj10EEvPKT0_PS1_.num_named_barrier, 0
	.set _Z17sort_pairs_kernelI22helper_blocked_blockedaLj512ELj4ELj10EEvPKT0_PS1_.private_seg_size, 0
	.set _Z17sort_pairs_kernelI22helper_blocked_blockedaLj512ELj4ELj10EEvPKT0_PS1_.uses_vcc, 1
	.set _Z17sort_pairs_kernelI22helper_blocked_blockedaLj512ELj4ELj10EEvPKT0_PS1_.uses_flat_scratch, 0
	.set _Z17sort_pairs_kernelI22helper_blocked_blockedaLj512ELj4ELj10EEvPKT0_PS1_.has_dyn_sized_stack, 0
	.set _Z17sort_pairs_kernelI22helper_blocked_blockedaLj512ELj4ELj10EEvPKT0_PS1_.has_recursion, 0
	.set _Z17sort_pairs_kernelI22helper_blocked_blockedaLj512ELj4ELj10EEvPKT0_PS1_.has_indirect_call, 0
	.section	.AMDGPU.csdata,"",@progbits
; Kernel info:
; codeLenInByte = 4108
; TotalNumSgprs: 57
; NumVgprs: 54
; ScratchSize: 0
; MemoryBound: 0
; FloatMode: 240
; IeeeMode: 1
; LDSByteSize: 8224 bytes/workgroup (compile time only)
; SGPRBlocks: 7
; VGPRBlocks: 13
; NumSGPRsForWavesPerEU: 57
; NumVGPRsForWavesPerEU: 54
; Occupancy: 4
; WaveLimiterHint : 1
; COMPUTE_PGM_RSRC2:SCRATCH_EN: 0
; COMPUTE_PGM_RSRC2:USER_SGPR: 6
; COMPUTE_PGM_RSRC2:TRAP_HANDLER: 0
; COMPUTE_PGM_RSRC2:TGID_X_EN: 1
; COMPUTE_PGM_RSRC2:TGID_Y_EN: 0
; COMPUTE_PGM_RSRC2:TGID_Z_EN: 0
; COMPUTE_PGM_RSRC2:TIDIG_COMP_CNT: 2
	.section	.text._Z16sort_keys_kernelI22helper_blocked_blockedaLj512ELj8ELj10EEvPKT0_PS1_,"axG",@progbits,_Z16sort_keys_kernelI22helper_blocked_blockedaLj512ELj8ELj10EEvPKT0_PS1_,comdat
	.protected	_Z16sort_keys_kernelI22helper_blocked_blockedaLj512ELj8ELj10EEvPKT0_PS1_ ; -- Begin function _Z16sort_keys_kernelI22helper_blocked_blockedaLj512ELj8ELj10EEvPKT0_PS1_
	.globl	_Z16sort_keys_kernelI22helper_blocked_blockedaLj512ELj8ELj10EEvPKT0_PS1_
	.p2align	8
	.type	_Z16sort_keys_kernelI22helper_blocked_blockedaLj512ELj8ELj10EEvPKT0_PS1_,@function
_Z16sort_keys_kernelI22helper_blocked_blockedaLj512ELj8ELj10EEvPKT0_PS1_: ; @_Z16sort_keys_kernelI22helper_blocked_blockedaLj512ELj8ELj10EEvPKT0_PS1_
; %bb.0:
	s_load_dwordx4 s[28:31], s[4:5], 0x0
	s_load_dword s38, s[4:5], 0x1c
	s_lshl_b32 s33, s6, 12
	v_mbcnt_lo_u32_b32 v7, -1, 0
	v_mbcnt_hi_u32_b32 v15, -1, v7
	s_waitcnt lgkmcnt(0)
	s_add_u32 s0, s28, s33
	s_addc_u32 s1, s29, 0
	global_load_ubyte v3, v0, s[0:1] offset:512
	global_load_ubyte v4, v0, s[0:1] offset:1024
	global_load_ubyte v6, v0, s[0:1] offset:3584
	global_load_ubyte v20, v0, s[0:1] offset:2560
	global_load_ubyte v21, v0, s[0:1] offset:1536
	global_load_ubyte v22, v0, s[0:1]
	global_load_ubyte v23, v0, s[0:1] offset:2048
	global_load_ubyte v24, v0, s[0:1] offset:3072
	v_and_b32_e32 v8, 0x1c0, v0
	v_subrev_co_u32_e64 v19, s[4:5], 1, v15
	v_and_b32_e32 v25, 64, v15
	v_or_b32_e32 v18, 63, v8
	v_cmp_lt_i32_e64 s[26:27], v19, v25
	v_cmp_eq_u32_e64 s[18:19], v0, v18
	v_cndmask_b32_e64 v18, v19, v15, s[26:27]
	s_lshr_b32 s26, s38, 16
	s_and_b32 s27, s38, 0xffff
	v_mad_u32_u24 v1, v2, s26, v1
	v_mad_u64_u32 v[1:2], s[26:27], v1, s27, v[0:1]
	s_mov_b32 s8, 0
	s_mov_b32 s28, 0xc0c0004
	v_lshlrev_b32_e32 v7, 3, v0
	v_lshlrev_b32_e32 v11, 4, v0
	v_lshrrev_b32_e32 v9, 4, v0
	v_lshlrev_b32_e32 v10, 2, v0
	s_mov_b32 s10, s8
	v_lshrrev_b32_e32 v1, 4, v1
	s_mov_b32 s9, s8
	s_mov_b32 s11, s8
	v_add_lshl_u32 v12, v15, v8, 3
	v_and_b32_e32 v16, 15, v15
	v_and_b32_e32 v17, 16, v15
	;; [unrolled: 1-line block ×4, first 2 shown]
	v_sub_u32_e32 v13, v11, v7
	v_and_b32_e32 v14, 28, v9
	v_sub_u32_e32 v28, 0, v10
	v_mov_b32_e32 v7, s8
	v_mov_b32_e32 v9, s10
	v_and_b32_e32 v19, 0xffffffc, v1
	v_mov_b32_e32 v5, 0
	s_mov_b32 s34, 10
	s_movk_i32 s35, 0xff00
	s_movk_i32 s36, 0x80
	;; [unrolled: 1-line block ×3, first 2 shown]
	v_cmp_gt_u32_e32 vcc, 8, v0
	v_cmp_lt_u32_e64 s[0:1], 63, v0
	v_cmp_eq_u32_e64 s[2:3], 0, v0
	v_cmp_lt_u32_e64 s[6:7], 31, v15
	v_mov_b32_e32 v8, s9
	v_mov_b32_e32 v10, s11
	v_cmp_eq_u32_e64 s[8:9], 0, v16
	v_cmp_lt_u32_e64 s[10:11], 1, v16
	v_cmp_lt_u32_e64 s[12:13], 3, v16
	;; [unrolled: 1-line block ×3, first 2 shown]
	v_cmp_eq_u32_e64 s[16:17], 0, v17
	v_cmp_eq_u32_e64 s[20:21], 0, v26
	v_cmp_lt_u32_e64 s[22:23], 1, v26
	v_cmp_lt_u32_e64 s[24:25], 3, v26
	v_add_u32_e32 v15, v15, v27
	v_add_u32_e32 v16, -4, v14
	v_add_u32_e32 v17, v13, v28
	v_lshlrev_b32_e32 v18, 2, v18
	s_waitcnt vmcnt(3)
	v_perm_b32 v2, v4, v21, s28
	s_waitcnt vmcnt(2)
	v_perm_b32 v1, v22, v3, s28
	;; [unrolled: 2-line block ×4, first 2 shown]
	v_lshl_or_b32 v2, v2, 16, v1
	v_lshl_or_b32 v1, v4, 16, v3
	v_mov_b32_e32 v20, 5
	s_branch .LBB94_2
.LBB94_1:                               ;   in Loop: Header=BB94_2 Depth=1
	s_or_b64 exec, exec, s[26:27]
	s_waitcnt lgkmcnt(0)
	v_add_u32_e32 v4, v51, v4
	ds_bpermute_b32 v4, v18, v4
	s_add_i32 s34, s34, -1
	s_cmp_eq_u32 s34, 0
	s_waitcnt lgkmcnt(0)
	v_cndmask_b32_e64 v4, v4, v51, s[4:5]
	v_cndmask_b32_e64 v51, v4, 0, s[2:3]
	v_add_u32_e32 v52, v51, v1
	v_add_u32_e32 v1, v52, v2
	v_add_u32_e32 v2, v1, v3
	ds_write2_b64 v11, v[51:52], v[1:2] offset0:4 offset1:5
	s_waitcnt lgkmcnt(0)
	s_barrier
	ds_read_b32 v1, v30 offset:32
	ds_read_b32 v2, v32 offset:32
	;; [unrolled: 1-line block ×8, first 2 shown]
	s_waitcnt lgkmcnt(7)
	v_add_u32_e32 v1, v1, v29
	s_waitcnt lgkmcnt(0)
	s_barrier
	ds_write_b8 v1, v28
	v_add3_u32 v1, v33, v31, v2
	ds_write_b8 v1, v27
	v_add3_u32 v1, v36, v34, v3
	ds_write_b8 v1, v26
	v_add3_u32 v1, v39, v37, v4
	ds_write_b8 v1, v25
	v_add3_u32 v1, v42, v40, v30
	ds_write_b8 v1, v24
	v_add3_u32 v1, v45, v43, v32
	ds_write_b8 v1, v23
	v_add3_u32 v1, v48, v46, v35
	ds_write_b8 v1, v22
	v_add3_u32 v1, v6, v49, v38
	ds_write_b8 v1, v21
	s_waitcnt lgkmcnt(0)
	s_barrier
	ds_read_b64 v[2:3], v13
	s_waitcnt lgkmcnt(0)
	v_and_b32_e32 v1, 0xffffff00, v2
	v_xor_b32_e32 v4, 0x80, v2
	v_or_b32_sdwa v1, v4, v1 dst_sel:DWORD dst_unused:UNUSED_PAD src0_sel:BYTE_0 src1_sel:DWORD
	v_and_b32_sdwa v4, v2, s35 dst_sel:DWORD dst_unused:UNUSED_PAD src0_sel:WORD_1 src1_sel:DWORD
	v_xor_b32_sdwa v2, v2, s36 dst_sel:DWORD dst_unused:UNUSED_PAD src0_sel:WORD_1 src1_sel:DWORD
	v_or_b32_sdwa v2, v2, v4 dst_sel:DWORD dst_unused:UNUSED_PAD src0_sel:BYTE_0 src1_sel:DWORD
	v_add_u16_e32 v1, 0x8000, v1
	v_add_u16_sdwa v2, v2, s37 dst_sel:WORD_1 dst_unused:UNUSED_PAD src0_sel:DWORD src1_sel:DWORD
	v_or_b32_e32 v2, v1, v2
	v_and_b32_e32 v1, 0xffffff00, v3
	v_xor_b32_e32 v4, 0x80, v3
	v_or_b32_sdwa v1, v4, v1 dst_sel:DWORD dst_unused:UNUSED_PAD src0_sel:BYTE_0 src1_sel:DWORD
	v_and_b32_sdwa v4, v3, s35 dst_sel:DWORD dst_unused:UNUSED_PAD src0_sel:WORD_1 src1_sel:DWORD
	v_xor_b32_sdwa v3, v3, s36 dst_sel:DWORD dst_unused:UNUSED_PAD src0_sel:WORD_1 src1_sel:DWORD
	v_or_b32_sdwa v3, v3, v4 dst_sel:DWORD dst_unused:UNUSED_PAD src0_sel:BYTE_0 src1_sel:DWORD
	v_add_u16_e32 v1, 0x8000, v1
	v_add_u16_sdwa v3, v3, s37 dst_sel:WORD_1 dst_unused:UNUSED_PAD src0_sel:DWORD src1_sel:DWORD
	v_or_b32_e32 v1, v1, v3
	s_cbranch_scc1 .LBB94_24
.LBB94_2:                               ; =>This Inner Loop Header: Depth=1
	v_and_b32_e32 v3, 0xffffff00, v2
	v_xor_b32_e32 v4, 0x80, v2
	v_or_b32_sdwa v3, v4, v3 dst_sel:DWORD dst_unused:UNUSED_PAD src0_sel:BYTE_0 src1_sel:DWORD
	v_and_b32_sdwa v4, v2, s35 dst_sel:DWORD dst_unused:UNUSED_PAD src0_sel:WORD_1 src1_sel:DWORD
	v_xor_b32_sdwa v2, v2, s36 dst_sel:DWORD dst_unused:UNUSED_PAD src0_sel:WORD_1 src1_sel:DWORD
	v_or_b32_sdwa v2, v2, v4 dst_sel:DWORD dst_unused:UNUSED_PAD src0_sel:BYTE_0 src1_sel:DWORD
	v_add_u16_e32 v3, 0x8000, v3
	v_add_u16_sdwa v2, v2, s37 dst_sel:WORD_1 dst_unused:UNUSED_PAD src0_sel:DWORD src1_sel:DWORD
	v_or_b32_e32 v2, v3, v2
	v_and_b32_e32 v3, 0xffffff00, v1
	v_xor_b32_e32 v4, 0x80, v1
	v_or_b32_sdwa v3, v4, v3 dst_sel:DWORD dst_unused:UNUSED_PAD src0_sel:BYTE_0 src1_sel:DWORD
	v_and_b32_sdwa v4, v1, s35 dst_sel:DWORD dst_unused:UNUSED_PAD src0_sel:WORD_1 src1_sel:DWORD
	v_xor_b32_sdwa v1, v1, s36 dst_sel:DWORD dst_unused:UNUSED_PAD src0_sel:WORD_1 src1_sel:DWORD
	v_or_b32_sdwa v1, v1, v4 dst_sel:DWORD dst_unused:UNUSED_PAD src0_sel:BYTE_0 src1_sel:DWORD
	v_add_u16_e32 v3, 0x8000, v3
	v_add_u16_sdwa v1, v1, s37 dst_sel:WORD_1 dst_unused:UNUSED_PAD src0_sel:DWORD src1_sel:DWORD
	v_or_b32_e32 v3, v3, v1
	ds_write_b64 v12, v[2:3]
	; wave barrier
	ds_read_u8 v28, v15
	ds_read_u8 v27, v15 offset:64
	ds_read_u8 v26, v15 offset:128
	;; [unrolled: 1-line block ×7, first 2 shown]
	s_waitcnt lgkmcnt(7)
	v_and_b32_e32 v1, 1, v28
	v_cmp_ne_u32_e64 s[26:27], 0, v1
	v_add_co_u32_e64 v1, s[28:29], -1, v1
	v_addc_co_u32_e64 v2, s[28:29], 0, -1, s[28:29]
	v_lshlrev_b32_e32 v6, 30, v28
	v_cmp_gt_i64_e64 s[28:29], 0, v[5:6]
	v_not_b32_e32 v3, v6
	v_ashrrev_i32_e32 v3, 31, v3
	v_xor_b32_e32 v1, s26, v1
	v_xor_b32_e32 v4, s29, v3
	v_and_b32_e32 v1, exec_lo, v1
	v_xor_b32_e32 v3, s28, v3
	v_lshlrev_b32_e32 v6, 29, v28
	v_xor_b32_e32 v2, s27, v2
	v_and_b32_e32 v1, v1, v3
	v_cmp_gt_i64_e64 s[26:27], 0, v[5:6]
	v_not_b32_e32 v3, v6
	v_and_b32_e32 v2, exec_hi, v2
	v_ashrrev_i32_e32 v3, 31, v3
	v_and_b32_e32 v2, v2, v4
	v_xor_b32_e32 v4, s27, v3
	v_xor_b32_e32 v3, s26, v3
	v_lshlrev_b32_e32 v6, 28, v28
	v_and_b32_e32 v1, v1, v3
	v_cmp_gt_i64_e64 s[26:27], 0, v[5:6]
	v_not_b32_e32 v3, v6
	v_ashrrev_i32_e32 v3, 31, v3
	v_and_b32_e32 v2, v2, v4
	v_xor_b32_e32 v4, s27, v3
	v_xor_b32_e32 v3, s26, v3
	v_lshlrev_b32_e32 v6, 27, v28
	v_and_b32_e32 v1, v1, v3
	v_cmp_gt_i64_e64 s[26:27], 0, v[5:6]
	v_not_b32_e32 v3, v6
	;; [unrolled: 8-line block ×5, first 2 shown]
	v_ashrrev_i32_e32 v3, 31, v3
	v_and_b32_e32 v2, v2, v4
	v_xor_b32_e32 v4, s27, v3
	v_xor_b32_e32 v3, s26, v3
	v_and_b32_e32 v1, v1, v3
	v_and_b32_e32 v2, v2, v4
	v_mbcnt_lo_u32_b32 v3, v1, 0
	v_mbcnt_hi_u32_b32 v29, v2, v3
	v_cmp_ne_u64_e64 s[26:27], 0, v[1:2]
	v_cmp_eq_u32_e64 s[28:29], 0, v29
	v_lshlrev_b32_sdwa v3, v20, v28 dst_sel:DWORD dst_unused:UNUSED_PAD src0_sel:DWORD src1_sel:BYTE_0
	s_and_b64 s[28:29], s[26:27], s[28:29]
	v_add_u32_e32 v30, v19, v3
	; wave barrier
	; wave barrier
	s_waitcnt lgkmcnt(0)
	s_barrier
	ds_write2_b64 v11, v[7:8], v[9:10] offset0:4 offset1:5
	s_waitcnt lgkmcnt(0)
	s_barrier
	; wave barrier
	s_and_saveexec_b64 s[26:27], s[28:29]
; %bb.3:                                ;   in Loop: Header=BB94_2 Depth=1
	v_bcnt_u32_b32 v1, v1, 0
	v_bcnt_u32_b32 v1, v2, v1
	ds_write_b32 v30, v1 offset:32
; %bb.4:                                ;   in Loop: Header=BB94_2 Depth=1
	s_or_b64 exec, exec, s[26:27]
	v_lshlrev_b32_sdwa v1, v20, v27 dst_sel:DWORD dst_unused:UNUSED_PAD src0_sel:DWORD src1_sel:BYTE_0
	v_add_u32_e32 v32, v19, v1
	v_and_b32_e32 v1, 1, v27
	v_add_co_u32_e64 v2, s[26:27], -1, v1
	v_addc_co_u32_e64 v3, s[26:27], 0, -1, s[26:27]
	v_cmp_ne_u32_e64 s[26:27], 0, v1
	v_lshlrev_b32_e32 v6, 30, v27
	v_xor_b32_e32 v1, s27, v3
	v_xor_b32_e32 v2, s26, v2
	v_cmp_gt_i64_e64 s[26:27], 0, v[5:6]
	v_not_b32_e32 v3, v6
	v_ashrrev_i32_e32 v3, 31, v3
	v_and_b32_e32 v2, exec_lo, v2
	v_xor_b32_e32 v4, s27, v3
	v_xor_b32_e32 v3, s26, v3
	v_lshlrev_b32_e32 v6, 29, v27
	v_and_b32_e32 v2, v2, v3
	v_cmp_gt_i64_e64 s[26:27], 0, v[5:6]
	v_not_b32_e32 v3, v6
	v_and_b32_e32 v1, exec_hi, v1
	v_ashrrev_i32_e32 v3, 31, v3
	v_and_b32_e32 v1, v1, v4
	v_xor_b32_e32 v4, s27, v3
	v_xor_b32_e32 v3, s26, v3
	v_lshlrev_b32_e32 v6, 28, v27
	v_and_b32_e32 v2, v2, v3
	v_cmp_gt_i64_e64 s[26:27], 0, v[5:6]
	v_not_b32_e32 v3, v6
	v_ashrrev_i32_e32 v3, 31, v3
	v_and_b32_e32 v1, v1, v4
	v_xor_b32_e32 v4, s27, v3
	v_xor_b32_e32 v3, s26, v3
	v_lshlrev_b32_e32 v6, 27, v27
	v_and_b32_e32 v2, v2, v3
	v_cmp_gt_i64_e64 s[26:27], 0, v[5:6]
	v_not_b32_e32 v3, v6
	;; [unrolled: 8-line block ×5, first 2 shown]
	v_ashrrev_i32_e32 v2, 31, v2
	v_and_b32_e32 v1, v1, v4
	v_xor_b32_e32 v4, s27, v2
	v_xor_b32_e32 v6, s26, v2
	; wave barrier
	ds_read_b32 v31, v32 offset:32
	v_and_b32_e32 v2, v1, v4
	v_and_b32_e32 v1, v3, v6
	v_mbcnt_lo_u32_b32 v3, v1, 0
	v_mbcnt_hi_u32_b32 v33, v2, v3
	v_cmp_ne_u64_e64 s[26:27], 0, v[1:2]
	v_cmp_eq_u32_e64 s[28:29], 0, v33
	s_and_b64 s[28:29], s[26:27], s[28:29]
	; wave barrier
	s_and_saveexec_b64 s[26:27], s[28:29]
	s_cbranch_execz .LBB94_6
; %bb.5:                                ;   in Loop: Header=BB94_2 Depth=1
	v_bcnt_u32_b32 v1, v1, 0
	v_bcnt_u32_b32 v1, v2, v1
	s_waitcnt lgkmcnt(0)
	v_add_u32_e32 v1, v31, v1
	ds_write_b32 v32, v1 offset:32
.LBB94_6:                               ;   in Loop: Header=BB94_2 Depth=1
	s_or_b64 exec, exec, s[26:27]
	v_lshlrev_b32_sdwa v1, v20, v26 dst_sel:DWORD dst_unused:UNUSED_PAD src0_sel:DWORD src1_sel:BYTE_0
	v_add_u32_e32 v35, v19, v1
	v_and_b32_e32 v1, 1, v26
	v_add_co_u32_e64 v2, s[26:27], -1, v1
	v_addc_co_u32_e64 v3, s[26:27], 0, -1, s[26:27]
	v_cmp_ne_u32_e64 s[26:27], 0, v1
	v_lshlrev_b32_e32 v6, 30, v26
	v_xor_b32_e32 v1, s27, v3
	v_xor_b32_e32 v2, s26, v2
	v_cmp_gt_i64_e64 s[26:27], 0, v[5:6]
	v_not_b32_e32 v3, v6
	v_ashrrev_i32_e32 v3, 31, v3
	v_and_b32_e32 v2, exec_lo, v2
	v_xor_b32_e32 v4, s27, v3
	v_xor_b32_e32 v3, s26, v3
	v_lshlrev_b32_e32 v6, 29, v26
	v_and_b32_e32 v2, v2, v3
	v_cmp_gt_i64_e64 s[26:27], 0, v[5:6]
	v_not_b32_e32 v3, v6
	v_and_b32_e32 v1, exec_hi, v1
	v_ashrrev_i32_e32 v3, 31, v3
	v_and_b32_e32 v1, v1, v4
	v_xor_b32_e32 v4, s27, v3
	v_xor_b32_e32 v3, s26, v3
	v_lshlrev_b32_e32 v6, 28, v26
	v_and_b32_e32 v2, v2, v3
	v_cmp_gt_i64_e64 s[26:27], 0, v[5:6]
	v_not_b32_e32 v3, v6
	v_ashrrev_i32_e32 v3, 31, v3
	v_and_b32_e32 v1, v1, v4
	v_xor_b32_e32 v4, s27, v3
	v_xor_b32_e32 v3, s26, v3
	v_lshlrev_b32_e32 v6, 27, v26
	v_and_b32_e32 v2, v2, v3
	v_cmp_gt_i64_e64 s[26:27], 0, v[5:6]
	v_not_b32_e32 v3, v6
	;; [unrolled: 8-line block ×5, first 2 shown]
	v_ashrrev_i32_e32 v2, 31, v2
	v_and_b32_e32 v1, v1, v4
	v_xor_b32_e32 v4, s27, v2
	v_xor_b32_e32 v6, s26, v2
	; wave barrier
	ds_read_b32 v34, v35 offset:32
	v_and_b32_e32 v2, v1, v4
	v_and_b32_e32 v1, v3, v6
	v_mbcnt_lo_u32_b32 v3, v1, 0
	v_mbcnt_hi_u32_b32 v36, v2, v3
	v_cmp_ne_u64_e64 s[26:27], 0, v[1:2]
	v_cmp_eq_u32_e64 s[28:29], 0, v36
	s_and_b64 s[28:29], s[26:27], s[28:29]
	; wave barrier
	s_and_saveexec_b64 s[26:27], s[28:29]
	s_cbranch_execz .LBB94_8
; %bb.7:                                ;   in Loop: Header=BB94_2 Depth=1
	v_bcnt_u32_b32 v1, v1, 0
	v_bcnt_u32_b32 v1, v2, v1
	s_waitcnt lgkmcnt(0)
	v_add_u32_e32 v1, v34, v1
	ds_write_b32 v35, v1 offset:32
.LBB94_8:                               ;   in Loop: Header=BB94_2 Depth=1
	s_or_b64 exec, exec, s[26:27]
	v_lshlrev_b32_sdwa v1, v20, v25 dst_sel:DWORD dst_unused:UNUSED_PAD src0_sel:DWORD src1_sel:BYTE_0
	v_add_u32_e32 v38, v19, v1
	v_and_b32_e32 v1, 1, v25
	v_add_co_u32_e64 v2, s[26:27], -1, v1
	v_addc_co_u32_e64 v3, s[26:27], 0, -1, s[26:27]
	v_cmp_ne_u32_e64 s[26:27], 0, v1
	v_lshlrev_b32_e32 v6, 30, v25
	v_xor_b32_e32 v1, s27, v3
	v_xor_b32_e32 v2, s26, v2
	v_cmp_gt_i64_e64 s[26:27], 0, v[5:6]
	v_not_b32_e32 v3, v6
	v_ashrrev_i32_e32 v3, 31, v3
	v_and_b32_e32 v2, exec_lo, v2
	v_xor_b32_e32 v4, s27, v3
	v_xor_b32_e32 v3, s26, v3
	v_lshlrev_b32_e32 v6, 29, v25
	v_and_b32_e32 v2, v2, v3
	v_cmp_gt_i64_e64 s[26:27], 0, v[5:6]
	v_not_b32_e32 v3, v6
	v_and_b32_e32 v1, exec_hi, v1
	v_ashrrev_i32_e32 v3, 31, v3
	v_and_b32_e32 v1, v1, v4
	v_xor_b32_e32 v4, s27, v3
	v_xor_b32_e32 v3, s26, v3
	v_lshlrev_b32_e32 v6, 28, v25
	v_and_b32_e32 v2, v2, v3
	v_cmp_gt_i64_e64 s[26:27], 0, v[5:6]
	v_not_b32_e32 v3, v6
	v_ashrrev_i32_e32 v3, 31, v3
	v_and_b32_e32 v1, v1, v4
	v_xor_b32_e32 v4, s27, v3
	v_xor_b32_e32 v3, s26, v3
	v_lshlrev_b32_e32 v6, 27, v25
	v_and_b32_e32 v2, v2, v3
	v_cmp_gt_i64_e64 s[26:27], 0, v[5:6]
	v_not_b32_e32 v3, v6
	;; [unrolled: 8-line block ×5, first 2 shown]
	v_ashrrev_i32_e32 v2, 31, v2
	v_and_b32_e32 v1, v1, v4
	v_xor_b32_e32 v4, s27, v2
	v_xor_b32_e32 v6, s26, v2
	; wave barrier
	ds_read_b32 v37, v38 offset:32
	v_and_b32_e32 v2, v1, v4
	v_and_b32_e32 v1, v3, v6
	v_mbcnt_lo_u32_b32 v3, v1, 0
	v_mbcnt_hi_u32_b32 v39, v2, v3
	v_cmp_ne_u64_e64 s[26:27], 0, v[1:2]
	v_cmp_eq_u32_e64 s[28:29], 0, v39
	s_and_b64 s[28:29], s[26:27], s[28:29]
	; wave barrier
	s_and_saveexec_b64 s[26:27], s[28:29]
	s_cbranch_execz .LBB94_10
; %bb.9:                                ;   in Loop: Header=BB94_2 Depth=1
	v_bcnt_u32_b32 v1, v1, 0
	v_bcnt_u32_b32 v1, v2, v1
	s_waitcnt lgkmcnt(0)
	v_add_u32_e32 v1, v37, v1
	ds_write_b32 v38, v1 offset:32
.LBB94_10:                              ;   in Loop: Header=BB94_2 Depth=1
	s_or_b64 exec, exec, s[26:27]
	v_lshlrev_b32_sdwa v1, v20, v24 dst_sel:DWORD dst_unused:UNUSED_PAD src0_sel:DWORD src1_sel:BYTE_0
	v_add_u32_e32 v41, v19, v1
	v_and_b32_e32 v1, 1, v24
	v_add_co_u32_e64 v2, s[26:27], -1, v1
	v_addc_co_u32_e64 v3, s[26:27], 0, -1, s[26:27]
	v_cmp_ne_u32_e64 s[26:27], 0, v1
	v_lshlrev_b32_e32 v6, 30, v24
	v_xor_b32_e32 v1, s27, v3
	v_xor_b32_e32 v2, s26, v2
	v_cmp_gt_i64_e64 s[26:27], 0, v[5:6]
	v_not_b32_e32 v3, v6
	v_ashrrev_i32_e32 v3, 31, v3
	v_and_b32_e32 v2, exec_lo, v2
	v_xor_b32_e32 v4, s27, v3
	v_xor_b32_e32 v3, s26, v3
	v_lshlrev_b32_e32 v6, 29, v24
	v_and_b32_e32 v2, v2, v3
	v_cmp_gt_i64_e64 s[26:27], 0, v[5:6]
	v_not_b32_e32 v3, v6
	v_and_b32_e32 v1, exec_hi, v1
	v_ashrrev_i32_e32 v3, 31, v3
	v_and_b32_e32 v1, v1, v4
	v_xor_b32_e32 v4, s27, v3
	v_xor_b32_e32 v3, s26, v3
	v_lshlrev_b32_e32 v6, 28, v24
	v_and_b32_e32 v2, v2, v3
	v_cmp_gt_i64_e64 s[26:27], 0, v[5:6]
	v_not_b32_e32 v3, v6
	v_ashrrev_i32_e32 v3, 31, v3
	v_and_b32_e32 v1, v1, v4
	v_xor_b32_e32 v4, s27, v3
	v_xor_b32_e32 v3, s26, v3
	v_lshlrev_b32_e32 v6, 27, v24
	v_and_b32_e32 v2, v2, v3
	v_cmp_gt_i64_e64 s[26:27], 0, v[5:6]
	v_not_b32_e32 v3, v6
	v_ashrrev_i32_e32 v3, 31, v3
	v_and_b32_e32 v1, v1, v4
	v_xor_b32_e32 v4, s27, v3
	v_xor_b32_e32 v3, s26, v3
	v_lshlrev_b32_e32 v6, 26, v24
	v_and_b32_e32 v2, v2, v3
	v_cmp_gt_i64_e64 s[26:27], 0, v[5:6]
	v_not_b32_e32 v3, v6
	v_ashrrev_i32_e32 v3, 31, v3
	v_and_b32_e32 v1, v1, v4
	v_xor_b32_e32 v4, s27, v3
	v_xor_b32_e32 v3, s26, v3
	v_lshlrev_b32_e32 v6, 25, v24
	v_and_b32_e32 v2, v2, v3
	v_cmp_gt_i64_e64 s[26:27], 0, v[5:6]
	v_not_b32_e32 v3, v6
	v_ashrrev_i32_e32 v3, 31, v3
	v_and_b32_e32 v1, v1, v4
	v_xor_b32_e32 v4, s27, v3
	v_xor_b32_e32 v3, s26, v3
	v_lshlrev_b32_e32 v6, 24, v24
	v_and_b32_e32 v3, v2, v3
	v_cmp_gt_i64_e64 s[26:27], 0, v[5:6]
	v_not_b32_e32 v2, v6
	v_ashrrev_i32_e32 v2, 31, v2
	v_and_b32_e32 v1, v1, v4
	v_xor_b32_e32 v4, s27, v2
	v_xor_b32_e32 v6, s26, v2
	; wave barrier
	ds_read_b32 v40, v41 offset:32
	v_and_b32_e32 v2, v1, v4
	v_and_b32_e32 v1, v3, v6
	v_mbcnt_lo_u32_b32 v3, v1, 0
	v_mbcnt_hi_u32_b32 v42, v2, v3
	v_cmp_ne_u64_e64 s[26:27], 0, v[1:2]
	v_cmp_eq_u32_e64 s[28:29], 0, v42
	s_and_b64 s[28:29], s[26:27], s[28:29]
	; wave barrier
	s_and_saveexec_b64 s[26:27], s[28:29]
	s_cbranch_execz .LBB94_12
; %bb.11:                               ;   in Loop: Header=BB94_2 Depth=1
	v_bcnt_u32_b32 v1, v1, 0
	v_bcnt_u32_b32 v1, v2, v1
	s_waitcnt lgkmcnt(0)
	v_add_u32_e32 v1, v40, v1
	ds_write_b32 v41, v1 offset:32
.LBB94_12:                              ;   in Loop: Header=BB94_2 Depth=1
	s_or_b64 exec, exec, s[26:27]
	v_lshlrev_b32_sdwa v1, v20, v23 dst_sel:DWORD dst_unused:UNUSED_PAD src0_sel:DWORD src1_sel:BYTE_0
	v_add_u32_e32 v44, v19, v1
	v_and_b32_e32 v1, 1, v23
	v_add_co_u32_e64 v2, s[26:27], -1, v1
	v_addc_co_u32_e64 v3, s[26:27], 0, -1, s[26:27]
	v_cmp_ne_u32_e64 s[26:27], 0, v1
	v_lshlrev_b32_e32 v6, 30, v23
	v_xor_b32_e32 v1, s27, v3
	v_xor_b32_e32 v2, s26, v2
	v_cmp_gt_i64_e64 s[26:27], 0, v[5:6]
	v_not_b32_e32 v3, v6
	v_ashrrev_i32_e32 v3, 31, v3
	v_and_b32_e32 v2, exec_lo, v2
	v_xor_b32_e32 v4, s27, v3
	v_xor_b32_e32 v3, s26, v3
	v_lshlrev_b32_e32 v6, 29, v23
	v_and_b32_e32 v2, v2, v3
	v_cmp_gt_i64_e64 s[26:27], 0, v[5:6]
	v_not_b32_e32 v3, v6
	v_and_b32_e32 v1, exec_hi, v1
	v_ashrrev_i32_e32 v3, 31, v3
	v_and_b32_e32 v1, v1, v4
	v_xor_b32_e32 v4, s27, v3
	v_xor_b32_e32 v3, s26, v3
	v_lshlrev_b32_e32 v6, 28, v23
	v_and_b32_e32 v2, v2, v3
	v_cmp_gt_i64_e64 s[26:27], 0, v[5:6]
	v_not_b32_e32 v3, v6
	v_ashrrev_i32_e32 v3, 31, v3
	v_and_b32_e32 v1, v1, v4
	v_xor_b32_e32 v4, s27, v3
	v_xor_b32_e32 v3, s26, v3
	v_lshlrev_b32_e32 v6, 27, v23
	v_and_b32_e32 v2, v2, v3
	v_cmp_gt_i64_e64 s[26:27], 0, v[5:6]
	v_not_b32_e32 v3, v6
	;; [unrolled: 8-line block ×5, first 2 shown]
	v_ashrrev_i32_e32 v2, 31, v2
	v_and_b32_e32 v1, v1, v4
	v_xor_b32_e32 v4, s27, v2
	v_xor_b32_e32 v6, s26, v2
	; wave barrier
	ds_read_b32 v43, v44 offset:32
	v_and_b32_e32 v2, v1, v4
	v_and_b32_e32 v1, v3, v6
	v_mbcnt_lo_u32_b32 v3, v1, 0
	v_mbcnt_hi_u32_b32 v45, v2, v3
	v_cmp_ne_u64_e64 s[26:27], 0, v[1:2]
	v_cmp_eq_u32_e64 s[28:29], 0, v45
	s_and_b64 s[28:29], s[26:27], s[28:29]
	; wave barrier
	s_and_saveexec_b64 s[26:27], s[28:29]
	s_cbranch_execz .LBB94_14
; %bb.13:                               ;   in Loop: Header=BB94_2 Depth=1
	v_bcnt_u32_b32 v1, v1, 0
	v_bcnt_u32_b32 v1, v2, v1
	s_waitcnt lgkmcnt(0)
	v_add_u32_e32 v1, v43, v1
	ds_write_b32 v44, v1 offset:32
.LBB94_14:                              ;   in Loop: Header=BB94_2 Depth=1
	s_or_b64 exec, exec, s[26:27]
	v_lshlrev_b32_sdwa v1, v20, v22 dst_sel:DWORD dst_unused:UNUSED_PAD src0_sel:DWORD src1_sel:BYTE_0
	v_add_u32_e32 v47, v19, v1
	v_and_b32_e32 v1, 1, v22
	v_add_co_u32_e64 v2, s[26:27], -1, v1
	v_addc_co_u32_e64 v3, s[26:27], 0, -1, s[26:27]
	v_cmp_ne_u32_e64 s[26:27], 0, v1
	v_lshlrev_b32_e32 v6, 30, v22
	v_xor_b32_e32 v1, s27, v3
	v_xor_b32_e32 v2, s26, v2
	v_cmp_gt_i64_e64 s[26:27], 0, v[5:6]
	v_not_b32_e32 v3, v6
	v_ashrrev_i32_e32 v3, 31, v3
	v_and_b32_e32 v2, exec_lo, v2
	v_xor_b32_e32 v4, s27, v3
	v_xor_b32_e32 v3, s26, v3
	v_lshlrev_b32_e32 v6, 29, v22
	v_and_b32_e32 v2, v2, v3
	v_cmp_gt_i64_e64 s[26:27], 0, v[5:6]
	v_not_b32_e32 v3, v6
	v_and_b32_e32 v1, exec_hi, v1
	v_ashrrev_i32_e32 v3, 31, v3
	v_and_b32_e32 v1, v1, v4
	v_xor_b32_e32 v4, s27, v3
	v_xor_b32_e32 v3, s26, v3
	v_lshlrev_b32_e32 v6, 28, v22
	v_and_b32_e32 v2, v2, v3
	v_cmp_gt_i64_e64 s[26:27], 0, v[5:6]
	v_not_b32_e32 v3, v6
	v_ashrrev_i32_e32 v3, 31, v3
	v_and_b32_e32 v1, v1, v4
	v_xor_b32_e32 v4, s27, v3
	v_xor_b32_e32 v3, s26, v3
	v_lshlrev_b32_e32 v6, 27, v22
	v_and_b32_e32 v2, v2, v3
	v_cmp_gt_i64_e64 s[26:27], 0, v[5:6]
	v_not_b32_e32 v3, v6
	;; [unrolled: 8-line block ×5, first 2 shown]
	v_ashrrev_i32_e32 v2, 31, v2
	v_and_b32_e32 v1, v1, v4
	v_xor_b32_e32 v4, s27, v2
	v_xor_b32_e32 v6, s26, v2
	; wave barrier
	ds_read_b32 v46, v47 offset:32
	v_and_b32_e32 v2, v1, v4
	v_and_b32_e32 v1, v3, v6
	v_mbcnt_lo_u32_b32 v3, v1, 0
	v_mbcnt_hi_u32_b32 v48, v2, v3
	v_cmp_ne_u64_e64 s[26:27], 0, v[1:2]
	v_cmp_eq_u32_e64 s[28:29], 0, v48
	s_and_b64 s[28:29], s[26:27], s[28:29]
	; wave barrier
	s_and_saveexec_b64 s[26:27], s[28:29]
	s_cbranch_execz .LBB94_16
; %bb.15:                               ;   in Loop: Header=BB94_2 Depth=1
	v_bcnt_u32_b32 v1, v1, 0
	v_bcnt_u32_b32 v1, v2, v1
	s_waitcnt lgkmcnt(0)
	v_add_u32_e32 v1, v46, v1
	ds_write_b32 v47, v1 offset:32
.LBB94_16:                              ;   in Loop: Header=BB94_2 Depth=1
	s_or_b64 exec, exec, s[26:27]
	v_lshlrev_b32_sdwa v1, v20, v21 dst_sel:DWORD dst_unused:UNUSED_PAD src0_sel:DWORD src1_sel:BYTE_0
	v_add_u32_e32 v50, v19, v1
	v_and_b32_e32 v1, 1, v21
	v_add_co_u32_e64 v2, s[26:27], -1, v1
	v_addc_co_u32_e64 v3, s[26:27], 0, -1, s[26:27]
	v_cmp_ne_u32_e64 s[26:27], 0, v1
	v_lshlrev_b32_e32 v6, 30, v21
	v_xor_b32_e32 v1, s27, v3
	v_xor_b32_e32 v2, s26, v2
	v_cmp_gt_i64_e64 s[26:27], 0, v[5:6]
	v_not_b32_e32 v3, v6
	v_ashrrev_i32_e32 v3, 31, v3
	v_and_b32_e32 v2, exec_lo, v2
	v_xor_b32_e32 v4, s27, v3
	v_xor_b32_e32 v3, s26, v3
	v_lshlrev_b32_e32 v6, 29, v21
	v_and_b32_e32 v2, v2, v3
	v_cmp_gt_i64_e64 s[26:27], 0, v[5:6]
	v_not_b32_e32 v3, v6
	v_and_b32_e32 v1, exec_hi, v1
	v_ashrrev_i32_e32 v3, 31, v3
	v_and_b32_e32 v1, v1, v4
	v_xor_b32_e32 v4, s27, v3
	v_xor_b32_e32 v3, s26, v3
	v_lshlrev_b32_e32 v6, 28, v21
	v_and_b32_e32 v2, v2, v3
	v_cmp_gt_i64_e64 s[26:27], 0, v[5:6]
	v_not_b32_e32 v3, v6
	v_ashrrev_i32_e32 v3, 31, v3
	v_and_b32_e32 v1, v1, v4
	v_xor_b32_e32 v4, s27, v3
	v_xor_b32_e32 v3, s26, v3
	v_lshlrev_b32_e32 v6, 27, v21
	v_and_b32_e32 v2, v2, v3
	v_cmp_gt_i64_e64 s[26:27], 0, v[5:6]
	v_not_b32_e32 v3, v6
	;; [unrolled: 8-line block ×5, first 2 shown]
	v_ashrrev_i32_e32 v2, 31, v2
	v_and_b32_e32 v1, v1, v4
	v_xor_b32_e32 v4, s27, v2
	v_xor_b32_e32 v6, s26, v2
	; wave barrier
	ds_read_b32 v49, v50 offset:32
	v_and_b32_e32 v2, v1, v4
	v_and_b32_e32 v1, v3, v6
	v_mbcnt_lo_u32_b32 v3, v1, 0
	v_mbcnt_hi_u32_b32 v6, v2, v3
	v_cmp_ne_u64_e64 s[26:27], 0, v[1:2]
	v_cmp_eq_u32_e64 s[28:29], 0, v6
	s_and_b64 s[28:29], s[26:27], s[28:29]
	; wave barrier
	s_and_saveexec_b64 s[26:27], s[28:29]
	s_cbranch_execz .LBB94_18
; %bb.17:                               ;   in Loop: Header=BB94_2 Depth=1
	v_bcnt_u32_b32 v1, v1, 0
	v_bcnt_u32_b32 v1, v2, v1
	s_waitcnt lgkmcnt(0)
	v_add_u32_e32 v1, v49, v1
	ds_write_b32 v50, v1 offset:32
.LBB94_18:                              ;   in Loop: Header=BB94_2 Depth=1
	s_or_b64 exec, exec, s[26:27]
	; wave barrier
	s_waitcnt lgkmcnt(0)
	s_barrier
	ds_read2_b64 v[1:4], v11 offset0:4 offset1:5
	s_waitcnt lgkmcnt(0)
	v_add_u32_e32 v51, v2, v1
	v_add3_u32 v4, v51, v3, v4
	s_nop 1
	v_mov_b32_dpp v51, v4 row_shr:1 row_mask:0xf bank_mask:0xf
	v_cndmask_b32_e64 v51, v51, 0, s[8:9]
	v_add_u32_e32 v4, v51, v4
	s_nop 1
	v_mov_b32_dpp v51, v4 row_shr:2 row_mask:0xf bank_mask:0xf
	v_cndmask_b32_e64 v51, 0, v51, s[10:11]
	v_add_u32_e32 v4, v4, v51
	s_nop 1
	v_mov_b32_dpp v51, v4 row_shr:4 row_mask:0xf bank_mask:0xf
	v_cndmask_b32_e64 v51, 0, v51, s[12:13]
	v_add_u32_e32 v4, v4, v51
	s_nop 1
	v_mov_b32_dpp v51, v4 row_shr:8 row_mask:0xf bank_mask:0xf
	v_cndmask_b32_e64 v51, 0, v51, s[14:15]
	v_add_u32_e32 v4, v4, v51
	s_nop 1
	v_mov_b32_dpp v51, v4 row_bcast:15 row_mask:0xf bank_mask:0xf
	v_cndmask_b32_e64 v51, v51, 0, s[16:17]
	v_add_u32_e32 v4, v4, v51
	s_nop 1
	v_mov_b32_dpp v51, v4 row_bcast:31 row_mask:0xf bank_mask:0xf
	v_cndmask_b32_e64 v51, 0, v51, s[6:7]
	v_add_u32_e32 v4, v4, v51
	s_and_saveexec_b64 s[26:27], s[18:19]
; %bb.19:                               ;   in Loop: Header=BB94_2 Depth=1
	ds_write_b32 v14, v4
; %bb.20:                               ;   in Loop: Header=BB94_2 Depth=1
	s_or_b64 exec, exec, s[26:27]
	s_waitcnt lgkmcnt(0)
	s_barrier
	s_and_saveexec_b64 s[26:27], vcc
	s_cbranch_execz .LBB94_22
; %bb.21:                               ;   in Loop: Header=BB94_2 Depth=1
	ds_read_b32 v51, v17
	s_waitcnt lgkmcnt(0)
	s_nop 0
	v_mov_b32_dpp v52, v51 row_shr:1 row_mask:0xf bank_mask:0xf
	v_cndmask_b32_e64 v52, v52, 0, s[20:21]
	v_add_u32_e32 v51, v52, v51
	s_nop 1
	v_mov_b32_dpp v52, v51 row_shr:2 row_mask:0xf bank_mask:0xf
	v_cndmask_b32_e64 v52, 0, v52, s[22:23]
	v_add_u32_e32 v51, v51, v52
	;; [unrolled: 4-line block ×3, first 2 shown]
	ds_write_b32 v17, v51
.LBB94_22:                              ;   in Loop: Header=BB94_2 Depth=1
	s_or_b64 exec, exec, s[26:27]
	v_mov_b32_e32 v51, 0
	s_waitcnt lgkmcnt(0)
	s_barrier
	s_and_saveexec_b64 s[26:27], s[0:1]
	s_cbranch_execz .LBB94_1
; %bb.23:                               ;   in Loop: Header=BB94_2 Depth=1
	ds_read_b32 v51, v16
	s_branch .LBB94_1
.LBB94_24:
	s_add_u32 s0, s30, s33
	s_addc_u32 s1, s31, 0
	v_mov_b32_e32 v4, s1
	v_add_co_u32_e32 v3, vcc, s0, v0
	v_addc_co_u32_e32 v4, vcc, 0, v4, vcc
	v_lshrrev_b32_e32 v0, 8, v2
	global_store_byte v[3:4], v2, off
	global_store_byte v[3:4], v0, off offset:512
	global_store_byte_d16_hi v[3:4], v2, off offset:1024
	v_lshrrev_b32_e32 v0, 24, v2
	global_store_byte v[3:4], v0, off offset:1536
	global_store_byte v[3:4], v1, off offset:2048
	v_lshrrev_b32_e32 v0, 8, v1
	global_store_byte v[3:4], v0, off offset:2560
	global_store_byte_d16_hi v[3:4], v1, off offset:3072
	v_lshrrev_b32_e32 v0, 24, v1
	global_store_byte v[3:4], v0, off offset:3584
	s_endpgm
	.section	.rodata,"a",@progbits
	.p2align	6, 0x0
	.amdhsa_kernel _Z16sort_keys_kernelI22helper_blocked_blockedaLj512ELj8ELj10EEvPKT0_PS1_
		.amdhsa_group_segment_fixed_size 8224
		.amdhsa_private_segment_fixed_size 0
		.amdhsa_kernarg_size 272
		.amdhsa_user_sgpr_count 6
		.amdhsa_user_sgpr_private_segment_buffer 1
		.amdhsa_user_sgpr_dispatch_ptr 0
		.amdhsa_user_sgpr_queue_ptr 0
		.amdhsa_user_sgpr_kernarg_segment_ptr 1
		.amdhsa_user_sgpr_dispatch_id 0
		.amdhsa_user_sgpr_flat_scratch_init 0
		.amdhsa_user_sgpr_private_segment_size 0
		.amdhsa_uses_dynamic_stack 0
		.amdhsa_system_sgpr_private_segment_wavefront_offset 0
		.amdhsa_system_sgpr_workgroup_id_x 1
		.amdhsa_system_sgpr_workgroup_id_y 0
		.amdhsa_system_sgpr_workgroup_id_z 0
		.amdhsa_system_sgpr_workgroup_info 0
		.amdhsa_system_vgpr_workitem_id 2
		.amdhsa_next_free_vgpr 53
		.amdhsa_next_free_sgpr 39
		.amdhsa_reserve_vcc 1
		.amdhsa_reserve_flat_scratch 0
		.amdhsa_float_round_mode_32 0
		.amdhsa_float_round_mode_16_64 0
		.amdhsa_float_denorm_mode_32 3
		.amdhsa_float_denorm_mode_16_64 3
		.amdhsa_dx10_clamp 1
		.amdhsa_ieee_mode 1
		.amdhsa_fp16_overflow 0
		.amdhsa_exception_fp_ieee_invalid_op 0
		.amdhsa_exception_fp_denorm_src 0
		.amdhsa_exception_fp_ieee_div_zero 0
		.amdhsa_exception_fp_ieee_overflow 0
		.amdhsa_exception_fp_ieee_underflow 0
		.amdhsa_exception_fp_ieee_inexact 0
		.amdhsa_exception_int_div_zero 0
	.end_amdhsa_kernel
	.section	.text._Z16sort_keys_kernelI22helper_blocked_blockedaLj512ELj8ELj10EEvPKT0_PS1_,"axG",@progbits,_Z16sort_keys_kernelI22helper_blocked_blockedaLj512ELj8ELj10EEvPKT0_PS1_,comdat
.Lfunc_end94:
	.size	_Z16sort_keys_kernelI22helper_blocked_blockedaLj512ELj8ELj10EEvPKT0_PS1_, .Lfunc_end94-_Z16sort_keys_kernelI22helper_blocked_blockedaLj512ELj8ELj10EEvPKT0_PS1_
                                        ; -- End function
	.set _Z16sort_keys_kernelI22helper_blocked_blockedaLj512ELj8ELj10EEvPKT0_PS1_.num_vgpr, 53
	.set _Z16sort_keys_kernelI22helper_blocked_blockedaLj512ELj8ELj10EEvPKT0_PS1_.num_agpr, 0
	.set _Z16sort_keys_kernelI22helper_blocked_blockedaLj512ELj8ELj10EEvPKT0_PS1_.numbered_sgpr, 39
	.set _Z16sort_keys_kernelI22helper_blocked_blockedaLj512ELj8ELj10EEvPKT0_PS1_.num_named_barrier, 0
	.set _Z16sort_keys_kernelI22helper_blocked_blockedaLj512ELj8ELj10EEvPKT0_PS1_.private_seg_size, 0
	.set _Z16sort_keys_kernelI22helper_blocked_blockedaLj512ELj8ELj10EEvPKT0_PS1_.uses_vcc, 1
	.set _Z16sort_keys_kernelI22helper_blocked_blockedaLj512ELj8ELj10EEvPKT0_PS1_.uses_flat_scratch, 0
	.set _Z16sort_keys_kernelI22helper_blocked_blockedaLj512ELj8ELj10EEvPKT0_PS1_.has_dyn_sized_stack, 0
	.set _Z16sort_keys_kernelI22helper_blocked_blockedaLj512ELj8ELj10EEvPKT0_PS1_.has_recursion, 0
	.set _Z16sort_keys_kernelI22helper_blocked_blockedaLj512ELj8ELj10EEvPKT0_PS1_.has_indirect_call, 0
	.section	.AMDGPU.csdata,"",@progbits
; Kernel info:
; codeLenInByte = 4756
; TotalNumSgprs: 43
; NumVgprs: 53
; ScratchSize: 0
; MemoryBound: 0
; FloatMode: 240
; IeeeMode: 1
; LDSByteSize: 8224 bytes/workgroup (compile time only)
; SGPRBlocks: 5
; VGPRBlocks: 13
; NumSGPRsForWavesPerEU: 43
; NumVGPRsForWavesPerEU: 53
; Occupancy: 4
; WaveLimiterHint : 1
; COMPUTE_PGM_RSRC2:SCRATCH_EN: 0
; COMPUTE_PGM_RSRC2:USER_SGPR: 6
; COMPUTE_PGM_RSRC2:TRAP_HANDLER: 0
; COMPUTE_PGM_RSRC2:TGID_X_EN: 1
; COMPUTE_PGM_RSRC2:TGID_Y_EN: 0
; COMPUTE_PGM_RSRC2:TGID_Z_EN: 0
; COMPUTE_PGM_RSRC2:TIDIG_COMP_CNT: 2
	.section	.text._Z17sort_pairs_kernelI22helper_blocked_blockedaLj512ELj8ELj10EEvPKT0_PS1_,"axG",@progbits,_Z17sort_pairs_kernelI22helper_blocked_blockedaLj512ELj8ELj10EEvPKT0_PS1_,comdat
	.protected	_Z17sort_pairs_kernelI22helper_blocked_blockedaLj512ELj8ELj10EEvPKT0_PS1_ ; -- Begin function _Z17sort_pairs_kernelI22helper_blocked_blockedaLj512ELj8ELj10EEvPKT0_PS1_
	.globl	_Z17sort_pairs_kernelI22helper_blocked_blockedaLj512ELj8ELj10EEvPKT0_PS1_
	.p2align	8
	.type	_Z17sort_pairs_kernelI22helper_blocked_blockedaLj512ELj8ELj10EEvPKT0_PS1_,@function
_Z17sort_pairs_kernelI22helper_blocked_blockedaLj512ELj8ELj10EEvPKT0_PS1_: ; @_Z17sort_pairs_kernelI22helper_blocked_blockedaLj512ELj8ELj10EEvPKT0_PS1_
; %bb.0:
	s_load_dwordx4 s[28:31], s[4:5], 0x0
	s_load_dword s26, s[4:5], 0x1c
	s_lshl_b32 s33, s6, 12
	v_mbcnt_lo_u32_b32 v11, -1, 0
	v_mbcnt_hi_u32_b32 v19, -1, v11
	s_waitcnt lgkmcnt(0)
	s_add_u32 s0, s28, s33
	s_addc_u32 s1, s29, 0
	global_load_ubyte v3, v0, s[0:1]
	global_load_ubyte v4, v0, s[0:1] offset:512
	global_load_ubyte v6, v0, s[0:1] offset:1024
	;; [unrolled: 1-line block ×7, first 2 shown]
	s_lshr_b32 s27, s26, 16
	s_and_b32 s26, s26, 0xffff
	v_mad_u32_u24 v1, v2, s27, v1
	v_mad_u64_u32 v[1:2], s[26:27], v1, s26, v[0:1]
	v_subrev_co_u32_e64 v21, s[4:5], 1, v19
	v_and_b32_e32 v22, 64, v19
	v_and_b32_e32 v12, 0x1c0, v0
	v_cmp_lt_i32_e64 s[26:27], v21, v22
	s_mov_b32 s29, 0xc0c0004
	v_and_b32_e32 v16, 15, v19
	v_and_b32_e32 v17, 16, v19
	v_or_b32_e32 v20, 63, v12
	v_and_b32_e32 v23, 7, v19
	v_cndmask_b32_e64 v2, v21, v19, s[26:27]
	v_lshrrev_b32_e32 v1, 4, v1
	v_cmp_eq_u32_e64 s[8:9], 0, v16
	v_cmp_lt_u32_e64 s[10:11], 1, v16
	v_cmp_lt_u32_e64 s[12:13], 3, v16
	v_cmp_lt_u32_e64 s[14:15], 7, v16
	v_cmp_eq_u32_e64 s[16:17], 0, v17
	v_cmp_eq_u32_e64 s[18:19], v0, v20
	;; [unrolled: 1-line block ×3, first 2 shown]
	v_cmp_lt_u32_e64 s[22:23], 1, v23
	v_cmp_lt_u32_e64 s[24:25], 3, v23
	v_lshlrev_b32_e32 v16, 2, v2
	v_and_b32_e32 v17, 0xffffffc, v1
	s_mov_b32 s28, 0
	s_movk_i32 s37, 0x100
	v_lshlrev_b32_e32 v13, 3, v0
	v_lshlrev_b32_e32 v11, 4, v0
	v_lshrrev_b32_e32 v14, 4, v0
	v_lshlrev_b32_e32 v15, 2, v0
	s_mov_b32 s26, s28
	v_and_b32_e32 v24, 0xe00, v13
	v_sub_u32_e32 v13, v11, v13
	v_and_b32_e32 v14, 28, v14
	v_sub_u32_e32 v25, 0, v15
	s_mov_b32 s27, s28
	v_mov_b32_e32 v5, 0
	s_mov_b32 s34, 10
	s_movk_i32 s35, 0xff00
	s_movk_i32 s36, 0x80
	v_cmp_gt_u32_e32 vcc, 8, v0
	v_cmp_lt_u32_e64 s[0:1], 63, v0
	v_cmp_eq_u32_e64 s[2:3], 0, v0
	v_add_lshl_u32 v12, v19, v12, 3
	v_cmp_lt_u32_e64 s[6:7], 31, v19
	v_add_u32_e32 v15, -4, v14
	s_waitcnt vmcnt(7)
	v_add_u16_e32 v22, 1, v3
	s_waitcnt vmcnt(6)
	v_perm_b32 v1, v3, v4, s29
	v_lshlrev_b16_e32 v23, 8, v4
	s_waitcnt vmcnt(4)
	v_perm_b32 v2, v6, v7, s29
	v_add_u16_e32 v6, 1, v6
	s_waitcnt vmcnt(2)
	v_perm_b32 v20, v8, v9, s29
	v_lshlrev_b16_e32 v7, 8, v7
	s_waitcnt vmcnt(0)
	v_perm_b32 v21, v10, v18, s29
	v_add_u16_e32 v8, 1, v8
	v_lshlrev_b16_e32 v9, 8, v9
	v_add_u16_e32 v10, 1, v10
	v_lshlrev_b16_e32 v18, 8, v18
	v_lshl_or_b32 v3, v2, 16, v1
	v_or_b32_sdwa v1, v23, v22 dst_sel:DWORD dst_unused:UNUSED_PAD src0_sel:DWORD src1_sel:BYTE_0
	v_or_b32_sdwa v2, v7, v6 dst_sel:DWORD dst_unused:UNUSED_PAD src0_sel:DWORD src1_sel:BYTE_0
	v_or_b32_sdwa v6, v9, v8 dst_sel:DWORD dst_unused:UNUSED_PAD src0_sel:DWORD src1_sel:BYTE_0
	v_or_b32_sdwa v7, v18, v10 dst_sel:DWORD dst_unused:UNUSED_PAD src0_sel:DWORD src1_sel:BYTE_0
	v_add_u16_e32 v1, 0x100, v1
	v_add_u16_sdwa v2, v2, s37 dst_sel:WORD_1 dst_unused:UNUSED_PAD src0_sel:DWORD src1_sel:DWORD
	v_add_u16_e32 v6, 0x100, v6
	v_add_u16_sdwa v7, v7, s37 dst_sel:WORD_1 dst_unused:UNUSED_PAD src0_sel:DWORD src1_sel:DWORD
	v_or_b32_e32 v1, v1, v2
	v_or_b32_e32 v2, v6, v7
	s_mov_b32 s29, s28
	v_mov_b32_e32 v7, s28
	v_mov_b32_e32 v9, s26
	v_lshl_or_b32 v4, v21, 16, v20
	s_movk_i32 s37, 0x8000
	v_add_u32_e32 v18, v19, v24
	v_mov_b32_e32 v8, s29
	v_add_u32_e32 v19, v13, v25
	v_mov_b32_e32 v20, 5
	v_mov_b32_e32 v10, s27
	s_branch .LBB95_2
.LBB95_1:                               ;   in Loop: Header=BB95_2 Depth=1
	s_or_b64 exec, exec, s[26:27]
	s_waitcnt lgkmcnt(0)
	v_add_u32_e32 v4, v59, v4
	ds_bpermute_b32 v4, v16, v4
	s_add_i32 s34, s34, -1
	s_cmp_eq_u32 s34, 0
	s_waitcnt lgkmcnt(0)
	v_cndmask_b32_e64 v4, v4, v59, s[4:5]
	v_cndmask_b32_e64 v59, v4, 0, s[2:3]
	v_add_u32_e32 v60, v59, v1
	v_add_u32_e32 v1, v60, v2
	;; [unrolled: 1-line block ×3, first 2 shown]
	ds_write2_b64 v11, v[59:60], v[1:2] offset0:4 offset1:5
	s_waitcnt lgkmcnt(0)
	s_barrier
	ds_read_b32 v1, v38 offset:32
	ds_read_b32 v2, v40 offset:32
	;; [unrolled: 1-line block ×8, first 2 shown]
	s_waitcnt lgkmcnt(7)
	v_add_u32_e32 v1, v1, v37
	s_waitcnt lgkmcnt(6)
	v_add3_u32 v2, v41, v39, v2
	s_waitcnt lgkmcnt(0)
	s_barrier
	ds_write_b8 v1, v28
	ds_write_b8 v2, v27
	v_add3_u32 v27, v44, v42, v3
	ds_write_b8 v27, v26
	v_add3_u32 v26, v47, v45, v4
	ds_write_b8 v26, v25
	v_add3_u32 v25, v50, v48, v38
	ds_write_b8 v25, v24
	v_add3_u32 v24, v53, v51, v40
	ds_write_b8 v24, v23
	v_add3_u32 v23, v56, v54, v43
	v_add3_u32 v6, v6, v57, v46
	ds_write_b8 v23, v22
	ds_write_b8 v6, v21
	s_waitcnt lgkmcnt(0)
	s_barrier
	ds_read_b64 v[3:4], v13
	s_waitcnt lgkmcnt(0)
	s_barrier
	ds_write_b8 v1, v29
	ds_write_b8 v2, v30
	;; [unrolled: 1-line block ×8, first 2 shown]
	v_and_b32_e32 v21, 0xffffff00, v3
	v_xor_b32_e32 v22, 0x80, v3
	v_or_b32_sdwa v21, v22, v21 dst_sel:DWORD dst_unused:UNUSED_PAD src0_sel:BYTE_0 src1_sel:DWORD
	v_and_b32_sdwa v22, v3, s35 dst_sel:DWORD dst_unused:UNUSED_PAD src0_sel:WORD_1 src1_sel:DWORD
	v_xor_b32_sdwa v3, v3, s36 dst_sel:DWORD dst_unused:UNUSED_PAD src0_sel:WORD_1 src1_sel:DWORD
	v_or_b32_sdwa v3, v3, v22 dst_sel:DWORD dst_unused:UNUSED_PAD src0_sel:BYTE_0 src1_sel:DWORD
	v_add_u16_e32 v21, 0x8000, v21
	v_add_u16_sdwa v3, v3, s37 dst_sel:WORD_1 dst_unused:UNUSED_PAD src0_sel:DWORD src1_sel:DWORD
	v_or_b32_e32 v3, v21, v3
	s_waitcnt lgkmcnt(0)
	s_barrier
	ds_read_b64 v[1:2], v13
	v_and_b32_e32 v6, 0xffffff00, v4
	v_xor_b32_e32 v21, 0x80, v4
	v_or_b32_sdwa v6, v21, v6 dst_sel:DWORD dst_unused:UNUSED_PAD src0_sel:BYTE_0 src1_sel:DWORD
	v_and_b32_sdwa v21, v4, s35 dst_sel:DWORD dst_unused:UNUSED_PAD src0_sel:WORD_1 src1_sel:DWORD
	v_xor_b32_sdwa v4, v4, s36 dst_sel:DWORD dst_unused:UNUSED_PAD src0_sel:WORD_1 src1_sel:DWORD
	v_or_b32_sdwa v4, v4, v21 dst_sel:DWORD dst_unused:UNUSED_PAD src0_sel:BYTE_0 src1_sel:DWORD
	v_add_u16_e32 v6, 0x8000, v6
	v_add_u16_sdwa v4, v4, s37 dst_sel:WORD_1 dst_unused:UNUSED_PAD src0_sel:DWORD src1_sel:DWORD
	v_or_b32_e32 v4, v6, v4
	s_cbranch_scc1 .LBB95_24
.LBB95_2:                               ; =>This Inner Loop Header: Depth=1
	v_and_b32_e32 v6, 0xffffff00, v3
	v_xor_b32_e32 v21, 0x80, v3
	v_or_b32_sdwa v6, v21, v6 dst_sel:DWORD dst_unused:UNUSED_PAD src0_sel:BYTE_0 src1_sel:DWORD
	v_and_b32_sdwa v21, v3, s35 dst_sel:DWORD dst_unused:UNUSED_PAD src0_sel:WORD_1 src1_sel:DWORD
	v_xor_b32_sdwa v3, v3, s36 dst_sel:DWORD dst_unused:UNUSED_PAD src0_sel:WORD_1 src1_sel:DWORD
	v_or_b32_sdwa v3, v3, v21 dst_sel:DWORD dst_unused:UNUSED_PAD src0_sel:BYTE_0 src1_sel:DWORD
	v_add_u16_e32 v6, 0x8000, v6
	v_add_u16_sdwa v3, v3, s37 dst_sel:WORD_1 dst_unused:UNUSED_PAD src0_sel:DWORD src1_sel:DWORD
	v_or_b32_e32 v3, v6, v3
	v_and_b32_e32 v6, 0xffffff00, v4
	v_xor_b32_e32 v21, 0x80, v4
	v_or_b32_sdwa v6, v21, v6 dst_sel:DWORD dst_unused:UNUSED_PAD src0_sel:BYTE_0 src1_sel:DWORD
	v_and_b32_sdwa v21, v4, s35 dst_sel:DWORD dst_unused:UNUSED_PAD src0_sel:WORD_1 src1_sel:DWORD
	v_xor_b32_sdwa v4, v4, s36 dst_sel:DWORD dst_unused:UNUSED_PAD src0_sel:WORD_1 src1_sel:DWORD
	v_or_b32_sdwa v4, v4, v21 dst_sel:DWORD dst_unused:UNUSED_PAD src0_sel:BYTE_0 src1_sel:DWORD
	v_add_u16_e32 v6, 0x8000, v6
	v_add_u16_sdwa v4, v4, s37 dst_sel:WORD_1 dst_unused:UNUSED_PAD src0_sel:DWORD src1_sel:DWORD
	v_or_b32_e32 v4, v6, v4
	ds_write_b64 v12, v[3:4]
	; wave barrier
	ds_read_u8 v28, v18
	ds_read_u8 v27, v18 offset:64
	ds_read_u8 v26, v18 offset:128
	;; [unrolled: 1-line block ×7, first 2 shown]
	; wave barrier
	s_waitcnt lgkmcnt(9)
	ds_write_b64 v12, v[1:2]
	s_waitcnt lgkmcnt(8)
	v_and_b32_e32 v1, 1, v28
	v_cmp_ne_u32_e64 s[26:27], 0, v1
	v_add_co_u32_e64 v1, s[28:29], -1, v1
	v_addc_co_u32_e64 v2, s[28:29], 0, -1, s[28:29]
	v_lshlrev_b32_e32 v6, 30, v28
	v_cmp_gt_i64_e64 s[28:29], 0, v[5:6]
	v_not_b32_e32 v3, v6
	v_ashrrev_i32_e32 v3, 31, v3
	v_xor_b32_e32 v1, s26, v1
	v_xor_b32_e32 v4, s29, v3
	v_and_b32_e32 v1, exec_lo, v1
	v_xor_b32_e32 v3, s28, v3
	v_lshlrev_b32_e32 v6, 29, v28
	v_xor_b32_e32 v2, s27, v2
	v_and_b32_e32 v1, v1, v3
	v_cmp_gt_i64_e64 s[26:27], 0, v[5:6]
	v_not_b32_e32 v3, v6
	v_and_b32_e32 v2, exec_hi, v2
	v_ashrrev_i32_e32 v3, 31, v3
	v_and_b32_e32 v2, v2, v4
	v_xor_b32_e32 v4, s27, v3
	v_xor_b32_e32 v3, s26, v3
	v_lshlrev_b32_e32 v6, 28, v28
	v_and_b32_e32 v1, v1, v3
	v_cmp_gt_i64_e64 s[26:27], 0, v[5:6]
	v_not_b32_e32 v3, v6
	v_ashrrev_i32_e32 v3, 31, v3
	v_and_b32_e32 v2, v2, v4
	v_xor_b32_e32 v4, s27, v3
	v_xor_b32_e32 v3, s26, v3
	v_lshlrev_b32_e32 v6, 27, v28
	v_and_b32_e32 v1, v1, v3
	v_cmp_gt_i64_e64 s[26:27], 0, v[5:6]
	v_not_b32_e32 v3, v6
	;; [unrolled: 8-line block ×4, first 2 shown]
	; wave barrier
	ds_read_u8 v29, v18
	ds_read_u8 v30, v18 offset:64
	ds_read_u8 v31, v18 offset:128
	;; [unrolled: 1-line block ×7, first 2 shown]
	v_ashrrev_i32_e32 v3, 31, v3
	v_and_b32_e32 v2, v2, v4
	v_xor_b32_e32 v4, s27, v3
	v_xor_b32_e32 v3, s26, v3
	v_lshlrev_b32_e32 v6, 24, v28
	v_and_b32_e32 v1, v1, v3
	v_cmp_gt_i64_e64 s[26:27], 0, v[5:6]
	v_not_b32_e32 v3, v6
	v_ashrrev_i32_e32 v3, 31, v3
	v_and_b32_e32 v2, v2, v4
	v_xor_b32_e32 v4, s27, v3
	v_xor_b32_e32 v3, s26, v3
	v_and_b32_e32 v1, v1, v3
	v_and_b32_e32 v2, v2, v4
	v_mbcnt_lo_u32_b32 v3, v1, 0
	v_mbcnt_hi_u32_b32 v37, v2, v3
	v_cmp_ne_u64_e64 s[26:27], 0, v[1:2]
	v_cmp_eq_u32_e64 s[28:29], 0, v37
	v_lshlrev_b32_sdwa v3, v20, v28 dst_sel:DWORD dst_unused:UNUSED_PAD src0_sel:DWORD src1_sel:BYTE_0
	s_and_b64 s[28:29], s[26:27], s[28:29]
	v_add_u32_e32 v38, v17, v3
	s_waitcnt lgkmcnt(0)
	s_barrier
	ds_write2_b64 v11, v[7:8], v[9:10] offset0:4 offset1:5
	s_waitcnt lgkmcnt(0)
	s_barrier
	; wave barrier
	s_and_saveexec_b64 s[26:27], s[28:29]
; %bb.3:                                ;   in Loop: Header=BB95_2 Depth=1
	v_bcnt_u32_b32 v1, v1, 0
	v_bcnt_u32_b32 v1, v2, v1
	ds_write_b32 v38, v1 offset:32
; %bb.4:                                ;   in Loop: Header=BB95_2 Depth=1
	s_or_b64 exec, exec, s[26:27]
	v_lshlrev_b32_sdwa v1, v20, v27 dst_sel:DWORD dst_unused:UNUSED_PAD src0_sel:DWORD src1_sel:BYTE_0
	v_add_u32_e32 v40, v17, v1
	v_and_b32_e32 v1, 1, v27
	v_add_co_u32_e64 v2, s[26:27], -1, v1
	v_addc_co_u32_e64 v3, s[26:27], 0, -1, s[26:27]
	v_cmp_ne_u32_e64 s[26:27], 0, v1
	v_lshlrev_b32_e32 v6, 30, v27
	v_xor_b32_e32 v1, s27, v3
	v_xor_b32_e32 v2, s26, v2
	v_cmp_gt_i64_e64 s[26:27], 0, v[5:6]
	v_not_b32_e32 v3, v6
	v_ashrrev_i32_e32 v3, 31, v3
	v_and_b32_e32 v2, exec_lo, v2
	v_xor_b32_e32 v4, s27, v3
	v_xor_b32_e32 v3, s26, v3
	v_lshlrev_b32_e32 v6, 29, v27
	v_and_b32_e32 v2, v2, v3
	v_cmp_gt_i64_e64 s[26:27], 0, v[5:6]
	v_not_b32_e32 v3, v6
	v_and_b32_e32 v1, exec_hi, v1
	v_ashrrev_i32_e32 v3, 31, v3
	v_and_b32_e32 v1, v1, v4
	v_xor_b32_e32 v4, s27, v3
	v_xor_b32_e32 v3, s26, v3
	v_lshlrev_b32_e32 v6, 28, v27
	v_and_b32_e32 v2, v2, v3
	v_cmp_gt_i64_e64 s[26:27], 0, v[5:6]
	v_not_b32_e32 v3, v6
	v_ashrrev_i32_e32 v3, 31, v3
	v_and_b32_e32 v1, v1, v4
	v_xor_b32_e32 v4, s27, v3
	v_xor_b32_e32 v3, s26, v3
	v_lshlrev_b32_e32 v6, 27, v27
	v_and_b32_e32 v2, v2, v3
	v_cmp_gt_i64_e64 s[26:27], 0, v[5:6]
	v_not_b32_e32 v3, v6
	;; [unrolled: 8-line block ×5, first 2 shown]
	v_ashrrev_i32_e32 v2, 31, v2
	v_and_b32_e32 v1, v1, v4
	v_xor_b32_e32 v4, s27, v2
	v_xor_b32_e32 v6, s26, v2
	; wave barrier
	ds_read_b32 v39, v40 offset:32
	v_and_b32_e32 v2, v1, v4
	v_and_b32_e32 v1, v3, v6
	v_mbcnt_lo_u32_b32 v3, v1, 0
	v_mbcnt_hi_u32_b32 v41, v2, v3
	v_cmp_ne_u64_e64 s[26:27], 0, v[1:2]
	v_cmp_eq_u32_e64 s[28:29], 0, v41
	s_and_b64 s[28:29], s[26:27], s[28:29]
	; wave barrier
	s_and_saveexec_b64 s[26:27], s[28:29]
	s_cbranch_execz .LBB95_6
; %bb.5:                                ;   in Loop: Header=BB95_2 Depth=1
	v_bcnt_u32_b32 v1, v1, 0
	v_bcnt_u32_b32 v1, v2, v1
	s_waitcnt lgkmcnt(0)
	v_add_u32_e32 v1, v39, v1
	ds_write_b32 v40, v1 offset:32
.LBB95_6:                               ;   in Loop: Header=BB95_2 Depth=1
	s_or_b64 exec, exec, s[26:27]
	v_lshlrev_b32_sdwa v1, v20, v26 dst_sel:DWORD dst_unused:UNUSED_PAD src0_sel:DWORD src1_sel:BYTE_0
	v_add_u32_e32 v43, v17, v1
	v_and_b32_e32 v1, 1, v26
	v_add_co_u32_e64 v2, s[26:27], -1, v1
	v_addc_co_u32_e64 v3, s[26:27], 0, -1, s[26:27]
	v_cmp_ne_u32_e64 s[26:27], 0, v1
	v_lshlrev_b32_e32 v6, 30, v26
	v_xor_b32_e32 v1, s27, v3
	v_xor_b32_e32 v2, s26, v2
	v_cmp_gt_i64_e64 s[26:27], 0, v[5:6]
	v_not_b32_e32 v3, v6
	v_ashrrev_i32_e32 v3, 31, v3
	v_and_b32_e32 v2, exec_lo, v2
	v_xor_b32_e32 v4, s27, v3
	v_xor_b32_e32 v3, s26, v3
	v_lshlrev_b32_e32 v6, 29, v26
	v_and_b32_e32 v2, v2, v3
	v_cmp_gt_i64_e64 s[26:27], 0, v[5:6]
	v_not_b32_e32 v3, v6
	v_and_b32_e32 v1, exec_hi, v1
	v_ashrrev_i32_e32 v3, 31, v3
	v_and_b32_e32 v1, v1, v4
	v_xor_b32_e32 v4, s27, v3
	v_xor_b32_e32 v3, s26, v3
	v_lshlrev_b32_e32 v6, 28, v26
	v_and_b32_e32 v2, v2, v3
	v_cmp_gt_i64_e64 s[26:27], 0, v[5:6]
	v_not_b32_e32 v3, v6
	v_ashrrev_i32_e32 v3, 31, v3
	v_and_b32_e32 v1, v1, v4
	v_xor_b32_e32 v4, s27, v3
	v_xor_b32_e32 v3, s26, v3
	v_lshlrev_b32_e32 v6, 27, v26
	v_and_b32_e32 v2, v2, v3
	v_cmp_gt_i64_e64 s[26:27], 0, v[5:6]
	v_not_b32_e32 v3, v6
	;; [unrolled: 8-line block ×5, first 2 shown]
	v_ashrrev_i32_e32 v2, 31, v2
	v_and_b32_e32 v1, v1, v4
	v_xor_b32_e32 v4, s27, v2
	v_xor_b32_e32 v6, s26, v2
	; wave barrier
	ds_read_b32 v42, v43 offset:32
	v_and_b32_e32 v2, v1, v4
	v_and_b32_e32 v1, v3, v6
	v_mbcnt_lo_u32_b32 v3, v1, 0
	v_mbcnt_hi_u32_b32 v44, v2, v3
	v_cmp_ne_u64_e64 s[26:27], 0, v[1:2]
	v_cmp_eq_u32_e64 s[28:29], 0, v44
	s_and_b64 s[28:29], s[26:27], s[28:29]
	; wave barrier
	s_and_saveexec_b64 s[26:27], s[28:29]
	s_cbranch_execz .LBB95_8
; %bb.7:                                ;   in Loop: Header=BB95_2 Depth=1
	v_bcnt_u32_b32 v1, v1, 0
	v_bcnt_u32_b32 v1, v2, v1
	s_waitcnt lgkmcnt(0)
	v_add_u32_e32 v1, v42, v1
	ds_write_b32 v43, v1 offset:32
.LBB95_8:                               ;   in Loop: Header=BB95_2 Depth=1
	s_or_b64 exec, exec, s[26:27]
	v_lshlrev_b32_sdwa v1, v20, v25 dst_sel:DWORD dst_unused:UNUSED_PAD src0_sel:DWORD src1_sel:BYTE_0
	v_add_u32_e32 v46, v17, v1
	v_and_b32_e32 v1, 1, v25
	v_add_co_u32_e64 v2, s[26:27], -1, v1
	v_addc_co_u32_e64 v3, s[26:27], 0, -1, s[26:27]
	v_cmp_ne_u32_e64 s[26:27], 0, v1
	v_lshlrev_b32_e32 v6, 30, v25
	v_xor_b32_e32 v1, s27, v3
	v_xor_b32_e32 v2, s26, v2
	v_cmp_gt_i64_e64 s[26:27], 0, v[5:6]
	v_not_b32_e32 v3, v6
	v_ashrrev_i32_e32 v3, 31, v3
	v_and_b32_e32 v2, exec_lo, v2
	v_xor_b32_e32 v4, s27, v3
	v_xor_b32_e32 v3, s26, v3
	v_lshlrev_b32_e32 v6, 29, v25
	v_and_b32_e32 v2, v2, v3
	v_cmp_gt_i64_e64 s[26:27], 0, v[5:6]
	v_not_b32_e32 v3, v6
	v_and_b32_e32 v1, exec_hi, v1
	v_ashrrev_i32_e32 v3, 31, v3
	v_and_b32_e32 v1, v1, v4
	v_xor_b32_e32 v4, s27, v3
	v_xor_b32_e32 v3, s26, v3
	v_lshlrev_b32_e32 v6, 28, v25
	v_and_b32_e32 v2, v2, v3
	v_cmp_gt_i64_e64 s[26:27], 0, v[5:6]
	v_not_b32_e32 v3, v6
	v_ashrrev_i32_e32 v3, 31, v3
	v_and_b32_e32 v1, v1, v4
	v_xor_b32_e32 v4, s27, v3
	v_xor_b32_e32 v3, s26, v3
	v_lshlrev_b32_e32 v6, 27, v25
	v_and_b32_e32 v2, v2, v3
	v_cmp_gt_i64_e64 s[26:27], 0, v[5:6]
	v_not_b32_e32 v3, v6
	;; [unrolled: 8-line block ×5, first 2 shown]
	v_ashrrev_i32_e32 v2, 31, v2
	v_and_b32_e32 v1, v1, v4
	v_xor_b32_e32 v4, s27, v2
	v_xor_b32_e32 v6, s26, v2
	; wave barrier
	ds_read_b32 v45, v46 offset:32
	v_and_b32_e32 v2, v1, v4
	v_and_b32_e32 v1, v3, v6
	v_mbcnt_lo_u32_b32 v3, v1, 0
	v_mbcnt_hi_u32_b32 v47, v2, v3
	v_cmp_ne_u64_e64 s[26:27], 0, v[1:2]
	v_cmp_eq_u32_e64 s[28:29], 0, v47
	s_and_b64 s[28:29], s[26:27], s[28:29]
	; wave barrier
	s_and_saveexec_b64 s[26:27], s[28:29]
	s_cbranch_execz .LBB95_10
; %bb.9:                                ;   in Loop: Header=BB95_2 Depth=1
	v_bcnt_u32_b32 v1, v1, 0
	v_bcnt_u32_b32 v1, v2, v1
	s_waitcnt lgkmcnt(0)
	v_add_u32_e32 v1, v45, v1
	ds_write_b32 v46, v1 offset:32
.LBB95_10:                              ;   in Loop: Header=BB95_2 Depth=1
	s_or_b64 exec, exec, s[26:27]
	v_lshlrev_b32_sdwa v1, v20, v24 dst_sel:DWORD dst_unused:UNUSED_PAD src0_sel:DWORD src1_sel:BYTE_0
	v_add_u32_e32 v49, v17, v1
	v_and_b32_e32 v1, 1, v24
	v_add_co_u32_e64 v2, s[26:27], -1, v1
	v_addc_co_u32_e64 v3, s[26:27], 0, -1, s[26:27]
	v_cmp_ne_u32_e64 s[26:27], 0, v1
	v_lshlrev_b32_e32 v6, 30, v24
	v_xor_b32_e32 v1, s27, v3
	v_xor_b32_e32 v2, s26, v2
	v_cmp_gt_i64_e64 s[26:27], 0, v[5:6]
	v_not_b32_e32 v3, v6
	v_ashrrev_i32_e32 v3, 31, v3
	v_and_b32_e32 v2, exec_lo, v2
	v_xor_b32_e32 v4, s27, v3
	v_xor_b32_e32 v3, s26, v3
	v_lshlrev_b32_e32 v6, 29, v24
	v_and_b32_e32 v2, v2, v3
	v_cmp_gt_i64_e64 s[26:27], 0, v[5:6]
	v_not_b32_e32 v3, v6
	v_and_b32_e32 v1, exec_hi, v1
	v_ashrrev_i32_e32 v3, 31, v3
	v_and_b32_e32 v1, v1, v4
	v_xor_b32_e32 v4, s27, v3
	v_xor_b32_e32 v3, s26, v3
	v_lshlrev_b32_e32 v6, 28, v24
	v_and_b32_e32 v2, v2, v3
	v_cmp_gt_i64_e64 s[26:27], 0, v[5:6]
	v_not_b32_e32 v3, v6
	v_ashrrev_i32_e32 v3, 31, v3
	v_and_b32_e32 v1, v1, v4
	v_xor_b32_e32 v4, s27, v3
	v_xor_b32_e32 v3, s26, v3
	v_lshlrev_b32_e32 v6, 27, v24
	v_and_b32_e32 v2, v2, v3
	v_cmp_gt_i64_e64 s[26:27], 0, v[5:6]
	v_not_b32_e32 v3, v6
	;; [unrolled: 8-line block ×5, first 2 shown]
	v_ashrrev_i32_e32 v2, 31, v2
	v_and_b32_e32 v1, v1, v4
	v_xor_b32_e32 v4, s27, v2
	v_xor_b32_e32 v6, s26, v2
	; wave barrier
	ds_read_b32 v48, v49 offset:32
	v_and_b32_e32 v2, v1, v4
	v_and_b32_e32 v1, v3, v6
	v_mbcnt_lo_u32_b32 v3, v1, 0
	v_mbcnt_hi_u32_b32 v50, v2, v3
	v_cmp_ne_u64_e64 s[26:27], 0, v[1:2]
	v_cmp_eq_u32_e64 s[28:29], 0, v50
	s_and_b64 s[28:29], s[26:27], s[28:29]
	; wave barrier
	s_and_saveexec_b64 s[26:27], s[28:29]
	s_cbranch_execz .LBB95_12
; %bb.11:                               ;   in Loop: Header=BB95_2 Depth=1
	v_bcnt_u32_b32 v1, v1, 0
	v_bcnt_u32_b32 v1, v2, v1
	s_waitcnt lgkmcnt(0)
	v_add_u32_e32 v1, v48, v1
	ds_write_b32 v49, v1 offset:32
.LBB95_12:                              ;   in Loop: Header=BB95_2 Depth=1
	s_or_b64 exec, exec, s[26:27]
	v_lshlrev_b32_sdwa v1, v20, v23 dst_sel:DWORD dst_unused:UNUSED_PAD src0_sel:DWORD src1_sel:BYTE_0
	v_add_u32_e32 v52, v17, v1
	v_and_b32_e32 v1, 1, v23
	v_add_co_u32_e64 v2, s[26:27], -1, v1
	v_addc_co_u32_e64 v3, s[26:27], 0, -1, s[26:27]
	v_cmp_ne_u32_e64 s[26:27], 0, v1
	v_lshlrev_b32_e32 v6, 30, v23
	v_xor_b32_e32 v1, s27, v3
	v_xor_b32_e32 v2, s26, v2
	v_cmp_gt_i64_e64 s[26:27], 0, v[5:6]
	v_not_b32_e32 v3, v6
	v_ashrrev_i32_e32 v3, 31, v3
	v_and_b32_e32 v2, exec_lo, v2
	v_xor_b32_e32 v4, s27, v3
	v_xor_b32_e32 v3, s26, v3
	v_lshlrev_b32_e32 v6, 29, v23
	v_and_b32_e32 v2, v2, v3
	v_cmp_gt_i64_e64 s[26:27], 0, v[5:6]
	v_not_b32_e32 v3, v6
	v_and_b32_e32 v1, exec_hi, v1
	v_ashrrev_i32_e32 v3, 31, v3
	v_and_b32_e32 v1, v1, v4
	v_xor_b32_e32 v4, s27, v3
	v_xor_b32_e32 v3, s26, v3
	v_lshlrev_b32_e32 v6, 28, v23
	v_and_b32_e32 v2, v2, v3
	v_cmp_gt_i64_e64 s[26:27], 0, v[5:6]
	v_not_b32_e32 v3, v6
	v_ashrrev_i32_e32 v3, 31, v3
	v_and_b32_e32 v1, v1, v4
	v_xor_b32_e32 v4, s27, v3
	v_xor_b32_e32 v3, s26, v3
	v_lshlrev_b32_e32 v6, 27, v23
	v_and_b32_e32 v2, v2, v3
	v_cmp_gt_i64_e64 s[26:27], 0, v[5:6]
	v_not_b32_e32 v3, v6
	v_ashrrev_i32_e32 v3, 31, v3
	v_and_b32_e32 v1, v1, v4
	v_xor_b32_e32 v4, s27, v3
	v_xor_b32_e32 v3, s26, v3
	v_lshlrev_b32_e32 v6, 26, v23
	v_and_b32_e32 v2, v2, v3
	v_cmp_gt_i64_e64 s[26:27], 0, v[5:6]
	v_not_b32_e32 v3, v6
	v_ashrrev_i32_e32 v3, 31, v3
	v_and_b32_e32 v1, v1, v4
	v_xor_b32_e32 v4, s27, v3
	v_xor_b32_e32 v3, s26, v3
	v_lshlrev_b32_e32 v6, 25, v23
	v_and_b32_e32 v2, v2, v3
	v_cmp_gt_i64_e64 s[26:27], 0, v[5:6]
	v_not_b32_e32 v3, v6
	v_ashrrev_i32_e32 v3, 31, v3
	v_and_b32_e32 v1, v1, v4
	v_xor_b32_e32 v4, s27, v3
	v_xor_b32_e32 v3, s26, v3
	v_lshlrev_b32_e32 v6, 24, v23
	v_and_b32_e32 v3, v2, v3
	v_cmp_gt_i64_e64 s[26:27], 0, v[5:6]
	v_not_b32_e32 v2, v6
	v_ashrrev_i32_e32 v2, 31, v2
	v_and_b32_e32 v1, v1, v4
	v_xor_b32_e32 v4, s27, v2
	v_xor_b32_e32 v6, s26, v2
	; wave barrier
	ds_read_b32 v51, v52 offset:32
	v_and_b32_e32 v2, v1, v4
	v_and_b32_e32 v1, v3, v6
	v_mbcnt_lo_u32_b32 v3, v1, 0
	v_mbcnt_hi_u32_b32 v53, v2, v3
	v_cmp_ne_u64_e64 s[26:27], 0, v[1:2]
	v_cmp_eq_u32_e64 s[28:29], 0, v53
	s_and_b64 s[28:29], s[26:27], s[28:29]
	; wave barrier
	s_and_saveexec_b64 s[26:27], s[28:29]
	s_cbranch_execz .LBB95_14
; %bb.13:                               ;   in Loop: Header=BB95_2 Depth=1
	v_bcnt_u32_b32 v1, v1, 0
	v_bcnt_u32_b32 v1, v2, v1
	s_waitcnt lgkmcnt(0)
	v_add_u32_e32 v1, v51, v1
	ds_write_b32 v52, v1 offset:32
.LBB95_14:                              ;   in Loop: Header=BB95_2 Depth=1
	s_or_b64 exec, exec, s[26:27]
	v_lshlrev_b32_sdwa v1, v20, v22 dst_sel:DWORD dst_unused:UNUSED_PAD src0_sel:DWORD src1_sel:BYTE_0
	v_add_u32_e32 v55, v17, v1
	v_and_b32_e32 v1, 1, v22
	v_add_co_u32_e64 v2, s[26:27], -1, v1
	v_addc_co_u32_e64 v3, s[26:27], 0, -1, s[26:27]
	v_cmp_ne_u32_e64 s[26:27], 0, v1
	v_lshlrev_b32_e32 v6, 30, v22
	v_xor_b32_e32 v1, s27, v3
	v_xor_b32_e32 v2, s26, v2
	v_cmp_gt_i64_e64 s[26:27], 0, v[5:6]
	v_not_b32_e32 v3, v6
	v_ashrrev_i32_e32 v3, 31, v3
	v_and_b32_e32 v2, exec_lo, v2
	v_xor_b32_e32 v4, s27, v3
	v_xor_b32_e32 v3, s26, v3
	v_lshlrev_b32_e32 v6, 29, v22
	v_and_b32_e32 v2, v2, v3
	v_cmp_gt_i64_e64 s[26:27], 0, v[5:6]
	v_not_b32_e32 v3, v6
	v_and_b32_e32 v1, exec_hi, v1
	v_ashrrev_i32_e32 v3, 31, v3
	v_and_b32_e32 v1, v1, v4
	v_xor_b32_e32 v4, s27, v3
	v_xor_b32_e32 v3, s26, v3
	v_lshlrev_b32_e32 v6, 28, v22
	v_and_b32_e32 v2, v2, v3
	v_cmp_gt_i64_e64 s[26:27], 0, v[5:6]
	v_not_b32_e32 v3, v6
	v_ashrrev_i32_e32 v3, 31, v3
	v_and_b32_e32 v1, v1, v4
	v_xor_b32_e32 v4, s27, v3
	v_xor_b32_e32 v3, s26, v3
	v_lshlrev_b32_e32 v6, 27, v22
	v_and_b32_e32 v2, v2, v3
	v_cmp_gt_i64_e64 s[26:27], 0, v[5:6]
	v_not_b32_e32 v3, v6
	;; [unrolled: 8-line block ×5, first 2 shown]
	v_ashrrev_i32_e32 v2, 31, v2
	v_and_b32_e32 v1, v1, v4
	v_xor_b32_e32 v4, s27, v2
	v_xor_b32_e32 v6, s26, v2
	; wave barrier
	ds_read_b32 v54, v55 offset:32
	v_and_b32_e32 v2, v1, v4
	v_and_b32_e32 v1, v3, v6
	v_mbcnt_lo_u32_b32 v3, v1, 0
	v_mbcnt_hi_u32_b32 v56, v2, v3
	v_cmp_ne_u64_e64 s[26:27], 0, v[1:2]
	v_cmp_eq_u32_e64 s[28:29], 0, v56
	s_and_b64 s[28:29], s[26:27], s[28:29]
	; wave barrier
	s_and_saveexec_b64 s[26:27], s[28:29]
	s_cbranch_execz .LBB95_16
; %bb.15:                               ;   in Loop: Header=BB95_2 Depth=1
	v_bcnt_u32_b32 v1, v1, 0
	v_bcnt_u32_b32 v1, v2, v1
	s_waitcnt lgkmcnt(0)
	v_add_u32_e32 v1, v54, v1
	ds_write_b32 v55, v1 offset:32
.LBB95_16:                              ;   in Loop: Header=BB95_2 Depth=1
	s_or_b64 exec, exec, s[26:27]
	v_lshlrev_b32_sdwa v1, v20, v21 dst_sel:DWORD dst_unused:UNUSED_PAD src0_sel:DWORD src1_sel:BYTE_0
	v_add_u32_e32 v58, v17, v1
	v_and_b32_e32 v1, 1, v21
	v_add_co_u32_e64 v2, s[26:27], -1, v1
	v_addc_co_u32_e64 v3, s[26:27], 0, -1, s[26:27]
	v_cmp_ne_u32_e64 s[26:27], 0, v1
	v_lshlrev_b32_e32 v6, 30, v21
	v_xor_b32_e32 v1, s27, v3
	v_xor_b32_e32 v2, s26, v2
	v_cmp_gt_i64_e64 s[26:27], 0, v[5:6]
	v_not_b32_e32 v3, v6
	v_ashrrev_i32_e32 v3, 31, v3
	v_and_b32_e32 v2, exec_lo, v2
	v_xor_b32_e32 v4, s27, v3
	v_xor_b32_e32 v3, s26, v3
	v_lshlrev_b32_e32 v6, 29, v21
	v_and_b32_e32 v2, v2, v3
	v_cmp_gt_i64_e64 s[26:27], 0, v[5:6]
	v_not_b32_e32 v3, v6
	v_and_b32_e32 v1, exec_hi, v1
	v_ashrrev_i32_e32 v3, 31, v3
	v_and_b32_e32 v1, v1, v4
	v_xor_b32_e32 v4, s27, v3
	v_xor_b32_e32 v3, s26, v3
	v_lshlrev_b32_e32 v6, 28, v21
	v_and_b32_e32 v2, v2, v3
	v_cmp_gt_i64_e64 s[26:27], 0, v[5:6]
	v_not_b32_e32 v3, v6
	v_ashrrev_i32_e32 v3, 31, v3
	v_and_b32_e32 v1, v1, v4
	v_xor_b32_e32 v4, s27, v3
	v_xor_b32_e32 v3, s26, v3
	v_lshlrev_b32_e32 v6, 27, v21
	v_and_b32_e32 v2, v2, v3
	v_cmp_gt_i64_e64 s[26:27], 0, v[5:6]
	v_not_b32_e32 v3, v6
	;; [unrolled: 8-line block ×5, first 2 shown]
	v_ashrrev_i32_e32 v2, 31, v2
	v_and_b32_e32 v1, v1, v4
	v_xor_b32_e32 v4, s27, v2
	v_xor_b32_e32 v6, s26, v2
	; wave barrier
	ds_read_b32 v57, v58 offset:32
	v_and_b32_e32 v2, v1, v4
	v_and_b32_e32 v1, v3, v6
	v_mbcnt_lo_u32_b32 v3, v1, 0
	v_mbcnt_hi_u32_b32 v6, v2, v3
	v_cmp_ne_u64_e64 s[26:27], 0, v[1:2]
	v_cmp_eq_u32_e64 s[28:29], 0, v6
	s_and_b64 s[28:29], s[26:27], s[28:29]
	; wave barrier
	s_and_saveexec_b64 s[26:27], s[28:29]
	s_cbranch_execz .LBB95_18
; %bb.17:                               ;   in Loop: Header=BB95_2 Depth=1
	v_bcnt_u32_b32 v1, v1, 0
	v_bcnt_u32_b32 v1, v2, v1
	s_waitcnt lgkmcnt(0)
	v_add_u32_e32 v1, v57, v1
	ds_write_b32 v58, v1 offset:32
.LBB95_18:                              ;   in Loop: Header=BB95_2 Depth=1
	s_or_b64 exec, exec, s[26:27]
	; wave barrier
	s_waitcnt lgkmcnt(0)
	s_barrier
	ds_read2_b64 v[1:4], v11 offset0:4 offset1:5
	s_waitcnt lgkmcnt(0)
	v_add_u32_e32 v59, v2, v1
	v_add3_u32 v4, v59, v3, v4
	s_nop 1
	v_mov_b32_dpp v59, v4 row_shr:1 row_mask:0xf bank_mask:0xf
	v_cndmask_b32_e64 v59, v59, 0, s[8:9]
	v_add_u32_e32 v4, v59, v4
	s_nop 1
	v_mov_b32_dpp v59, v4 row_shr:2 row_mask:0xf bank_mask:0xf
	v_cndmask_b32_e64 v59, 0, v59, s[10:11]
	v_add_u32_e32 v4, v4, v59
	;; [unrolled: 4-line block ×4, first 2 shown]
	s_nop 1
	v_mov_b32_dpp v59, v4 row_bcast:15 row_mask:0xf bank_mask:0xf
	v_cndmask_b32_e64 v59, v59, 0, s[16:17]
	v_add_u32_e32 v4, v4, v59
	s_nop 1
	v_mov_b32_dpp v59, v4 row_bcast:31 row_mask:0xf bank_mask:0xf
	v_cndmask_b32_e64 v59, 0, v59, s[6:7]
	v_add_u32_e32 v4, v4, v59
	s_and_saveexec_b64 s[26:27], s[18:19]
; %bb.19:                               ;   in Loop: Header=BB95_2 Depth=1
	ds_write_b32 v14, v4
; %bb.20:                               ;   in Loop: Header=BB95_2 Depth=1
	s_or_b64 exec, exec, s[26:27]
	s_waitcnt lgkmcnt(0)
	s_barrier
	s_and_saveexec_b64 s[26:27], vcc
	s_cbranch_execz .LBB95_22
; %bb.21:                               ;   in Loop: Header=BB95_2 Depth=1
	ds_read_b32 v59, v19
	s_waitcnt lgkmcnt(0)
	s_nop 0
	v_mov_b32_dpp v60, v59 row_shr:1 row_mask:0xf bank_mask:0xf
	v_cndmask_b32_e64 v60, v60, 0, s[20:21]
	v_add_u32_e32 v59, v60, v59
	s_nop 1
	v_mov_b32_dpp v60, v59 row_shr:2 row_mask:0xf bank_mask:0xf
	v_cndmask_b32_e64 v60, 0, v60, s[22:23]
	v_add_u32_e32 v59, v59, v60
	;; [unrolled: 4-line block ×3, first 2 shown]
	ds_write_b32 v19, v59
.LBB95_22:                              ;   in Loop: Header=BB95_2 Depth=1
	s_or_b64 exec, exec, s[26:27]
	v_mov_b32_e32 v59, 0
	s_waitcnt lgkmcnt(0)
	s_barrier
	s_and_saveexec_b64 s[26:27], s[0:1]
	s_cbranch_execz .LBB95_1
; %bb.23:                               ;   in Loop: Header=BB95_2 Depth=1
	ds_read_b32 v59, v15
	s_branch .LBB95_1
.LBB95_24:
	v_lshrrev_b32_e32 v6, 8, v3
	s_waitcnt lgkmcnt(0)
	v_lshrrev_b32_e32 v7, 8, v1
	s_add_u32 s0, s30, s33
	v_add_u16_e32 v5, v3, v1
	v_add_u16_e32 v6, v6, v7
	v_add_u16_sdwa v7, v3, v1 dst_sel:DWORD dst_unused:UNUSED_PAD src0_sel:WORD_1 src1_sel:WORD_1
	v_add_u16_sdwa v3, v3, v1 dst_sel:DWORD dst_unused:UNUSED_PAD src0_sel:BYTE_3 src1_sel:BYTE_3
	v_lshrrev_b32_e32 v1, 8, v4
	v_lshrrev_b32_e32 v9, 8, v2
	s_addc_u32 s1, s31, 0
	v_add_u16_e32 v9, v1, v9
	v_mov_b32_e32 v1, s1
	v_add_co_u32_e32 v0, vcc, s0, v0
	v_addc_co_u32_e32 v1, vcc, 0, v1, vcc
	v_add_u16_e32 v8, v4, v2
	v_add_u16_sdwa v10, v4, v2 dst_sel:DWORD dst_unused:UNUSED_PAD src0_sel:WORD_1 src1_sel:WORD_1
	v_add_u16_sdwa v2, v4, v2 dst_sel:DWORD dst_unused:UNUSED_PAD src0_sel:BYTE_3 src1_sel:BYTE_3
	global_store_byte v[0:1], v5, off
	global_store_byte v[0:1], v6, off offset:512
	global_store_byte v[0:1], v7, off offset:1024
	;; [unrolled: 1-line block ×7, first 2 shown]
	s_endpgm
	.section	.rodata,"a",@progbits
	.p2align	6, 0x0
	.amdhsa_kernel _Z17sort_pairs_kernelI22helper_blocked_blockedaLj512ELj8ELj10EEvPKT0_PS1_
		.amdhsa_group_segment_fixed_size 8224
		.amdhsa_private_segment_fixed_size 0
		.amdhsa_kernarg_size 272
		.amdhsa_user_sgpr_count 6
		.amdhsa_user_sgpr_private_segment_buffer 1
		.amdhsa_user_sgpr_dispatch_ptr 0
		.amdhsa_user_sgpr_queue_ptr 0
		.amdhsa_user_sgpr_kernarg_segment_ptr 1
		.amdhsa_user_sgpr_dispatch_id 0
		.amdhsa_user_sgpr_flat_scratch_init 0
		.amdhsa_user_sgpr_private_segment_size 0
		.amdhsa_uses_dynamic_stack 0
		.amdhsa_system_sgpr_private_segment_wavefront_offset 0
		.amdhsa_system_sgpr_workgroup_id_x 1
		.amdhsa_system_sgpr_workgroup_id_y 0
		.amdhsa_system_sgpr_workgroup_id_z 0
		.amdhsa_system_sgpr_workgroup_info 0
		.amdhsa_system_vgpr_workitem_id 2
		.amdhsa_next_free_vgpr 61
		.amdhsa_next_free_sgpr 38
		.amdhsa_reserve_vcc 1
		.amdhsa_reserve_flat_scratch 0
		.amdhsa_float_round_mode_32 0
		.amdhsa_float_round_mode_16_64 0
		.amdhsa_float_denorm_mode_32 3
		.amdhsa_float_denorm_mode_16_64 3
		.amdhsa_dx10_clamp 1
		.amdhsa_ieee_mode 1
		.amdhsa_fp16_overflow 0
		.amdhsa_exception_fp_ieee_invalid_op 0
		.amdhsa_exception_fp_denorm_src 0
		.amdhsa_exception_fp_ieee_div_zero 0
		.amdhsa_exception_fp_ieee_overflow 0
		.amdhsa_exception_fp_ieee_underflow 0
		.amdhsa_exception_fp_ieee_inexact 0
		.amdhsa_exception_int_div_zero 0
	.end_amdhsa_kernel
	.section	.text._Z17sort_pairs_kernelI22helper_blocked_blockedaLj512ELj8ELj10EEvPKT0_PS1_,"axG",@progbits,_Z17sort_pairs_kernelI22helper_blocked_blockedaLj512ELj8ELj10EEvPKT0_PS1_,comdat
.Lfunc_end95:
	.size	_Z17sort_pairs_kernelI22helper_blocked_blockedaLj512ELj8ELj10EEvPKT0_PS1_, .Lfunc_end95-_Z17sort_pairs_kernelI22helper_blocked_blockedaLj512ELj8ELj10EEvPKT0_PS1_
                                        ; -- End function
	.set _Z17sort_pairs_kernelI22helper_blocked_blockedaLj512ELj8ELj10EEvPKT0_PS1_.num_vgpr, 61
	.set _Z17sort_pairs_kernelI22helper_blocked_blockedaLj512ELj8ELj10EEvPKT0_PS1_.num_agpr, 0
	.set _Z17sort_pairs_kernelI22helper_blocked_blockedaLj512ELj8ELj10EEvPKT0_PS1_.numbered_sgpr, 38
	.set _Z17sort_pairs_kernelI22helper_blocked_blockedaLj512ELj8ELj10EEvPKT0_PS1_.num_named_barrier, 0
	.set _Z17sort_pairs_kernelI22helper_blocked_blockedaLj512ELj8ELj10EEvPKT0_PS1_.private_seg_size, 0
	.set _Z17sort_pairs_kernelI22helper_blocked_blockedaLj512ELj8ELj10EEvPKT0_PS1_.uses_vcc, 1
	.set _Z17sort_pairs_kernelI22helper_blocked_blockedaLj512ELj8ELj10EEvPKT0_PS1_.uses_flat_scratch, 0
	.set _Z17sort_pairs_kernelI22helper_blocked_blockedaLj512ELj8ELj10EEvPKT0_PS1_.has_dyn_sized_stack, 0
	.set _Z17sort_pairs_kernelI22helper_blocked_blockedaLj512ELj8ELj10EEvPKT0_PS1_.has_recursion, 0
	.set _Z17sort_pairs_kernelI22helper_blocked_blockedaLj512ELj8ELj10EEvPKT0_PS1_.has_indirect_call, 0
	.section	.AMDGPU.csdata,"",@progbits
; Kernel info:
; codeLenInByte = 5084
; TotalNumSgprs: 42
; NumVgprs: 61
; ScratchSize: 0
; MemoryBound: 0
; FloatMode: 240
; IeeeMode: 1
; LDSByteSize: 8224 bytes/workgroup (compile time only)
; SGPRBlocks: 5
; VGPRBlocks: 15
; NumSGPRsForWavesPerEU: 42
; NumVGPRsForWavesPerEU: 61
; Occupancy: 4
; WaveLimiterHint : 1
; COMPUTE_PGM_RSRC2:SCRATCH_EN: 0
; COMPUTE_PGM_RSRC2:USER_SGPR: 6
; COMPUTE_PGM_RSRC2:TRAP_HANDLER: 0
; COMPUTE_PGM_RSRC2:TGID_X_EN: 1
; COMPUTE_PGM_RSRC2:TGID_Y_EN: 0
; COMPUTE_PGM_RSRC2:TGID_Z_EN: 0
; COMPUTE_PGM_RSRC2:TIDIG_COMP_CNT: 2
	.section	.text._Z16sort_keys_kernelI22helper_blocked_blockedxLj64ELj1ELj10EEvPKT0_PS1_,"axG",@progbits,_Z16sort_keys_kernelI22helper_blocked_blockedxLj64ELj1ELj10EEvPKT0_PS1_,comdat
	.protected	_Z16sort_keys_kernelI22helper_blocked_blockedxLj64ELj1ELj10EEvPKT0_PS1_ ; -- Begin function _Z16sort_keys_kernelI22helper_blocked_blockedxLj64ELj1ELj10EEvPKT0_PS1_
	.globl	_Z16sort_keys_kernelI22helper_blocked_blockedxLj64ELj1ELj10EEvPKT0_PS1_
	.p2align	8
	.type	_Z16sort_keys_kernelI22helper_blocked_blockedxLj64ELj1ELj10EEvPKT0_PS1_,@function
_Z16sort_keys_kernelI22helper_blocked_blockedxLj64ELj1ELj10EEvPKT0_PS1_: ; @_Z16sort_keys_kernelI22helper_blocked_blockedxLj64ELj1ELj10EEvPKT0_PS1_
; %bb.0:
	s_load_dwordx4 s[16:19], s[4:5], 0x0
	s_load_dword s24, s[4:5], 0x1c
	s_lshl_b32 s22, s6, 6
	s_mov_b32 s23, 0
	s_lshl_b64 s[20:21], s[22:23], 3
	s_waitcnt lgkmcnt(0)
	s_add_u32 s0, s16, s20
	s_addc_u32 s1, s17, s21
	v_lshlrev_b32_e32 v4, 3, v0
	global_load_dwordx2 v[7:8], v4, s[0:1]
	v_mbcnt_lo_u32_b32 v5, -1, 0
	v_mbcnt_hi_u32_b32 v5, -1, v5
	s_lshr_b32 s22, s24, 16
	v_subrev_co_u32_e64 v10, s[14:15], 1, v5
	v_and_b32_e32 v13, 64, v5
	s_and_b32 s24, s24, 0xffff
	v_mad_u32_u24 v1, v2, s22, v1
	v_cmp_lt_i32_e64 s[16:17], v10, v13
	v_mad_u32_u24 v1, v1, s24, v0
	v_lshlrev_b32_e32 v11, 4, v0
	v_cmp_eq_u32_e32 vcc, 0, v0
	v_and_b32_e32 v6, 15, v5
	v_and_b32_e32 v9, 16, v5
	v_cmp_lt_u32_e64 s[2:3], 31, v5
	v_lshlrev_b32_e32 v12, 3, v5
	v_sub_u32_e32 v4, 0, v4
	v_cndmask_b32_e64 v5, v10, v5, s[16:17]
	v_lshrrev_b32_e32 v1, 4, v1
	v_mov_b32_e32 v3, 0
	v_cmp_eq_u32_e64 s[0:1], 63, v0
	v_cmp_eq_u32_e64 s[4:5], 0, v6
	v_cmp_lt_u32_e64 s[6:7], 1, v6
	v_cmp_lt_u32_e64 s[8:9], 3, v6
	;; [unrolled: 1-line block ×3, first 2 shown]
	v_cmp_eq_u32_e64 s[12:13], 0, v9
	v_lshlrev_b32_e32 v13, 2, v5
	s_or_b64 s[16:17], vcc, s[14:15]
	v_and_b32_e32 v14, 0xffffffc, v1
	v_add_u32_e32 v15, v11, v4
	s_waitcnt vmcnt(0)
	v_xor_b32_e32 v8, 0x80000000, v8
	s_branch .LBB96_2
.LBB96_1:                               ;   in Loop: Header=BB96_2 Depth=1
	v_lshlrev_b32_e32 v1, 3, v4
	; wave barrier
	ds_write_b64 v1, v[5:6]
	s_waitcnt lgkmcnt(0)
	; wave barrier
	ds_read_b64 v[7:8], v15
	s_add_i32 s23, s23, 1
	s_cmp_eq_u32 s23, 10
	s_cbranch_scc1 .LBB96_10
.LBB96_2:                               ; =>This Loop Header: Depth=1
                                        ;     Child Loop BB96_4 Depth 2
	v_mov_b32_e32 v1, 0
	v_mov_b32_e32 v2, 0
	s_branch .LBB96_4
.LBB96_3:                               ;   in Loop: Header=BB96_4 Depth=2
	s_andn2_b64 vcc, exec, s[14:15]
	s_cbranch_vccz .LBB96_1
.LBB96_4:                               ;   Parent Loop BB96_2 Depth=1
                                        ; =>  This Inner Loop Header: Depth=2
	s_waitcnt lgkmcnt(0)
	v_mov_b32_e32 v5, v7
	v_mov_b32_e32 v6, v8
	v_lshrrev_b64 v[7:8], v1, v[5:6]
	ds_write2_b32 v11, v3, v3 offset0:1 offset1:2
	ds_write2_b32 v11, v3, v3 offset0:3 offset1:4
	v_and_b32_e32 v4, 0xff, v7
	v_lshl_add_u32 v16, v4, 2, v14
	v_and_b32_e32 v4, 1, v7
	v_add_co_u32_e32 v8, vcc, -1, v4
	v_addc_co_u32_e64 v9, s[14:15], 0, -1, vcc
	v_cmp_ne_u32_e32 vcc, 0, v4
	v_xor_b32_e32 v4, vcc_hi, v9
	v_and_b32_e32 v9, exec_hi, v4
	v_lshlrev_b32_e32 v4, 30, v7
	v_xor_b32_e32 v8, vcc_lo, v8
	v_cmp_gt_i64_e32 vcc, 0, v[3:4]
	v_not_b32_e32 v4, v4
	v_ashrrev_i32_e32 v4, 31, v4
	v_and_b32_e32 v8, exec_lo, v8
	v_xor_b32_e32 v10, vcc_hi, v4
	v_xor_b32_e32 v4, vcc_lo, v4
	v_and_b32_e32 v8, v8, v4
	v_lshlrev_b32_e32 v4, 29, v7
	v_cmp_gt_i64_e32 vcc, 0, v[3:4]
	v_not_b32_e32 v4, v4
	v_ashrrev_i32_e32 v4, 31, v4
	v_and_b32_e32 v9, v9, v10
	v_xor_b32_e32 v10, vcc_hi, v4
	v_xor_b32_e32 v4, vcc_lo, v4
	v_and_b32_e32 v8, v8, v4
	v_lshlrev_b32_e32 v4, 28, v7
	v_cmp_gt_i64_e32 vcc, 0, v[3:4]
	v_not_b32_e32 v4, v4
	v_ashrrev_i32_e32 v4, 31, v4
	v_and_b32_e32 v9, v9, v10
	;; [unrolled: 8-line block ×5, first 2 shown]
	v_xor_b32_e32 v10, vcc_hi, v4
	v_xor_b32_e32 v4, vcc_lo, v4
	v_and_b32_e32 v9, v9, v10
	v_and_b32_e32 v10, v8, v4
	v_lshlrev_b32_e32 v4, 24, v7
	v_cmp_gt_i64_e32 vcc, 0, v[3:4]
	v_not_b32_e32 v4, v4
	v_ashrrev_i32_e32 v4, 31, v4
	v_xor_b32_e32 v7, vcc_hi, v4
	v_xor_b32_e32 v4, vcc_lo, v4
	v_and_b32_e32 v8, v9, v7
	v_and_b32_e32 v7, v10, v4
	v_mbcnt_lo_u32_b32 v4, v7, 0
	v_mbcnt_hi_u32_b32 v4, v8, v4
	v_cmp_ne_u64_e32 vcc, 0, v[7:8]
	v_cmp_eq_u32_e64 s[14:15], 0, v4
	s_and_b64 s[24:25], vcc, s[14:15]
	s_waitcnt lgkmcnt(0)
	; wave barrier
	; wave barrier
	s_and_saveexec_b64 s[14:15], s[24:25]
; %bb.5:                                ;   in Loop: Header=BB96_4 Depth=2
	v_bcnt_u32_b32 v7, v7, 0
	v_bcnt_u32_b32 v7, v8, v7
	ds_write_b32 v16, v7 offset:4
; %bb.6:                                ;   in Loop: Header=BB96_4 Depth=2
	s_or_b64 exec, exec, s[14:15]
	; wave barrier
	s_waitcnt lgkmcnt(0)
	; wave barrier
	ds_read2_b32 v[9:10], v11 offset0:1 offset1:2
	ds_read2_b32 v[7:8], v11 offset0:3 offset1:4
	s_waitcnt lgkmcnt(1)
	v_add_u32_e32 v17, v10, v9
	s_waitcnt lgkmcnt(0)
	v_add3_u32 v8, v17, v7, v8
	s_nop 1
	v_mov_b32_dpp v17, v8 row_shr:1 row_mask:0xf bank_mask:0xf
	v_cndmask_b32_e64 v17, v17, 0, s[4:5]
	v_add_u32_e32 v8, v17, v8
	s_nop 1
	v_mov_b32_dpp v17, v8 row_shr:2 row_mask:0xf bank_mask:0xf
	v_cndmask_b32_e64 v17, 0, v17, s[6:7]
	v_add_u32_e32 v8, v8, v17
	;; [unrolled: 4-line block ×4, first 2 shown]
	s_nop 1
	v_mov_b32_dpp v17, v8 row_bcast:15 row_mask:0xf bank_mask:0xf
	v_cndmask_b32_e64 v17, v17, 0, s[12:13]
	v_add_u32_e32 v8, v8, v17
	s_nop 1
	v_mov_b32_dpp v17, v8 row_bcast:31 row_mask:0xf bank_mask:0xf
	v_cndmask_b32_e64 v17, 0, v17, s[2:3]
	v_add_u32_e32 v8, v8, v17
	s_and_saveexec_b64 s[14:15], s[0:1]
; %bb.7:                                ;   in Loop: Header=BB96_4 Depth=2
	ds_write_b32 v3, v8
; %bb.8:                                ;   in Loop: Header=BB96_4 Depth=2
	s_or_b64 exec, exec, s[14:15]
	ds_bpermute_b32 v8, v13, v8
	s_waitcnt lgkmcnt(0)
	; wave barrier
	v_cmp_lt_u32_e32 vcc, 55, v1
	s_and_b64 vcc, exec, vcc
	v_cndmask_b32_e64 v8, v8, 0, s[16:17]
	v_add_u32_e32 v9, v8, v9
	v_add_u32_e32 v10, v9, v10
	v_add_u32_e32 v7, v10, v7
	ds_write2_b32 v11, v8, v9 offset0:1 offset1:2
	ds_write2_b32 v11, v10, v7 offset0:3 offset1:4
	s_waitcnt lgkmcnt(0)
	; wave barrier
	ds_read_b32 v7, v16 offset:4
	s_mov_b64 s[14:15], -1
	s_waitcnt lgkmcnt(0)
	v_add_u32_e32 v4, v7, v4
                                        ; implicit-def: $vgpr7_vgpr8
	s_cbranch_vccnz .LBB96_3
; %bb.9:                                ;   in Loop: Header=BB96_4 Depth=2
	v_lshlrev_b32_e32 v7, 3, v4
	; wave barrier
	ds_write_b64 v7, v[5:6]
	s_waitcnt lgkmcnt(0)
	; wave barrier
	ds_read_b64 v[7:8], v12
	v_add_co_u32_e32 v1, vcc, 8, v1
	v_addc_co_u32_e32 v2, vcc, 0, v2, vcc
	s_mov_b64 s[14:15], 0
	s_waitcnt lgkmcnt(0)
	; wave barrier
	s_branch .LBB96_3
.LBB96_10:
	s_add_u32 s0, s18, s20
	s_waitcnt lgkmcnt(0)
	v_xor_b32_e32 v8, 0x80000000, v8
	s_addc_u32 s1, s19, s21
	v_lshlrev_b32_e32 v0, 3, v0
	global_store_dwordx2 v0, v[7:8], s[0:1]
	s_endpgm
	.section	.rodata,"a",@progbits
	.p2align	6, 0x0
	.amdhsa_kernel _Z16sort_keys_kernelI22helper_blocked_blockedxLj64ELj1ELj10EEvPKT0_PS1_
		.amdhsa_group_segment_fixed_size 1040
		.amdhsa_private_segment_fixed_size 0
		.amdhsa_kernarg_size 272
		.amdhsa_user_sgpr_count 6
		.amdhsa_user_sgpr_private_segment_buffer 1
		.amdhsa_user_sgpr_dispatch_ptr 0
		.amdhsa_user_sgpr_queue_ptr 0
		.amdhsa_user_sgpr_kernarg_segment_ptr 1
		.amdhsa_user_sgpr_dispatch_id 0
		.amdhsa_user_sgpr_flat_scratch_init 0
		.amdhsa_user_sgpr_private_segment_size 0
		.amdhsa_uses_dynamic_stack 0
		.amdhsa_system_sgpr_private_segment_wavefront_offset 0
		.amdhsa_system_sgpr_workgroup_id_x 1
		.amdhsa_system_sgpr_workgroup_id_y 0
		.amdhsa_system_sgpr_workgroup_id_z 0
		.amdhsa_system_sgpr_workgroup_info 0
		.amdhsa_system_vgpr_workitem_id 2
		.amdhsa_next_free_vgpr 18
		.amdhsa_next_free_sgpr 26
		.amdhsa_reserve_vcc 1
		.amdhsa_reserve_flat_scratch 0
		.amdhsa_float_round_mode_32 0
		.amdhsa_float_round_mode_16_64 0
		.amdhsa_float_denorm_mode_32 3
		.amdhsa_float_denorm_mode_16_64 3
		.amdhsa_dx10_clamp 1
		.amdhsa_ieee_mode 1
		.amdhsa_fp16_overflow 0
		.amdhsa_exception_fp_ieee_invalid_op 0
		.amdhsa_exception_fp_denorm_src 0
		.amdhsa_exception_fp_ieee_div_zero 0
		.amdhsa_exception_fp_ieee_overflow 0
		.amdhsa_exception_fp_ieee_underflow 0
		.amdhsa_exception_fp_ieee_inexact 0
		.amdhsa_exception_int_div_zero 0
	.end_amdhsa_kernel
	.section	.text._Z16sort_keys_kernelI22helper_blocked_blockedxLj64ELj1ELj10EEvPKT0_PS1_,"axG",@progbits,_Z16sort_keys_kernelI22helper_blocked_blockedxLj64ELj1ELj10EEvPKT0_PS1_,comdat
.Lfunc_end96:
	.size	_Z16sort_keys_kernelI22helper_blocked_blockedxLj64ELj1ELj10EEvPKT0_PS1_, .Lfunc_end96-_Z16sort_keys_kernelI22helper_blocked_blockedxLj64ELj1ELj10EEvPKT0_PS1_
                                        ; -- End function
	.set _Z16sort_keys_kernelI22helper_blocked_blockedxLj64ELj1ELj10EEvPKT0_PS1_.num_vgpr, 18
	.set _Z16sort_keys_kernelI22helper_blocked_blockedxLj64ELj1ELj10EEvPKT0_PS1_.num_agpr, 0
	.set _Z16sort_keys_kernelI22helper_blocked_blockedxLj64ELj1ELj10EEvPKT0_PS1_.numbered_sgpr, 26
	.set _Z16sort_keys_kernelI22helper_blocked_blockedxLj64ELj1ELj10EEvPKT0_PS1_.num_named_barrier, 0
	.set _Z16sort_keys_kernelI22helper_blocked_blockedxLj64ELj1ELj10EEvPKT0_PS1_.private_seg_size, 0
	.set _Z16sort_keys_kernelI22helper_blocked_blockedxLj64ELj1ELj10EEvPKT0_PS1_.uses_vcc, 1
	.set _Z16sort_keys_kernelI22helper_blocked_blockedxLj64ELj1ELj10EEvPKT0_PS1_.uses_flat_scratch, 0
	.set _Z16sort_keys_kernelI22helper_blocked_blockedxLj64ELj1ELj10EEvPKT0_PS1_.has_dyn_sized_stack, 0
	.set _Z16sort_keys_kernelI22helper_blocked_blockedxLj64ELj1ELj10EEvPKT0_PS1_.has_recursion, 0
	.set _Z16sort_keys_kernelI22helper_blocked_blockedxLj64ELj1ELj10EEvPKT0_PS1_.has_indirect_call, 0
	.section	.AMDGPU.csdata,"",@progbits
; Kernel info:
; codeLenInByte = 1048
; TotalNumSgprs: 30
; NumVgprs: 18
; ScratchSize: 0
; MemoryBound: 0
; FloatMode: 240
; IeeeMode: 1
; LDSByteSize: 1040 bytes/workgroup (compile time only)
; SGPRBlocks: 3
; VGPRBlocks: 4
; NumSGPRsForWavesPerEU: 30
; NumVGPRsForWavesPerEU: 18
; Occupancy: 10
; WaveLimiterHint : 0
; COMPUTE_PGM_RSRC2:SCRATCH_EN: 0
; COMPUTE_PGM_RSRC2:USER_SGPR: 6
; COMPUTE_PGM_RSRC2:TRAP_HANDLER: 0
; COMPUTE_PGM_RSRC2:TGID_X_EN: 1
; COMPUTE_PGM_RSRC2:TGID_Y_EN: 0
; COMPUTE_PGM_RSRC2:TGID_Z_EN: 0
; COMPUTE_PGM_RSRC2:TIDIG_COMP_CNT: 2
	.section	.text._Z17sort_pairs_kernelI22helper_blocked_blockedxLj64ELj1ELj10EEvPKT0_PS1_,"axG",@progbits,_Z17sort_pairs_kernelI22helper_blocked_blockedxLj64ELj1ELj10EEvPKT0_PS1_,comdat
	.protected	_Z17sort_pairs_kernelI22helper_blocked_blockedxLj64ELj1ELj10EEvPKT0_PS1_ ; -- Begin function _Z17sort_pairs_kernelI22helper_blocked_blockedxLj64ELj1ELj10EEvPKT0_PS1_
	.globl	_Z17sort_pairs_kernelI22helper_blocked_blockedxLj64ELj1ELj10EEvPKT0_PS1_
	.p2align	8
	.type	_Z17sort_pairs_kernelI22helper_blocked_blockedxLj64ELj1ELj10EEvPKT0_PS1_,@function
_Z17sort_pairs_kernelI22helper_blocked_blockedxLj64ELj1ELj10EEvPKT0_PS1_: ; @_Z17sort_pairs_kernelI22helper_blocked_blockedxLj64ELj1ELj10EEvPKT0_PS1_
; %bb.0:
	s_load_dwordx4 s[16:19], s[4:5], 0x0
	s_load_dword s24, s[4:5], 0x1c
	s_lshl_b32 s22, s6, 6
	s_mov_b32 s23, 0
	s_lshl_b64 s[20:21], s[22:23], 3
	s_waitcnt lgkmcnt(0)
	s_add_u32 s0, s16, s20
	s_addc_u32 s1, s17, s21
	v_lshlrev_b32_e32 v4, 3, v0
	global_load_dwordx2 v[9:10], v4, s[0:1]
	v_mbcnt_lo_u32_b32 v5, -1, 0
	v_mbcnt_hi_u32_b32 v5, -1, v5
	s_lshr_b32 s22, s24, 16
	v_subrev_co_u32_e64 v8, s[14:15], 1, v5
	v_and_b32_e32 v11, 64, v5
	s_and_b32 s24, s24, 0xffff
	v_mad_u32_u24 v1, v2, s22, v1
	v_cmp_eq_u32_e32 vcc, 0, v0
	v_cmp_lt_i32_e64 s[16:17], v8, v11
	v_mad_u32_u24 v1, v1, s24, v0
	v_lshlrev_b32_e32 v13, 4, v0
	v_and_b32_e32 v6, 15, v5
	v_and_b32_e32 v7, 16, v5
	v_cmp_lt_u32_e64 s[2:3], 31, v5
	v_lshlrev_b32_e32 v14, 3, v5
	v_sub_u32_e32 v4, 0, v4
	v_cndmask_b32_e64 v5, v8, v5, s[16:17]
	s_or_b64 s[16:17], vcc, s[14:15]
	v_lshrrev_b32_e32 v1, 4, v1
	v_mov_b32_e32 v3, 0
	v_cmp_eq_u32_e64 s[0:1], 63, v0
	v_cmp_eq_u32_e64 s[4:5], 0, v6
	v_cmp_lt_u32_e64 s[6:7], 1, v6
	v_cmp_lt_u32_e64 s[8:9], 3, v6
	;; [unrolled: 1-line block ×3, first 2 shown]
	v_cmp_eq_u32_e64 s[12:13], 0, v7
	v_lshlrev_b32_e32 v15, 2, v5
	v_and_b32_e32 v16, 0xffffffc, v1
	v_add_u32_e32 v17, v13, v4
	s_waitcnt vmcnt(0)
	v_add_co_u32_e32 v11, vcc, 1, v9
	v_addc_co_u32_e32 v12, vcc, 0, v10, vcc
	v_xor_b32_e32 v10, 0x80000000, v10
	s_branch .LBB97_2
.LBB97_1:                               ;   in Loop: Header=BB97_2 Depth=1
	v_lshlrev_b32_e32 v4, 3, v4
	; wave barrier
	ds_write_b64 v4, v[7:8]
	s_waitcnt lgkmcnt(0)
	; wave barrier
	ds_read_b64 v[9:10], v17
	s_waitcnt lgkmcnt(0)
	; wave barrier
	ds_write_b64 v4, v[1:2]
	s_waitcnt lgkmcnt(0)
	; wave barrier
	ds_read_b64 v[11:12], v17
	s_add_i32 s23, s23, 1
	s_cmp_eq_u32 s23, 10
	s_cbranch_scc1 .LBB97_10
.LBB97_2:                               ; =>This Loop Header: Depth=1
                                        ;     Child Loop BB97_4 Depth 2
	v_mov_b32_e32 v5, 0
	v_mov_b32_e32 v6, 0
	s_branch .LBB97_4
.LBB97_3:                               ;   in Loop: Header=BB97_4 Depth=2
	s_andn2_b64 vcc, exec, s[14:15]
	s_cbranch_vccz .LBB97_1
.LBB97_4:                               ;   Parent Loop BB97_2 Depth=1
                                        ; =>  This Inner Loop Header: Depth=2
	v_mov_b32_e32 v7, v9
	v_mov_b32_e32 v8, v10
	v_lshrrev_b64 v[9:10], v5, v[7:8]
	s_waitcnt lgkmcnt(0)
	v_mov_b32_e32 v1, v11
	v_and_b32_e32 v4, 0xff, v9
	v_lshl_add_u32 v18, v4, 2, v16
	v_and_b32_e32 v4, 1, v9
	v_add_co_u32_e32 v10, vcc, -1, v4
	v_mov_b32_e32 v2, v12
	v_addc_co_u32_e64 v11, s[14:15], 0, -1, vcc
	v_cmp_ne_u32_e32 vcc, 0, v4
	v_xor_b32_e32 v4, vcc_hi, v11
	v_and_b32_e32 v11, exec_hi, v4
	v_lshlrev_b32_e32 v4, 30, v9
	v_xor_b32_e32 v10, vcc_lo, v10
	v_cmp_gt_i64_e32 vcc, 0, v[3:4]
	v_not_b32_e32 v4, v4
	v_ashrrev_i32_e32 v4, 31, v4
	v_and_b32_e32 v10, exec_lo, v10
	v_xor_b32_e32 v12, vcc_hi, v4
	v_xor_b32_e32 v4, vcc_lo, v4
	v_and_b32_e32 v10, v10, v4
	v_lshlrev_b32_e32 v4, 29, v9
	v_cmp_gt_i64_e32 vcc, 0, v[3:4]
	v_not_b32_e32 v4, v4
	v_ashrrev_i32_e32 v4, 31, v4
	v_and_b32_e32 v11, v11, v12
	v_xor_b32_e32 v12, vcc_hi, v4
	v_xor_b32_e32 v4, vcc_lo, v4
	v_and_b32_e32 v10, v10, v4
	v_lshlrev_b32_e32 v4, 28, v9
	v_cmp_gt_i64_e32 vcc, 0, v[3:4]
	v_not_b32_e32 v4, v4
	v_ashrrev_i32_e32 v4, 31, v4
	v_and_b32_e32 v11, v11, v12
	;; [unrolled: 8-line block ×5, first 2 shown]
	v_xor_b32_e32 v12, vcc_hi, v4
	v_xor_b32_e32 v4, vcc_lo, v4
	v_and_b32_e32 v11, v11, v12
	v_and_b32_e32 v12, v10, v4
	v_lshlrev_b32_e32 v4, 24, v9
	v_cmp_gt_i64_e32 vcc, 0, v[3:4]
	v_not_b32_e32 v4, v4
	v_ashrrev_i32_e32 v4, 31, v4
	v_xor_b32_e32 v9, vcc_hi, v4
	v_xor_b32_e32 v4, vcc_lo, v4
	v_and_b32_e32 v10, v11, v9
	v_and_b32_e32 v9, v12, v4
	v_mbcnt_lo_u32_b32 v4, v9, 0
	v_mbcnt_hi_u32_b32 v4, v10, v4
	v_cmp_ne_u64_e32 vcc, 0, v[9:10]
	v_cmp_eq_u32_e64 s[14:15], 0, v4
	s_and_b64 s[24:25], vcc, s[14:15]
	ds_write2_b32 v13, v3, v3 offset0:1 offset1:2
	ds_write2_b32 v13, v3, v3 offset0:3 offset1:4
	s_waitcnt lgkmcnt(0)
	; wave barrier
	; wave barrier
	s_and_saveexec_b64 s[14:15], s[24:25]
; %bb.5:                                ;   in Loop: Header=BB97_4 Depth=2
	v_bcnt_u32_b32 v9, v9, 0
	v_bcnt_u32_b32 v9, v10, v9
	ds_write_b32 v18, v9 offset:4
; %bb.6:                                ;   in Loop: Header=BB97_4 Depth=2
	s_or_b64 exec, exec, s[14:15]
	; wave barrier
	s_waitcnt lgkmcnt(0)
	; wave barrier
	ds_read2_b32 v[11:12], v13 offset0:1 offset1:2
	ds_read2_b32 v[9:10], v13 offset0:3 offset1:4
	s_waitcnt lgkmcnt(1)
	v_add_u32_e32 v19, v12, v11
	s_waitcnt lgkmcnt(0)
	v_add3_u32 v10, v19, v9, v10
	s_nop 1
	v_mov_b32_dpp v19, v10 row_shr:1 row_mask:0xf bank_mask:0xf
	v_cndmask_b32_e64 v19, v19, 0, s[4:5]
	v_add_u32_e32 v10, v19, v10
	s_nop 1
	v_mov_b32_dpp v19, v10 row_shr:2 row_mask:0xf bank_mask:0xf
	v_cndmask_b32_e64 v19, 0, v19, s[6:7]
	v_add_u32_e32 v10, v10, v19
	;; [unrolled: 4-line block ×4, first 2 shown]
	s_nop 1
	v_mov_b32_dpp v19, v10 row_bcast:15 row_mask:0xf bank_mask:0xf
	v_cndmask_b32_e64 v19, v19, 0, s[12:13]
	v_add_u32_e32 v10, v10, v19
	s_nop 1
	v_mov_b32_dpp v19, v10 row_bcast:31 row_mask:0xf bank_mask:0xf
	v_cndmask_b32_e64 v19, 0, v19, s[2:3]
	v_add_u32_e32 v10, v10, v19
	s_and_saveexec_b64 s[14:15], s[0:1]
; %bb.7:                                ;   in Loop: Header=BB97_4 Depth=2
	ds_write_b32 v3, v10
; %bb.8:                                ;   in Loop: Header=BB97_4 Depth=2
	s_or_b64 exec, exec, s[14:15]
	ds_bpermute_b32 v10, v15, v10
	s_waitcnt lgkmcnt(0)
	; wave barrier
	v_cmp_lt_u32_e32 vcc, 55, v5
	s_and_b64 vcc, exec, vcc
	v_cndmask_b32_e64 v10, v10, 0, s[16:17]
	v_add_u32_e32 v11, v10, v11
	v_add_u32_e32 v12, v11, v12
	;; [unrolled: 1-line block ×3, first 2 shown]
	ds_write2_b32 v13, v10, v11 offset0:1 offset1:2
	ds_write2_b32 v13, v12, v9 offset0:3 offset1:4
	s_waitcnt lgkmcnt(0)
	; wave barrier
	ds_read_b32 v9, v18 offset:4
	s_mov_b64 s[14:15], -1
                                        ; implicit-def: $vgpr11_vgpr12
	s_waitcnt lgkmcnt(0)
	v_add_u32_e32 v4, v9, v4
                                        ; implicit-def: $vgpr9_vgpr10
	s_cbranch_vccnz .LBB97_3
; %bb.9:                                ;   in Loop: Header=BB97_4 Depth=2
	v_lshlrev_b32_e32 v11, 3, v4
	; wave barrier
	ds_write_b64 v11, v[7:8]
	s_waitcnt lgkmcnt(0)
	; wave barrier
	ds_read_b64 v[9:10], v14
	s_waitcnt lgkmcnt(0)
	; wave barrier
	ds_write_b64 v11, v[1:2]
	s_waitcnt lgkmcnt(0)
	; wave barrier
	ds_read_b64 v[11:12], v14
	v_add_co_u32_e32 v5, vcc, 8, v5
	v_addc_co_u32_e32 v6, vcc, 0, v6, vcc
	s_mov_b64 s[14:15], 0
	s_waitcnt lgkmcnt(0)
	; wave barrier
	s_branch .LBB97_3
.LBB97_10:
	s_waitcnt lgkmcnt(0)
	v_add_co_u32_e32 v1, vcc, v11, v9
	v_addc_co_u32_e32 v2, vcc, v12, v10, vcc
	s_add_u32 s0, s18, s20
	v_add_u32_e32 v2, 0x80000000, v2
	s_addc_u32 s1, s19, s21
	v_lshlrev_b32_e32 v0, 3, v0
	global_store_dwordx2 v0, v[1:2], s[0:1]
	s_endpgm
	.section	.rodata,"a",@progbits
	.p2align	6, 0x0
	.amdhsa_kernel _Z17sort_pairs_kernelI22helper_blocked_blockedxLj64ELj1ELj10EEvPKT0_PS1_
		.amdhsa_group_segment_fixed_size 1040
		.amdhsa_private_segment_fixed_size 0
		.amdhsa_kernarg_size 272
		.amdhsa_user_sgpr_count 6
		.amdhsa_user_sgpr_private_segment_buffer 1
		.amdhsa_user_sgpr_dispatch_ptr 0
		.amdhsa_user_sgpr_queue_ptr 0
		.amdhsa_user_sgpr_kernarg_segment_ptr 1
		.amdhsa_user_sgpr_dispatch_id 0
		.amdhsa_user_sgpr_flat_scratch_init 0
		.amdhsa_user_sgpr_private_segment_size 0
		.amdhsa_uses_dynamic_stack 0
		.amdhsa_system_sgpr_private_segment_wavefront_offset 0
		.amdhsa_system_sgpr_workgroup_id_x 1
		.amdhsa_system_sgpr_workgroup_id_y 0
		.amdhsa_system_sgpr_workgroup_id_z 0
		.amdhsa_system_sgpr_workgroup_info 0
		.amdhsa_system_vgpr_workitem_id 2
		.amdhsa_next_free_vgpr 20
		.amdhsa_next_free_sgpr 26
		.amdhsa_reserve_vcc 1
		.amdhsa_reserve_flat_scratch 0
		.amdhsa_float_round_mode_32 0
		.amdhsa_float_round_mode_16_64 0
		.amdhsa_float_denorm_mode_32 3
		.amdhsa_float_denorm_mode_16_64 3
		.amdhsa_dx10_clamp 1
		.amdhsa_ieee_mode 1
		.amdhsa_fp16_overflow 0
		.amdhsa_exception_fp_ieee_invalid_op 0
		.amdhsa_exception_fp_denorm_src 0
		.amdhsa_exception_fp_ieee_div_zero 0
		.amdhsa_exception_fp_ieee_overflow 0
		.amdhsa_exception_fp_ieee_underflow 0
		.amdhsa_exception_fp_ieee_inexact 0
		.amdhsa_exception_int_div_zero 0
	.end_amdhsa_kernel
	.section	.text._Z17sort_pairs_kernelI22helper_blocked_blockedxLj64ELj1ELj10EEvPKT0_PS1_,"axG",@progbits,_Z17sort_pairs_kernelI22helper_blocked_blockedxLj64ELj1ELj10EEvPKT0_PS1_,comdat
.Lfunc_end97:
	.size	_Z17sort_pairs_kernelI22helper_blocked_blockedxLj64ELj1ELj10EEvPKT0_PS1_, .Lfunc_end97-_Z17sort_pairs_kernelI22helper_blocked_blockedxLj64ELj1ELj10EEvPKT0_PS1_
                                        ; -- End function
	.set _Z17sort_pairs_kernelI22helper_blocked_blockedxLj64ELj1ELj10EEvPKT0_PS1_.num_vgpr, 20
	.set _Z17sort_pairs_kernelI22helper_blocked_blockedxLj64ELj1ELj10EEvPKT0_PS1_.num_agpr, 0
	.set _Z17sort_pairs_kernelI22helper_blocked_blockedxLj64ELj1ELj10EEvPKT0_PS1_.numbered_sgpr, 26
	.set _Z17sort_pairs_kernelI22helper_blocked_blockedxLj64ELj1ELj10EEvPKT0_PS1_.num_named_barrier, 0
	.set _Z17sort_pairs_kernelI22helper_blocked_blockedxLj64ELj1ELj10EEvPKT0_PS1_.private_seg_size, 0
	.set _Z17sort_pairs_kernelI22helper_blocked_blockedxLj64ELj1ELj10EEvPKT0_PS1_.uses_vcc, 1
	.set _Z17sort_pairs_kernelI22helper_blocked_blockedxLj64ELj1ELj10EEvPKT0_PS1_.uses_flat_scratch, 0
	.set _Z17sort_pairs_kernelI22helper_blocked_blockedxLj64ELj1ELj10EEvPKT0_PS1_.has_dyn_sized_stack, 0
	.set _Z17sort_pairs_kernelI22helper_blocked_blockedxLj64ELj1ELj10EEvPKT0_PS1_.has_recursion, 0
	.set _Z17sort_pairs_kernelI22helper_blocked_blockedxLj64ELj1ELj10EEvPKT0_PS1_.has_indirect_call, 0
	.section	.AMDGPU.csdata,"",@progbits
; Kernel info:
; codeLenInByte = 1120
; TotalNumSgprs: 30
; NumVgprs: 20
; ScratchSize: 0
; MemoryBound: 0
; FloatMode: 240
; IeeeMode: 1
; LDSByteSize: 1040 bytes/workgroup (compile time only)
; SGPRBlocks: 3
; VGPRBlocks: 4
; NumSGPRsForWavesPerEU: 30
; NumVGPRsForWavesPerEU: 20
; Occupancy: 10
; WaveLimiterHint : 0
; COMPUTE_PGM_RSRC2:SCRATCH_EN: 0
; COMPUTE_PGM_RSRC2:USER_SGPR: 6
; COMPUTE_PGM_RSRC2:TRAP_HANDLER: 0
; COMPUTE_PGM_RSRC2:TGID_X_EN: 1
; COMPUTE_PGM_RSRC2:TGID_Y_EN: 0
; COMPUTE_PGM_RSRC2:TGID_Z_EN: 0
; COMPUTE_PGM_RSRC2:TIDIG_COMP_CNT: 2
	.section	.text._Z16sort_keys_kernelI22helper_blocked_blockedxLj64ELj3ELj10EEvPKT0_PS1_,"axG",@progbits,_Z16sort_keys_kernelI22helper_blocked_blockedxLj64ELj3ELj10EEvPKT0_PS1_,comdat
	.protected	_Z16sort_keys_kernelI22helper_blocked_blockedxLj64ELj3ELj10EEvPKT0_PS1_ ; -- Begin function _Z16sort_keys_kernelI22helper_blocked_blockedxLj64ELj3ELj10EEvPKT0_PS1_
	.globl	_Z16sort_keys_kernelI22helper_blocked_blockedxLj64ELj3ELj10EEvPKT0_PS1_
	.p2align	8
	.type	_Z16sort_keys_kernelI22helper_blocked_blockedxLj64ELj3ELj10EEvPKT0_PS1_,@function
_Z16sort_keys_kernelI22helper_blocked_blockedxLj64ELj3ELj10EEvPKT0_PS1_: ; @_Z16sort_keys_kernelI22helper_blocked_blockedxLj64ELj3ELj10EEvPKT0_PS1_
; %bb.0:
	s_load_dwordx4 s[16:19], s[4:5], 0x0
	s_load_dword s2, s[4:5], 0x1c
	s_mul_i32 s20, s6, 0xc0
	s_mov_b32 s21, 0
	s_lshl_b64 s[22:23], s[20:21], 3
	s_waitcnt lgkmcnt(0)
	s_add_u32 s0, s16, s22
	s_addc_u32 s1, s17, s23
	v_lshlrev_b32_e32 v17, 3, v0
	global_load_dwordx2 v[3:4], v17, s[0:1]
	global_load_dwordx2 v[5:6], v17, s[0:1] offset:512
	global_load_dwordx2 v[8:9], v17, s[0:1] offset:1024
	v_mbcnt_lo_u32_b32 v10, -1, 0
	v_mbcnt_hi_u32_b32 v10, -1, v10
	s_lshr_b32 s0, s2, 16
	s_and_b32 s1, s2, 0xffff
	v_mad_u32_u24 v1, v2, s0, v1
	v_and_b32_e32 v2, 15, v10
	v_mad_u32_u24 v1, v1, s1, v0
	v_cmp_eq_u32_e64 s[0:1], 0, v2
	v_cmp_lt_u32_e64 s[2:3], 1, v2
	v_cmp_lt_u32_e64 s[4:5], 3, v2
	;; [unrolled: 1-line block ×3, first 2 shown]
	v_and_b32_e32 v2, 16, v10
	v_cmp_eq_u32_e64 s[8:9], 0, v2
	v_subrev_co_u32_e32 v2, vcc, 1, v10
	v_and_b32_e32 v11, 64, v10
	v_cmp_lt_i32_e64 s[14:15], v2, v11
	v_cndmask_b32_e64 v2, v2, v10, s[14:15]
	v_cmp_eq_u32_e64 s[14:15], 0, v0
	v_lshrrev_b32_e32 v1, 4, v1
	v_mov_b32_e32 v7, 0
	v_mul_u32_u24_e32 v18, 24, v10
	v_lshlrev_b32_e32 v19, 3, v10
	v_lshlrev_b32_e32 v20, 4, v0
	v_cmp_lt_u32_e64 s[10:11], 31, v10
	v_cmp_eq_u32_e64 s[12:13], 63, v0
	v_lshlrev_b32_e32 v21, 2, v2
	s_or_b64 s[16:17], s[14:15], vcc
	v_and_b32_e32 v22, 0xffffffc, v1
	s_branch .LBB98_2
.LBB98_1:                               ;   in Loop: Header=BB98_2 Depth=1
	v_lshlrev_b32_e32 v1, 3, v24
	; wave barrier
	ds_write_b64 v1, v[13:14]
	v_lshlrev_b32_e32 v1, 3, v23
	ds_write_b64 v1, v[11:12]
	v_lshlrev_b32_e32 v1, 3, v8
	ds_write_b64 v1, v[5:6]
	v_add_u32_e32 v1, v20, v17
	s_waitcnt lgkmcnt(0)
	; wave barrier
	ds_read2_b64 v[3:6], v1 offset1:1
	ds_read_b64 v[8:9], v1 offset:16
	s_add_i32 s21, s21, 1
	s_cmp_eq_u32 s21, 10
	s_waitcnt lgkmcnt(1)
	v_xor_b32_e32 v4, 0x80000000, v4
	v_xor_b32_e32 v6, 0x80000000, v6
	s_waitcnt lgkmcnt(0)
	v_xor_b32_e32 v9, 0x80000000, v9
	s_cbranch_scc1 .LBB98_14
.LBB98_2:                               ; =>This Loop Header: Depth=1
                                        ;     Child Loop BB98_4 Depth 2
	s_waitcnt vmcnt(2)
	v_xor_b32_e32 v4, 0x80000000, v4
	s_waitcnt vmcnt(1)
	v_xor_b32_e32 v6, 0x80000000, v6
	;; [unrolled: 2-line block ×3, first 2 shown]
	ds_write2_b64 v18, v[3:4], v[5:6] offset1:1
	ds_write_b64 v18, v[8:9] offset:16
	; wave barrier
	ds_read2st64_b64 v[1:4], v19 offset1:1
	ds_read_b64 v[15:16], v19 offset:1024
	v_mov_b32_e32 v9, 0
	v_mov_b32_e32 v10, 0
	s_waitcnt lgkmcnt(0)
	; wave barrier
	; wave barrier
	;; [unrolled: 1-line block ×3, first 2 shown]
	s_branch .LBB98_4
.LBB98_3:                               ;   in Loop: Header=BB98_4 Depth=2
	s_andn2_b64 vcc, exec, s[14:15]
	s_cbranch_vccz .LBB98_1
.LBB98_4:                               ;   Parent Loop BB98_2 Depth=1
                                        ; =>  This Inner Loop Header: Depth=2
	v_mov_b32_e32 v14, v2
	v_mov_b32_e32 v13, v1
	v_lshrrev_b64 v[1:2], v9, v[13:14]
	v_mov_b32_e32 v5, v15
	v_and_b32_e32 v2, 0xff, v1
	v_mov_b32_e32 v6, v16
	v_mov_b32_e32 v12, v4
	v_lshl_add_u32 v15, v2, 2, v22
	v_and_b32_e32 v2, 1, v1
	v_mov_b32_e32 v11, v3
	v_add_co_u32_e32 v3, vcc, -1, v2
	v_addc_co_u32_e64 v4, s[14:15], 0, -1, vcc
	v_cmp_ne_u32_e32 vcc, 0, v2
	v_lshlrev_b32_e32 v8, 30, v1
	v_xor_b32_e32 v2, vcc_hi, v4
	v_xor_b32_e32 v3, vcc_lo, v3
	v_cmp_gt_i64_e32 vcc, 0, v[7:8]
	v_not_b32_e32 v4, v8
	v_ashrrev_i32_e32 v4, 31, v4
	v_and_b32_e32 v2, exec_hi, v2
	v_xor_b32_e32 v8, vcc_hi, v4
	v_and_b32_e32 v3, exec_lo, v3
	v_xor_b32_e32 v4, vcc_lo, v4
	v_and_b32_e32 v2, v2, v8
	v_lshlrev_b32_e32 v8, 29, v1
	v_and_b32_e32 v3, v3, v4
	v_cmp_gt_i64_e32 vcc, 0, v[7:8]
	v_not_b32_e32 v4, v8
	v_ashrrev_i32_e32 v4, 31, v4
	v_xor_b32_e32 v8, vcc_hi, v4
	v_xor_b32_e32 v4, vcc_lo, v4
	v_and_b32_e32 v2, v2, v8
	v_lshlrev_b32_e32 v8, 28, v1
	v_and_b32_e32 v3, v3, v4
	v_cmp_gt_i64_e32 vcc, 0, v[7:8]
	v_not_b32_e32 v4, v8
	v_ashrrev_i32_e32 v4, 31, v4
	v_xor_b32_e32 v8, vcc_hi, v4
	;; [unrolled: 8-line block ×5, first 2 shown]
	v_and_b32_e32 v2, v2, v8
	v_lshlrev_b32_e32 v8, 24, v1
	v_xor_b32_e32 v4, vcc_lo, v4
	v_cmp_gt_i64_e32 vcc, 0, v[7:8]
	v_not_b32_e32 v1, v8
	v_ashrrev_i32_e32 v1, 31, v1
	v_and_b32_e32 v3, v3, v4
	v_xor_b32_e32 v4, vcc_hi, v1
	v_xor_b32_e32 v1, vcc_lo, v1
	v_and_b32_e32 v1, v3, v1
	v_and_b32_e32 v2, v2, v4
	v_mbcnt_lo_u32_b32 v3, v1, 0
	v_mbcnt_hi_u32_b32 v16, v2, v3
	v_cmp_ne_u64_e32 vcc, 0, v[1:2]
	v_cmp_eq_u32_e64 s[14:15], 0, v16
	s_and_b64 s[24:25], vcc, s[14:15]
	ds_write2_b32 v20, v7, v7 offset0:1 offset1:2
	ds_write2_b32 v20, v7, v7 offset0:3 offset1:4
	s_waitcnt lgkmcnt(0)
	; wave barrier
	; wave barrier
	s_and_saveexec_b64 s[14:15], s[24:25]
; %bb.5:                                ;   in Loop: Header=BB98_4 Depth=2
	v_bcnt_u32_b32 v1, v1, 0
	v_bcnt_u32_b32 v1, v2, v1
	ds_write_b32 v15, v1 offset:4
; %bb.6:                                ;   in Loop: Header=BB98_4 Depth=2
	s_or_b64 exec, exec, s[14:15]
	v_lshrrev_b64 v[1:2], v9, v[11:12]
	v_and_b32_e32 v2, 0xff, v1
	v_lshl_add_u32 v24, v2, 2, v22
	v_and_b32_e32 v2, 1, v1
	v_add_co_u32_e32 v3, vcc, -1, v2
	v_addc_co_u32_e64 v4, s[14:15], 0, -1, vcc
	v_cmp_ne_u32_e32 vcc, 0, v2
	v_lshlrev_b32_e32 v8, 30, v1
	v_xor_b32_e32 v2, vcc_hi, v4
	v_xor_b32_e32 v3, vcc_lo, v3
	v_cmp_gt_i64_e32 vcc, 0, v[7:8]
	v_not_b32_e32 v4, v8
	v_ashrrev_i32_e32 v4, 31, v4
	v_and_b32_e32 v2, exec_hi, v2
	v_xor_b32_e32 v8, vcc_hi, v4
	v_and_b32_e32 v3, exec_lo, v3
	v_xor_b32_e32 v4, vcc_lo, v4
	v_and_b32_e32 v2, v2, v8
	v_lshlrev_b32_e32 v8, 29, v1
	v_and_b32_e32 v3, v3, v4
	v_cmp_gt_i64_e32 vcc, 0, v[7:8]
	v_not_b32_e32 v4, v8
	v_ashrrev_i32_e32 v4, 31, v4
	v_xor_b32_e32 v8, vcc_hi, v4
	v_xor_b32_e32 v4, vcc_lo, v4
	v_and_b32_e32 v2, v2, v8
	v_lshlrev_b32_e32 v8, 28, v1
	v_and_b32_e32 v3, v3, v4
	v_cmp_gt_i64_e32 vcc, 0, v[7:8]
	v_not_b32_e32 v4, v8
	v_ashrrev_i32_e32 v4, 31, v4
	v_xor_b32_e32 v8, vcc_hi, v4
	;; [unrolled: 8-line block ×5, first 2 shown]
	v_and_b32_e32 v2, v2, v8
	v_lshlrev_b32_e32 v8, 24, v1
	v_xor_b32_e32 v4, vcc_lo, v4
	v_cmp_gt_i64_e32 vcc, 0, v[7:8]
	v_not_b32_e32 v1, v8
	v_ashrrev_i32_e32 v1, 31, v1
	v_and_b32_e32 v3, v3, v4
	v_xor_b32_e32 v4, vcc_hi, v1
	v_xor_b32_e32 v1, vcc_lo, v1
	; wave barrier
	ds_read_b32 v23, v24 offset:4
	v_and_b32_e32 v1, v3, v1
	v_and_b32_e32 v2, v2, v4
	v_mbcnt_lo_u32_b32 v3, v1, 0
	v_mbcnt_hi_u32_b32 v25, v2, v3
	v_cmp_ne_u64_e32 vcc, 0, v[1:2]
	v_cmp_eq_u32_e64 s[14:15], 0, v25
	s_and_b64 s[24:25], vcc, s[14:15]
	; wave barrier
	s_and_saveexec_b64 s[14:15], s[24:25]
	s_cbranch_execz .LBB98_8
; %bb.7:                                ;   in Loop: Header=BB98_4 Depth=2
	v_bcnt_u32_b32 v1, v1, 0
	v_bcnt_u32_b32 v1, v2, v1
	s_waitcnt lgkmcnt(0)
	v_add_u32_e32 v1, v23, v1
	ds_write_b32 v24, v1 offset:4
.LBB98_8:                               ;   in Loop: Header=BB98_4 Depth=2
	s_or_b64 exec, exec, s[14:15]
	v_lshrrev_b64 v[1:2], v9, v[5:6]
	v_and_b32_e32 v2, 0xff, v1
	v_lshl_add_u32 v27, v2, 2, v22
	v_and_b32_e32 v2, 1, v1
	v_add_co_u32_e32 v3, vcc, -1, v2
	v_addc_co_u32_e64 v4, s[14:15], 0, -1, vcc
	v_cmp_ne_u32_e32 vcc, 0, v2
	v_lshlrev_b32_e32 v8, 30, v1
	v_xor_b32_e32 v2, vcc_hi, v4
	v_xor_b32_e32 v3, vcc_lo, v3
	v_cmp_gt_i64_e32 vcc, 0, v[7:8]
	v_not_b32_e32 v4, v8
	v_ashrrev_i32_e32 v4, 31, v4
	v_and_b32_e32 v2, exec_hi, v2
	v_xor_b32_e32 v8, vcc_hi, v4
	v_and_b32_e32 v3, exec_lo, v3
	v_xor_b32_e32 v4, vcc_lo, v4
	v_and_b32_e32 v2, v2, v8
	v_lshlrev_b32_e32 v8, 29, v1
	v_and_b32_e32 v3, v3, v4
	v_cmp_gt_i64_e32 vcc, 0, v[7:8]
	v_not_b32_e32 v4, v8
	v_ashrrev_i32_e32 v4, 31, v4
	v_xor_b32_e32 v8, vcc_hi, v4
	v_xor_b32_e32 v4, vcc_lo, v4
	v_and_b32_e32 v2, v2, v8
	v_lshlrev_b32_e32 v8, 28, v1
	v_and_b32_e32 v3, v3, v4
	v_cmp_gt_i64_e32 vcc, 0, v[7:8]
	v_not_b32_e32 v4, v8
	v_ashrrev_i32_e32 v4, 31, v4
	v_xor_b32_e32 v8, vcc_hi, v4
	;; [unrolled: 8-line block ×5, first 2 shown]
	v_and_b32_e32 v2, v2, v8
	v_lshlrev_b32_e32 v8, 24, v1
	v_xor_b32_e32 v4, vcc_lo, v4
	v_cmp_gt_i64_e32 vcc, 0, v[7:8]
	v_not_b32_e32 v1, v8
	v_ashrrev_i32_e32 v1, 31, v1
	v_and_b32_e32 v3, v3, v4
	v_xor_b32_e32 v4, vcc_hi, v1
	v_xor_b32_e32 v1, vcc_lo, v1
	; wave barrier
	ds_read_b32 v26, v27 offset:4
	v_and_b32_e32 v1, v3, v1
	v_and_b32_e32 v2, v2, v4
	v_mbcnt_lo_u32_b32 v3, v1, 0
	v_mbcnt_hi_u32_b32 v8, v2, v3
	v_cmp_ne_u64_e32 vcc, 0, v[1:2]
	v_cmp_eq_u32_e64 s[14:15], 0, v8
	s_and_b64 s[24:25], vcc, s[14:15]
	; wave barrier
	s_and_saveexec_b64 s[14:15], s[24:25]
	s_cbranch_execz .LBB98_10
; %bb.9:                                ;   in Loop: Header=BB98_4 Depth=2
	v_bcnt_u32_b32 v1, v1, 0
	v_bcnt_u32_b32 v1, v2, v1
	s_waitcnt lgkmcnt(0)
	v_add_u32_e32 v1, v26, v1
	ds_write_b32 v27, v1 offset:4
.LBB98_10:                              ;   in Loop: Header=BB98_4 Depth=2
	s_or_b64 exec, exec, s[14:15]
	; wave barrier
	s_waitcnt lgkmcnt(0)
	; wave barrier
	ds_read2_b32 v[3:4], v20 offset0:1 offset1:2
	ds_read2_b32 v[1:2], v20 offset0:3 offset1:4
	s_waitcnt lgkmcnt(1)
	v_add_u32_e32 v28, v4, v3
	s_waitcnt lgkmcnt(0)
	v_add3_u32 v2, v28, v1, v2
	s_nop 1
	v_mov_b32_dpp v28, v2 row_shr:1 row_mask:0xf bank_mask:0xf
	v_cndmask_b32_e64 v28, v28, 0, s[0:1]
	v_add_u32_e32 v2, v28, v2
	s_nop 1
	v_mov_b32_dpp v28, v2 row_shr:2 row_mask:0xf bank_mask:0xf
	v_cndmask_b32_e64 v28, 0, v28, s[2:3]
	v_add_u32_e32 v2, v2, v28
	;; [unrolled: 4-line block ×4, first 2 shown]
	s_nop 1
	v_mov_b32_dpp v28, v2 row_bcast:15 row_mask:0xf bank_mask:0xf
	v_cndmask_b32_e64 v28, v28, 0, s[8:9]
	v_add_u32_e32 v2, v2, v28
	s_nop 1
	v_mov_b32_dpp v28, v2 row_bcast:31 row_mask:0xf bank_mask:0xf
	v_cndmask_b32_e64 v28, 0, v28, s[10:11]
	v_add_u32_e32 v2, v2, v28
	s_and_saveexec_b64 s[14:15], s[12:13]
; %bb.11:                               ;   in Loop: Header=BB98_4 Depth=2
	ds_write_b32 v7, v2
; %bb.12:                               ;   in Loop: Header=BB98_4 Depth=2
	s_or_b64 exec, exec, s[14:15]
	ds_bpermute_b32 v2, v21, v2
	s_waitcnt lgkmcnt(0)
	; wave barrier
	v_cmp_lt_u32_e32 vcc, 55, v9
	s_and_b64 vcc, exec, vcc
	v_cndmask_b32_e64 v2, v2, 0, s[16:17]
	v_add_u32_e32 v3, v2, v3
	v_add_u32_e32 v4, v3, v4
	;; [unrolled: 1-line block ×3, first 2 shown]
	ds_write2_b32 v20, v2, v3 offset0:1 offset1:2
	ds_write2_b32 v20, v4, v1 offset0:3 offset1:4
	s_waitcnt lgkmcnt(0)
	; wave barrier
	ds_read_b32 v1, v15 offset:4
	ds_read_b32 v2, v24 offset:4
	;; [unrolled: 1-line block ×3, first 2 shown]
	s_mov_b64 s[14:15], -1
	s_waitcnt lgkmcnt(2)
	v_add_u32_e32 v24, v1, v16
	s_waitcnt lgkmcnt(1)
	v_add3_u32 v23, v25, v23, v2
	s_waitcnt lgkmcnt(0)
	v_add3_u32 v8, v8, v26, v3
                                        ; implicit-def: $vgpr15_vgpr16
                                        ; implicit-def: $vgpr3_vgpr4
	s_cbranch_vccnz .LBB98_3
; %bb.13:                               ;   in Loop: Header=BB98_4 Depth=2
	v_lshlrev_b32_e32 v1, 3, v24
	; wave barrier
	ds_write_b64 v1, v[13:14]
	v_lshlrev_b32_e32 v1, 3, v23
	ds_write_b64 v1, v[11:12]
	v_lshlrev_b32_e32 v1, 3, v8
	ds_write_b64 v1, v[5:6]
	s_waitcnt lgkmcnt(0)
	; wave barrier
	ds_read2st64_b64 v[1:4], v19 offset1:1
	ds_read_b64 v[15:16], v19 offset:1024
	v_add_co_u32_e32 v9, vcc, 8, v9
	v_addc_co_u32_e32 v10, vcc, 0, v10, vcc
	s_mov_b64 s[14:15], 0
	s_waitcnt lgkmcnt(0)
	; wave barrier
	s_branch .LBB98_3
.LBB98_14:
	s_add_u32 s0, s18, s22
	s_addc_u32 s1, s19, s23
	v_lshlrev_b32_e32 v0, 3, v0
	global_store_dwordx2 v0, v[3:4], s[0:1]
	global_store_dwordx2 v0, v[5:6], s[0:1] offset:512
	global_store_dwordx2 v0, v[8:9], s[0:1] offset:1024
	s_endpgm
	.section	.rodata,"a",@progbits
	.p2align	6, 0x0
	.amdhsa_kernel _Z16sort_keys_kernelI22helper_blocked_blockedxLj64ELj3ELj10EEvPKT0_PS1_
		.amdhsa_group_segment_fixed_size 1536
		.amdhsa_private_segment_fixed_size 0
		.amdhsa_kernarg_size 272
		.amdhsa_user_sgpr_count 6
		.amdhsa_user_sgpr_private_segment_buffer 1
		.amdhsa_user_sgpr_dispatch_ptr 0
		.amdhsa_user_sgpr_queue_ptr 0
		.amdhsa_user_sgpr_kernarg_segment_ptr 1
		.amdhsa_user_sgpr_dispatch_id 0
		.amdhsa_user_sgpr_flat_scratch_init 0
		.amdhsa_user_sgpr_private_segment_size 0
		.amdhsa_uses_dynamic_stack 0
		.amdhsa_system_sgpr_private_segment_wavefront_offset 0
		.amdhsa_system_sgpr_workgroup_id_x 1
		.amdhsa_system_sgpr_workgroup_id_y 0
		.amdhsa_system_sgpr_workgroup_id_z 0
		.amdhsa_system_sgpr_workgroup_info 0
		.amdhsa_system_vgpr_workitem_id 2
		.amdhsa_next_free_vgpr 29
		.amdhsa_next_free_sgpr 26
		.amdhsa_reserve_vcc 1
		.amdhsa_reserve_flat_scratch 0
		.amdhsa_float_round_mode_32 0
		.amdhsa_float_round_mode_16_64 0
		.amdhsa_float_denorm_mode_32 3
		.amdhsa_float_denorm_mode_16_64 3
		.amdhsa_dx10_clamp 1
		.amdhsa_ieee_mode 1
		.amdhsa_fp16_overflow 0
		.amdhsa_exception_fp_ieee_invalid_op 0
		.amdhsa_exception_fp_denorm_src 0
		.amdhsa_exception_fp_ieee_div_zero 0
		.amdhsa_exception_fp_ieee_overflow 0
		.amdhsa_exception_fp_ieee_underflow 0
		.amdhsa_exception_fp_ieee_inexact 0
		.amdhsa_exception_int_div_zero 0
	.end_amdhsa_kernel
	.section	.text._Z16sort_keys_kernelI22helper_blocked_blockedxLj64ELj3ELj10EEvPKT0_PS1_,"axG",@progbits,_Z16sort_keys_kernelI22helper_blocked_blockedxLj64ELj3ELj10EEvPKT0_PS1_,comdat
.Lfunc_end98:
	.size	_Z16sort_keys_kernelI22helper_blocked_blockedxLj64ELj3ELj10EEvPKT0_PS1_, .Lfunc_end98-_Z16sort_keys_kernelI22helper_blocked_blockedxLj64ELj3ELj10EEvPKT0_PS1_
                                        ; -- End function
	.set _Z16sort_keys_kernelI22helper_blocked_blockedxLj64ELj3ELj10EEvPKT0_PS1_.num_vgpr, 29
	.set _Z16sort_keys_kernelI22helper_blocked_blockedxLj64ELj3ELj10EEvPKT0_PS1_.num_agpr, 0
	.set _Z16sort_keys_kernelI22helper_blocked_blockedxLj64ELj3ELj10EEvPKT0_PS1_.numbered_sgpr, 26
	.set _Z16sort_keys_kernelI22helper_blocked_blockedxLj64ELj3ELj10EEvPKT0_PS1_.num_named_barrier, 0
	.set _Z16sort_keys_kernelI22helper_blocked_blockedxLj64ELj3ELj10EEvPKT0_PS1_.private_seg_size, 0
	.set _Z16sort_keys_kernelI22helper_blocked_blockedxLj64ELj3ELj10EEvPKT0_PS1_.uses_vcc, 1
	.set _Z16sort_keys_kernelI22helper_blocked_blockedxLj64ELj3ELj10EEvPKT0_PS1_.uses_flat_scratch, 0
	.set _Z16sort_keys_kernelI22helper_blocked_blockedxLj64ELj3ELj10EEvPKT0_PS1_.has_dyn_sized_stack, 0
	.set _Z16sort_keys_kernelI22helper_blocked_blockedxLj64ELj3ELj10EEvPKT0_PS1_.has_recursion, 0
	.set _Z16sort_keys_kernelI22helper_blocked_blockedxLj64ELj3ELj10EEvPKT0_PS1_.has_indirect_call, 0
	.section	.AMDGPU.csdata,"",@progbits
; Kernel info:
; codeLenInByte = 2016
; TotalNumSgprs: 30
; NumVgprs: 29
; ScratchSize: 0
; MemoryBound: 0
; FloatMode: 240
; IeeeMode: 1
; LDSByteSize: 1536 bytes/workgroup (compile time only)
; SGPRBlocks: 3
; VGPRBlocks: 7
; NumSGPRsForWavesPerEU: 30
; NumVGPRsForWavesPerEU: 29
; Occupancy: 8
; WaveLimiterHint : 1
; COMPUTE_PGM_RSRC2:SCRATCH_EN: 0
; COMPUTE_PGM_RSRC2:USER_SGPR: 6
; COMPUTE_PGM_RSRC2:TRAP_HANDLER: 0
; COMPUTE_PGM_RSRC2:TGID_X_EN: 1
; COMPUTE_PGM_RSRC2:TGID_Y_EN: 0
; COMPUTE_PGM_RSRC2:TGID_Z_EN: 0
; COMPUTE_PGM_RSRC2:TIDIG_COMP_CNT: 2
	.section	.text._Z17sort_pairs_kernelI22helper_blocked_blockedxLj64ELj3ELj10EEvPKT0_PS1_,"axG",@progbits,_Z17sort_pairs_kernelI22helper_blocked_blockedxLj64ELj3ELj10EEvPKT0_PS1_,comdat
	.protected	_Z17sort_pairs_kernelI22helper_blocked_blockedxLj64ELj3ELj10EEvPKT0_PS1_ ; -- Begin function _Z17sort_pairs_kernelI22helper_blocked_blockedxLj64ELj3ELj10EEvPKT0_PS1_
	.globl	_Z17sort_pairs_kernelI22helper_blocked_blockedxLj64ELj3ELj10EEvPKT0_PS1_
	.p2align	8
	.type	_Z17sort_pairs_kernelI22helper_blocked_blockedxLj64ELj3ELj10EEvPKT0_PS1_,@function
_Z17sort_pairs_kernelI22helper_blocked_blockedxLj64ELj3ELj10EEvPKT0_PS1_: ; @_Z17sort_pairs_kernelI22helper_blocked_blockedxLj64ELj3ELj10EEvPKT0_PS1_
; %bb.0:
	s_load_dwordx4 s[16:19], s[4:5], 0x0
	s_load_dword s24, s[4:5], 0x1c
	s_mul_i32 s22, s6, 0xc0
	s_mov_b32 s23, 0
	s_lshl_b64 s[20:21], s[22:23], 3
	s_waitcnt lgkmcnt(0)
	s_add_u32 s0, s16, s20
	s_addc_u32 s1, s17, s21
	v_lshlrev_b32_e32 v29, 3, v0
	global_load_dwordx2 v[3:4], v29, s[0:1]
	global_load_dwordx2 v[5:6], v29, s[0:1] offset:512
	global_load_dwordx2 v[12:13], v29, s[0:1] offset:1024
	v_mbcnt_lo_u32_b32 v7, -1, 0
	v_mbcnt_hi_u32_b32 v7, -1, v7
	v_subrev_co_u32_e64 v10, s[14:15], 1, v7
	v_and_b32_e32 v14, 64, v7
	v_cmp_lt_i32_e64 s[16:17], v10, v14
	v_cmp_eq_u32_e32 vcc, 0, v0
	v_mul_u32_u24_e32 v30, 24, v7
	v_lshlrev_b32_e32 v31, 3, v7
	v_and_b32_e32 v8, 15, v7
	v_and_b32_e32 v9, 16, v7
	v_cmp_lt_u32_e64 s[2:3], 31, v7
	v_cndmask_b32_e64 v7, v10, v7, s[16:17]
	v_lshlrev_b32_e32 v32, 2, v7
	s_or_b64 s[16:17], vcc, s[14:15]
	v_cmp_eq_u32_e64 s[4:5], 0, v8
	v_cmp_lt_u32_e64 s[6:7], 1, v8
	v_cmp_lt_u32_e64 s[8:9], 3, v8
	;; [unrolled: 1-line block ×3, first 2 shown]
	s_lshr_b32 s22, s24, 16
	v_cmp_eq_u32_e64 s[12:13], 0, v9
	s_and_b32 s24, s24, 0xffff
	v_mad_u32_u24 v1, v2, s22, v1
	v_mad_u32_u24 v1, v1, s24, v0
	v_lshrrev_b32_e32 v1, 4, v1
	v_mov_b32_e32 v11, 0
	v_cmp_eq_u32_e64 s[0:1], 63, v0
	v_and_b32_e32 v33, 0xffffffc, v1
	v_lshlrev_b32_e32 v34, 4, v0
	s_waitcnt vmcnt(2)
	v_add_co_u32_e32 v7, vcc, 1, v3
	v_addc_co_u32_e32 v8, vcc, 0, v4, vcc
	s_waitcnt vmcnt(1)
	v_add_co_u32_e32 v9, vcc, 1, v5
	v_addc_co_u32_e32 v10, vcc, 0, v6, vcc
	;; [unrolled: 3-line block ×3, first 2 shown]
	s_branch .LBB99_2
.LBB99_1:                               ;   in Loop: Header=BB99_2 Depth=1
	v_lshlrev_b32_e32 v1, 3, v36
	v_lshlrev_b32_e32 v2, 3, v35
	v_lshlrev_b32_e32 v7, 3, v12
	v_add_u32_e32 v14, v34, v29
	; wave barrier
	ds_write_b64 v1, v[19:20]
	ds_write_b64 v2, v[15:16]
	;; [unrolled: 1-line block ×3, first 2 shown]
	s_waitcnt lgkmcnt(0)
	; wave barrier
	ds_read2_b64 v[3:6], v14 offset1:1
	ds_read_b64 v[12:13], v14 offset:16
	s_waitcnt lgkmcnt(0)
	; wave barrier
	ds_write_b64 v1, v[17:18]
	ds_write_b64 v2, v[9:10]
	;; [unrolled: 1-line block ×3, first 2 shown]
	s_waitcnt lgkmcnt(0)
	; wave barrier
	ds_read2_b64 v[7:10], v14 offset1:1
	ds_read_b64 v[14:15], v14 offset:16
	s_add_i32 s23, s23, 1
	v_xor_b32_e32 v4, 0x80000000, v4
	v_xor_b32_e32 v6, 0x80000000, v6
	s_cmp_eq_u32 s23, 10
	v_xor_b32_e32 v13, 0x80000000, v13
	s_cbranch_scc1 .LBB99_14
.LBB99_2:                               ; =>This Loop Header: Depth=1
                                        ;     Child Loop BB99_4 Depth 2
	v_xor_b32_e32 v4, 0x80000000, v4
	v_xor_b32_e32 v6, 0x80000000, v6
	;; [unrolled: 1-line block ×3, first 2 shown]
	ds_write2_b64 v30, v[3:4], v[5:6] offset1:1
	ds_write_b64 v30, v[12:13] offset:16
	; wave barrier
	ds_read2st64_b64 v[1:4], v31 offset1:1
	ds_read_b64 v[25:26], v31 offset:1024
	; wave barrier
	s_waitcnt lgkmcnt(5)
	ds_write2_b64 v30, v[7:8], v[9:10] offset1:1
	s_waitcnt lgkmcnt(5)
	ds_write_b64 v30, v[14:15] offset:16
	; wave barrier
	ds_read2st64_b64 v[5:8], v31 offset1:1
	ds_read_b64 v[27:28], v31 offset:1024
	v_mov_b32_e32 v13, 0
	v_mov_b32_e32 v14, 0
	s_waitcnt lgkmcnt(0)
	; wave barrier
	s_branch .LBB99_4
.LBB99_3:                               ;   in Loop: Header=BB99_4 Depth=2
	s_andn2_b64 vcc, exec, s[14:15]
	s_cbranch_vccz .LBB99_1
.LBB99_4:                               ;   Parent Loop BB99_2 Depth=1
                                        ; =>  This Inner Loop Header: Depth=2
	v_mov_b32_e32 v20, v2
	v_mov_b32_e32 v16, v4
	;; [unrolled: 1-line block ×4, first 2 shown]
	v_lshrrev_b64 v[3:4], v13, v[19:20]
	v_mov_b32_e32 v18, v6
	v_and_b32_e32 v1, 1, v3
	v_cmp_ne_u32_e32 vcc, 0, v1
	v_add_co_u32_e64 v1, s[14:15], -1, v1
	v_addc_co_u32_e64 v2, s[14:15], 0, -1, s[14:15]
	v_lshlrev_b32_e32 v12, 30, v3
	v_cmp_gt_i64_e64 s[14:15], 0, v[11:12]
	v_not_b32_e32 v4, v12
	v_ashrrev_i32_e32 v4, 31, v4
	v_xor_b32_e32 v1, vcc_lo, v1
	v_mov_b32_e32 v17, v5
	v_xor_b32_e32 v5, s15, v4
	v_and_b32_e32 v1, exec_lo, v1
	v_xor_b32_e32 v4, s14, v4
	v_lshlrev_b32_e32 v12, 29, v3
	v_xor_b32_e32 v2, vcc_hi, v2
	v_and_b32_e32 v1, v1, v4
	v_cmp_gt_i64_e32 vcc, 0, v[11:12]
	v_not_b32_e32 v4, v12
	v_and_b32_e32 v2, exec_hi, v2
	v_ashrrev_i32_e32 v4, 31, v4
	v_and_b32_e32 v2, v2, v5
	v_xor_b32_e32 v5, vcc_hi, v4
	v_xor_b32_e32 v4, vcc_lo, v4
	v_lshlrev_b32_e32 v12, 28, v3
	v_and_b32_e32 v1, v1, v4
	v_cmp_gt_i64_e32 vcc, 0, v[11:12]
	v_not_b32_e32 v4, v12
	v_ashrrev_i32_e32 v4, 31, v4
	v_and_b32_e32 v2, v2, v5
	v_xor_b32_e32 v5, vcc_hi, v4
	v_xor_b32_e32 v4, vcc_lo, v4
	v_lshlrev_b32_e32 v12, 27, v3
	v_and_b32_e32 v1, v1, v4
	v_cmp_gt_i64_e32 vcc, 0, v[11:12]
	v_not_b32_e32 v4, v12
	;; [unrolled: 8-line block ×5, first 2 shown]
	v_ashrrev_i32_e32 v4, 31, v4
	v_and_b32_e32 v2, v2, v5
	v_xor_b32_e32 v5, vcc_hi, v4
	v_xor_b32_e32 v4, vcc_lo, v4
	v_and_b32_e32 v1, v1, v4
	v_and_b32_e32 v3, 0xff, v3
	;; [unrolled: 1-line block ×3, first 2 shown]
	v_lshl_add_u32 v5, v3, 2, v33
	v_mbcnt_lo_u32_b32 v3, v1, 0
	v_mbcnt_hi_u32_b32 v6, v2, v3
	v_cmp_ne_u64_e32 vcc, 0, v[1:2]
	v_mov_b32_e32 v10, v8
	v_mov_b32_e32 v23, v25
	v_mov_b32_e32 v21, v27
	v_cmp_eq_u32_e64 s[14:15], 0, v6
	v_mov_b32_e32 v9, v7
	v_mov_b32_e32 v24, v26
	;; [unrolled: 1-line block ×3, first 2 shown]
	s_and_b64 s[24:25], vcc, s[14:15]
	ds_write2_b32 v34, v11, v11 offset0:1 offset1:2
	ds_write2_b32 v34, v11, v11 offset0:3 offset1:4
	s_waitcnt lgkmcnt(0)
	; wave barrier
	; wave barrier
	s_and_saveexec_b64 s[14:15], s[24:25]
; %bb.5:                                ;   in Loop: Header=BB99_4 Depth=2
	v_bcnt_u32_b32 v1, v1, 0
	v_bcnt_u32_b32 v1, v2, v1
	ds_write_b32 v5, v1 offset:4
; %bb.6:                                ;   in Loop: Header=BB99_4 Depth=2
	s_or_b64 exec, exec, s[14:15]
	v_lshrrev_b64 v[1:2], v13, v[15:16]
	v_and_b32_e32 v2, 0xff, v1
	v_lshl_add_u32 v8, v2, 2, v33
	v_and_b32_e32 v2, 1, v1
	v_add_co_u32_e32 v3, vcc, -1, v2
	v_addc_co_u32_e64 v4, s[14:15], 0, -1, vcc
	v_cmp_ne_u32_e32 vcc, 0, v2
	v_lshlrev_b32_e32 v12, 30, v1
	v_xor_b32_e32 v2, vcc_hi, v4
	v_xor_b32_e32 v3, vcc_lo, v3
	v_cmp_gt_i64_e32 vcc, 0, v[11:12]
	v_not_b32_e32 v4, v12
	v_ashrrev_i32_e32 v4, 31, v4
	v_and_b32_e32 v2, exec_hi, v2
	v_xor_b32_e32 v12, vcc_hi, v4
	v_and_b32_e32 v3, exec_lo, v3
	v_xor_b32_e32 v4, vcc_lo, v4
	v_and_b32_e32 v2, v2, v12
	v_lshlrev_b32_e32 v12, 29, v1
	v_and_b32_e32 v3, v3, v4
	v_cmp_gt_i64_e32 vcc, 0, v[11:12]
	v_not_b32_e32 v4, v12
	v_ashrrev_i32_e32 v4, 31, v4
	v_xor_b32_e32 v12, vcc_hi, v4
	v_xor_b32_e32 v4, vcc_lo, v4
	v_and_b32_e32 v2, v2, v12
	v_lshlrev_b32_e32 v12, 28, v1
	v_and_b32_e32 v3, v3, v4
	v_cmp_gt_i64_e32 vcc, 0, v[11:12]
	v_not_b32_e32 v4, v12
	v_ashrrev_i32_e32 v4, 31, v4
	v_xor_b32_e32 v12, vcc_hi, v4
	;; [unrolled: 8-line block ×5, first 2 shown]
	v_and_b32_e32 v2, v2, v12
	v_lshlrev_b32_e32 v12, 24, v1
	v_xor_b32_e32 v4, vcc_lo, v4
	v_cmp_gt_i64_e32 vcc, 0, v[11:12]
	v_not_b32_e32 v1, v12
	v_ashrrev_i32_e32 v1, 31, v1
	v_and_b32_e32 v3, v3, v4
	v_xor_b32_e32 v4, vcc_hi, v1
	v_xor_b32_e32 v1, vcc_lo, v1
	; wave barrier
	ds_read_b32 v7, v8 offset:4
	v_and_b32_e32 v1, v3, v1
	v_and_b32_e32 v2, v2, v4
	v_mbcnt_lo_u32_b32 v3, v1, 0
	v_mbcnt_hi_u32_b32 v25, v2, v3
	v_cmp_ne_u64_e32 vcc, 0, v[1:2]
	v_cmp_eq_u32_e64 s[14:15], 0, v25
	s_and_b64 s[24:25], vcc, s[14:15]
	; wave barrier
	s_and_saveexec_b64 s[14:15], s[24:25]
	s_cbranch_execz .LBB99_8
; %bb.7:                                ;   in Loop: Header=BB99_4 Depth=2
	v_bcnt_u32_b32 v1, v1, 0
	v_bcnt_u32_b32 v1, v2, v1
	s_waitcnt lgkmcnt(0)
	v_add_u32_e32 v1, v7, v1
	ds_write_b32 v8, v1 offset:4
.LBB99_8:                               ;   in Loop: Header=BB99_4 Depth=2
	s_or_b64 exec, exec, s[14:15]
	v_lshrrev_b64 v[1:2], v13, v[23:24]
	v_and_b32_e32 v2, 0xff, v1
	v_lshl_add_u32 v27, v2, 2, v33
	v_and_b32_e32 v2, 1, v1
	v_add_co_u32_e32 v3, vcc, -1, v2
	v_addc_co_u32_e64 v4, s[14:15], 0, -1, vcc
	v_cmp_ne_u32_e32 vcc, 0, v2
	v_lshlrev_b32_e32 v12, 30, v1
	v_xor_b32_e32 v2, vcc_hi, v4
	v_xor_b32_e32 v3, vcc_lo, v3
	v_cmp_gt_i64_e32 vcc, 0, v[11:12]
	v_not_b32_e32 v4, v12
	v_ashrrev_i32_e32 v4, 31, v4
	v_and_b32_e32 v2, exec_hi, v2
	v_xor_b32_e32 v12, vcc_hi, v4
	v_and_b32_e32 v3, exec_lo, v3
	v_xor_b32_e32 v4, vcc_lo, v4
	v_and_b32_e32 v2, v2, v12
	v_lshlrev_b32_e32 v12, 29, v1
	v_and_b32_e32 v3, v3, v4
	v_cmp_gt_i64_e32 vcc, 0, v[11:12]
	v_not_b32_e32 v4, v12
	v_ashrrev_i32_e32 v4, 31, v4
	v_xor_b32_e32 v12, vcc_hi, v4
	v_xor_b32_e32 v4, vcc_lo, v4
	v_and_b32_e32 v2, v2, v12
	v_lshlrev_b32_e32 v12, 28, v1
	v_and_b32_e32 v3, v3, v4
	v_cmp_gt_i64_e32 vcc, 0, v[11:12]
	v_not_b32_e32 v4, v12
	v_ashrrev_i32_e32 v4, 31, v4
	v_xor_b32_e32 v12, vcc_hi, v4
	;; [unrolled: 8-line block ×5, first 2 shown]
	v_and_b32_e32 v2, v2, v12
	v_lshlrev_b32_e32 v12, 24, v1
	v_xor_b32_e32 v4, vcc_lo, v4
	v_cmp_gt_i64_e32 vcc, 0, v[11:12]
	v_not_b32_e32 v1, v12
	v_ashrrev_i32_e32 v1, 31, v1
	v_and_b32_e32 v3, v3, v4
	v_xor_b32_e32 v4, vcc_hi, v1
	v_xor_b32_e32 v1, vcc_lo, v1
	; wave barrier
	ds_read_b32 v26, v27 offset:4
	v_and_b32_e32 v1, v3, v1
	v_and_b32_e32 v2, v2, v4
	v_mbcnt_lo_u32_b32 v3, v1, 0
	v_mbcnt_hi_u32_b32 v12, v2, v3
	v_cmp_ne_u64_e32 vcc, 0, v[1:2]
	v_cmp_eq_u32_e64 s[14:15], 0, v12
	s_and_b64 s[24:25], vcc, s[14:15]
	; wave barrier
	s_and_saveexec_b64 s[14:15], s[24:25]
	s_cbranch_execz .LBB99_10
; %bb.9:                                ;   in Loop: Header=BB99_4 Depth=2
	v_bcnt_u32_b32 v1, v1, 0
	v_bcnt_u32_b32 v1, v2, v1
	s_waitcnt lgkmcnt(0)
	v_add_u32_e32 v1, v26, v1
	ds_write_b32 v27, v1 offset:4
.LBB99_10:                              ;   in Loop: Header=BB99_4 Depth=2
	s_or_b64 exec, exec, s[14:15]
	; wave barrier
	s_waitcnt lgkmcnt(0)
	; wave barrier
	ds_read2_b32 v[3:4], v34 offset0:1 offset1:2
	ds_read2_b32 v[1:2], v34 offset0:3 offset1:4
	s_waitcnt lgkmcnt(1)
	v_add_u32_e32 v28, v4, v3
	s_waitcnt lgkmcnt(0)
	v_add3_u32 v2, v28, v1, v2
	s_nop 1
	v_mov_b32_dpp v28, v2 row_shr:1 row_mask:0xf bank_mask:0xf
	v_cndmask_b32_e64 v28, v28, 0, s[4:5]
	v_add_u32_e32 v2, v28, v2
	s_nop 1
	v_mov_b32_dpp v28, v2 row_shr:2 row_mask:0xf bank_mask:0xf
	v_cndmask_b32_e64 v28, 0, v28, s[6:7]
	v_add_u32_e32 v2, v2, v28
	;; [unrolled: 4-line block ×4, first 2 shown]
	s_nop 1
	v_mov_b32_dpp v28, v2 row_bcast:15 row_mask:0xf bank_mask:0xf
	v_cndmask_b32_e64 v28, v28, 0, s[12:13]
	v_add_u32_e32 v2, v2, v28
	s_nop 1
	v_mov_b32_dpp v28, v2 row_bcast:31 row_mask:0xf bank_mask:0xf
	v_cndmask_b32_e64 v28, 0, v28, s[2:3]
	v_add_u32_e32 v2, v2, v28
	s_and_saveexec_b64 s[14:15], s[0:1]
; %bb.11:                               ;   in Loop: Header=BB99_4 Depth=2
	ds_write_b32 v11, v2
; %bb.12:                               ;   in Loop: Header=BB99_4 Depth=2
	s_or_b64 exec, exec, s[14:15]
	ds_bpermute_b32 v2, v32, v2
	s_waitcnt lgkmcnt(0)
	; wave barrier
	v_cmp_lt_u32_e32 vcc, 55, v13
	s_and_b64 vcc, exec, vcc
	v_cndmask_b32_e64 v2, v2, 0, s[16:17]
	v_add_u32_e32 v3, v2, v3
	v_add_u32_e32 v4, v3, v4
	;; [unrolled: 1-line block ×3, first 2 shown]
	ds_write2_b32 v34, v2, v3 offset0:1 offset1:2
	ds_write2_b32 v34, v4, v1 offset0:3 offset1:4
	s_waitcnt lgkmcnt(0)
	; wave barrier
	ds_read_b32 v1, v5 offset:4
	ds_read_b32 v2, v8 offset:4
	ds_read_b32 v3, v27 offset:4
	s_mov_b64 s[14:15], -1
                                        ; implicit-def: $vgpr27_vgpr28
	s_waitcnt lgkmcnt(2)
	v_add_u32_e32 v36, v1, v6
	s_waitcnt lgkmcnt(1)
	v_add3_u32 v35, v25, v7, v2
	s_waitcnt lgkmcnt(0)
	v_add3_u32 v12, v12, v26, v3
                                        ; implicit-def: $vgpr25_vgpr26
                                        ; implicit-def: $vgpr3_vgpr4
                                        ; implicit-def: $vgpr7_vgpr8
	s_cbranch_vccnz .LBB99_3
; %bb.13:                               ;   in Loop: Header=BB99_4 Depth=2
	v_lshlrev_b32_e32 v5, 3, v36
	v_lshlrev_b32_e32 v6, 3, v35
	;; [unrolled: 1-line block ×3, first 2 shown]
	; wave barrier
	ds_write_b64 v5, v[19:20]
	ds_write_b64 v6, v[15:16]
	ds_write_b64 v7, v[23:24]
	s_waitcnt lgkmcnt(0)
	; wave barrier
	ds_read2st64_b64 v[1:4], v31 offset1:1
	ds_read_b64 v[25:26], v31 offset:1024
	s_waitcnt lgkmcnt(0)
	; wave barrier
	ds_write_b64 v5, v[17:18]
	ds_write_b64 v6, v[9:10]
	ds_write_b64 v7, v[21:22]
	s_waitcnt lgkmcnt(0)
	; wave barrier
	ds_read_b64 v[27:28], v31 offset:1024
	ds_read2st64_b64 v[5:8], v31 offset1:1
	v_add_co_u32_e32 v13, vcc, 8, v13
	v_addc_co_u32_e32 v14, vcc, 0, v14, vcc
	s_mov_b64 s[14:15], 0
	s_waitcnt lgkmcnt(0)
	; wave barrier
	s_branch .LBB99_3
.LBB99_14:
	s_waitcnt lgkmcnt(1)
	v_add_co_u32_e32 v1, vcc, v3, v7
	v_addc_co_u32_e32 v2, vcc, v4, v8, vcc
	v_add_co_u32_e32 v3, vcc, v5, v9
	v_addc_co_u32_e32 v4, vcc, v6, v10, vcc
	s_add_u32 s0, s18, s20
	s_waitcnt lgkmcnt(0)
	v_add_co_u32_e32 v5, vcc, v12, v14
	s_addc_u32 s1, s19, s21
	v_lshlrev_b32_e32 v0, 3, v0
	v_addc_co_u32_e32 v6, vcc, v13, v15, vcc
	global_store_dwordx2 v0, v[1:2], s[0:1]
	global_store_dwordx2 v0, v[3:4], s[0:1] offset:512
	global_store_dwordx2 v0, v[5:6], s[0:1] offset:1024
	s_endpgm
	.section	.rodata,"a",@progbits
	.p2align	6, 0x0
	.amdhsa_kernel _Z17sort_pairs_kernelI22helper_blocked_blockedxLj64ELj3ELj10EEvPKT0_PS1_
		.amdhsa_group_segment_fixed_size 1536
		.amdhsa_private_segment_fixed_size 0
		.amdhsa_kernarg_size 272
		.amdhsa_user_sgpr_count 6
		.amdhsa_user_sgpr_private_segment_buffer 1
		.amdhsa_user_sgpr_dispatch_ptr 0
		.amdhsa_user_sgpr_queue_ptr 0
		.amdhsa_user_sgpr_kernarg_segment_ptr 1
		.amdhsa_user_sgpr_dispatch_id 0
		.amdhsa_user_sgpr_flat_scratch_init 0
		.amdhsa_user_sgpr_private_segment_size 0
		.amdhsa_uses_dynamic_stack 0
		.amdhsa_system_sgpr_private_segment_wavefront_offset 0
		.amdhsa_system_sgpr_workgroup_id_x 1
		.amdhsa_system_sgpr_workgroup_id_y 0
		.amdhsa_system_sgpr_workgroup_id_z 0
		.amdhsa_system_sgpr_workgroup_info 0
		.amdhsa_system_vgpr_workitem_id 2
		.amdhsa_next_free_vgpr 37
		.amdhsa_next_free_sgpr 26
		.amdhsa_reserve_vcc 1
		.amdhsa_reserve_flat_scratch 0
		.amdhsa_float_round_mode_32 0
		.amdhsa_float_round_mode_16_64 0
		.amdhsa_float_denorm_mode_32 3
		.amdhsa_float_denorm_mode_16_64 3
		.amdhsa_dx10_clamp 1
		.amdhsa_ieee_mode 1
		.amdhsa_fp16_overflow 0
		.amdhsa_exception_fp_ieee_invalid_op 0
		.amdhsa_exception_fp_denorm_src 0
		.amdhsa_exception_fp_ieee_div_zero 0
		.amdhsa_exception_fp_ieee_overflow 0
		.amdhsa_exception_fp_ieee_underflow 0
		.amdhsa_exception_fp_ieee_inexact 0
		.amdhsa_exception_int_div_zero 0
	.end_amdhsa_kernel
	.section	.text._Z17sort_pairs_kernelI22helper_blocked_blockedxLj64ELj3ELj10EEvPKT0_PS1_,"axG",@progbits,_Z17sort_pairs_kernelI22helper_blocked_blockedxLj64ELj3ELj10EEvPKT0_PS1_,comdat
.Lfunc_end99:
	.size	_Z17sort_pairs_kernelI22helper_blocked_blockedxLj64ELj3ELj10EEvPKT0_PS1_, .Lfunc_end99-_Z17sort_pairs_kernelI22helper_blocked_blockedxLj64ELj3ELj10EEvPKT0_PS1_
                                        ; -- End function
	.set _Z17sort_pairs_kernelI22helper_blocked_blockedxLj64ELj3ELj10EEvPKT0_PS1_.num_vgpr, 37
	.set _Z17sort_pairs_kernelI22helper_blocked_blockedxLj64ELj3ELj10EEvPKT0_PS1_.num_agpr, 0
	.set _Z17sort_pairs_kernelI22helper_blocked_blockedxLj64ELj3ELj10EEvPKT0_PS1_.numbered_sgpr, 26
	.set _Z17sort_pairs_kernelI22helper_blocked_blockedxLj64ELj3ELj10EEvPKT0_PS1_.num_named_barrier, 0
	.set _Z17sort_pairs_kernelI22helper_blocked_blockedxLj64ELj3ELj10EEvPKT0_PS1_.private_seg_size, 0
	.set _Z17sort_pairs_kernelI22helper_blocked_blockedxLj64ELj3ELj10EEvPKT0_PS1_.uses_vcc, 1
	.set _Z17sort_pairs_kernelI22helper_blocked_blockedxLj64ELj3ELj10EEvPKT0_PS1_.uses_flat_scratch, 0
	.set _Z17sort_pairs_kernelI22helper_blocked_blockedxLj64ELj3ELj10EEvPKT0_PS1_.has_dyn_sized_stack, 0
	.set _Z17sort_pairs_kernelI22helper_blocked_blockedxLj64ELj3ELj10EEvPKT0_PS1_.has_recursion, 0
	.set _Z17sort_pairs_kernelI22helper_blocked_blockedxLj64ELj3ELj10EEvPKT0_PS1_.has_indirect_call, 0
	.section	.AMDGPU.csdata,"",@progbits
; Kernel info:
; codeLenInByte = 2232
; TotalNumSgprs: 30
; NumVgprs: 37
; ScratchSize: 0
; MemoryBound: 0
; FloatMode: 240
; IeeeMode: 1
; LDSByteSize: 1536 bytes/workgroup (compile time only)
; SGPRBlocks: 3
; VGPRBlocks: 9
; NumSGPRsForWavesPerEU: 30
; NumVGPRsForWavesPerEU: 37
; Occupancy: 6
; WaveLimiterHint : 1
; COMPUTE_PGM_RSRC2:SCRATCH_EN: 0
; COMPUTE_PGM_RSRC2:USER_SGPR: 6
; COMPUTE_PGM_RSRC2:TRAP_HANDLER: 0
; COMPUTE_PGM_RSRC2:TGID_X_EN: 1
; COMPUTE_PGM_RSRC2:TGID_Y_EN: 0
; COMPUTE_PGM_RSRC2:TGID_Z_EN: 0
; COMPUTE_PGM_RSRC2:TIDIG_COMP_CNT: 2
	.section	.text._Z16sort_keys_kernelI22helper_blocked_blockedxLj64ELj4ELj10EEvPKT0_PS1_,"axG",@progbits,_Z16sort_keys_kernelI22helper_blocked_blockedxLj64ELj4ELj10EEvPKT0_PS1_,comdat
	.protected	_Z16sort_keys_kernelI22helper_blocked_blockedxLj64ELj4ELj10EEvPKT0_PS1_ ; -- Begin function _Z16sort_keys_kernelI22helper_blocked_blockedxLj64ELj4ELj10EEvPKT0_PS1_
	.globl	_Z16sort_keys_kernelI22helper_blocked_blockedxLj64ELj4ELj10EEvPKT0_PS1_
	.p2align	8
	.type	_Z16sort_keys_kernelI22helper_blocked_blockedxLj64ELj4ELj10EEvPKT0_PS1_,@function
_Z16sort_keys_kernelI22helper_blocked_blockedxLj64ELj4ELj10EEvPKT0_PS1_: ; @_Z16sort_keys_kernelI22helper_blocked_blockedxLj64ELj4ELj10EEvPKT0_PS1_
; %bb.0:
	s_load_dwordx4 s[24:27], s[4:5], 0x0
	s_load_dword s8, s[4:5], 0x1c
	s_lshl_b32 s28, s6, 8
	s_mov_b32 s29, 0
	s_lshl_b64 s[30:31], s[28:29], 3
	s_waitcnt lgkmcnt(0)
	s_add_u32 s0, s24, s30
	s_addc_u32 s1, s25, s31
	v_lshlrev_b32_e32 v11, 3, v0
	global_load_dwordx2 v[7:8], v11, s[0:1]
	global_load_dwordx2 v[9:10], v11, s[0:1] offset:512
	global_load_dwordx2 v[3:4], v11, s[0:1] offset:1024
	;; [unrolled: 1-line block ×3, first 2 shown]
	v_mbcnt_lo_u32_b32 v11, -1, 0
	v_mbcnt_hi_u32_b32 v11, -1, v11
	s_lshr_b32 s9, s8, 16
	s_and_b32 s8, s8, 0xffff
	v_mad_u32_u24 v1, v2, s9, v1
	v_and_b32_e32 v2, 15, v11
	v_and_b32_e32 v13, 3, v11
	v_mad_u32_u24 v1, v1, s8, v0
	v_cmp_eq_u32_e64 s[8:9], 0, v2
	v_cmp_lt_u32_e64 s[10:11], 1, v2
	v_cmp_lt_u32_e64 s[12:13], 3, v2
	;; [unrolled: 1-line block ×3, first 2 shown]
	v_and_b32_e32 v2, 16, v11
	v_lshrrev_b32_e32 v12, 2, v11
	v_cmp_eq_u32_e64 s[0:1], 3, v13
	v_cmp_eq_u32_e64 s[2:3], 2, v13
	;; [unrolled: 1-line block ×4, first 2 shown]
	v_and_b32_e32 v13, 64, v11
	v_cmp_eq_u32_e64 s[16:17], 0, v2
	v_subrev_co_u32_e32 v2, vcc, 1, v11
	v_or_b32_e32 v15, v12, v13
	v_add_u32_e32 v12, 48, v12
	v_cmp_lt_i32_e64 s[22:23], v2, v13
	v_lshlrev_b32_e32 v22, 2, v15
	v_and_or_b32 v12, v12, 63, v13
	v_lshlrev_b32_e32 v26, 4, v0
	v_cndmask_b32_e64 v2, v2, v11, s[22:23]
	v_cmp_eq_u32_e64 s[22:23], 0, v0
	v_lshrrev_b32_e32 v1, 4, v1
	v_mov_b32_e32 v14, 0
	v_add_u32_e32 v23, 64, v22
	v_or_b32_e32 v24, 0x80, v22
	v_lshlrev_b32_e32 v25, 2, v12
	v_cmp_lt_u32_e64 s[18:19], 31, v11
	v_cmp_eq_u32_e64 s[20:21], 63, v0
	v_lshlrev_b32_e32 v27, 2, v2
	s_or_b64 s[24:25], s[22:23], vcc
	v_lshlrev_b32_e32 v28, 3, v11
	v_and_b32_e32 v29, 0xffffffc, v1
	v_add_u32_e32 v30, v26, v26
	s_branch .LBB100_2
.LBB100_1:                              ;   in Loop: Header=BB100_2 Depth=1
	v_lshlrev_b32_e32 v1, 3, v35
	; wave barrier
	ds_write_b64 v1, v[20:21]
	v_lshlrev_b32_e32 v1, 3, v32
	ds_write_b64 v1, v[18:19]
	v_lshlrev_b32_e32 v1, 3, v31
	;; [unrolled: 2-line block ×3, first 2 shown]
	ds_write_b64 v1, v[5:6]
	s_waitcnt lgkmcnt(0)
	; wave barrier
	ds_read2_b64 v[7:10], v30 offset1:1
	ds_read2_b64 v[3:6], v30 offset0:2 offset1:3
	s_add_i32 s29, s29, 1
	s_cmp_eq_u32 s29, 10
	s_waitcnt lgkmcnt(1)
	v_xor_b32_e32 v8, 0x80000000, v8
	v_xor_b32_e32 v10, 0x80000000, v10
	s_waitcnt lgkmcnt(0)
	v_xor_b32_e32 v4, 0x80000000, v4
	v_xor_b32_e32 v6, 0x80000000, v6
	s_cbranch_scc1 .LBB100_16
.LBB100_2:                              ; =>This Loop Header: Depth=1
                                        ;     Child Loop BB100_4 Depth 2
	s_waitcnt vmcnt(3)
	v_xor_b32_e32 v1, 0x80000000, v8
	ds_bpermute_b32 v2, v22, v7
	ds_bpermute_b32 v8, v22, v1
	s_waitcnt vmcnt(2)
	v_xor_b32_e32 v15, 0x80000000, v10
	ds_bpermute_b32 v10, v22, v9
	ds_bpermute_b32 v11, v22, v15
	s_waitcnt vmcnt(1)
	v_xor_b32_e32 v4, 0x80000000, v4
	s_waitcnt lgkmcnt(3)
	v_cndmask_b32_e64 v2, 0, v2, s[6:7]
	ds_bpermute_b32 v12, v22, v4
	ds_bpermute_b32 v13, v22, v3
	s_waitcnt lgkmcnt(4)
	v_cndmask_b32_e64 v8, 0, v8, s[6:7]
	s_waitcnt lgkmcnt(3)
	v_cndmask_b32_e64 v2, v2, v10, s[4:5]
	s_waitcnt vmcnt(0)
	ds_bpermute_b32 v10, v22, v5
	v_xor_b32_e32 v6, 0x80000000, v6
	s_waitcnt lgkmcnt(3)
	v_cndmask_b32_e64 v8, v8, v11, s[4:5]
	ds_bpermute_b32 v11, v22, v6
	s_waitcnt lgkmcnt(3)
	v_cndmask_b32_e64 v8, v8, v12, s[2:3]
	s_waitcnt lgkmcnt(2)
	v_cndmask_b32_e64 v2, v2, v13, s[2:3]
	ds_bpermute_b32 v12, v23, v7
	s_waitcnt lgkmcnt(2)
	v_cndmask_b32_e64 v10, v2, v10, s[0:1]
	ds_bpermute_b32 v2, v23, v1
	ds_bpermute_b32 v13, v23, v9
	s_waitcnt lgkmcnt(3)
	v_cndmask_b32_e64 v11, v8, v11, s[0:1]
	ds_bpermute_b32 v8, v23, v15
	s_waitcnt lgkmcnt(3)
	v_cndmask_b32_e64 v12, 0, v12, s[6:7]
	s_waitcnt lgkmcnt(2)
	v_cndmask_b32_e64 v2, 0, v2, s[6:7]
	;; [unrolled: 2-line block ×3, first 2 shown]
	ds_bpermute_b32 v13, v23, v4
	s_waitcnt lgkmcnt(1)
	v_cndmask_b32_e64 v2, v2, v8, s[4:5]
	ds_bpermute_b32 v8, v23, v3
	ds_bpermute_b32 v17, v23, v6
	;; [unrolled: 1-line block ×4, first 2 shown]
	s_waitcnt lgkmcnt(4)
	v_cndmask_b32_e64 v2, v2, v13, s[2:3]
	s_waitcnt lgkmcnt(3)
	v_cndmask_b32_e64 v8, v12, v8, s[2:3]
	;; [unrolled: 2-line block ×3, first 2 shown]
	ds_bpermute_b32 v2, v24, v7
	ds_bpermute_b32 v17, v24, v15
	s_waitcnt lgkmcnt(3)
	v_cndmask_b32_e64 v12, v8, v16, s[0:1]
	s_waitcnt lgkmcnt(2)
	v_cndmask_b32_e64 v8, 0, v18, s[6:7]
	ds_bpermute_b32 v16, v24, v9
	ds_bpermute_b32 v18, v24, v4
	s_waitcnt lgkmcnt(3)
	v_cndmask_b32_e64 v2, 0, v2, s[6:7]
	ds_bpermute_b32 v19, v24, v3
	s_waitcnt lgkmcnt(3)
	v_cndmask_b32_e64 v8, v8, v17, s[4:5]
	s_waitcnt lgkmcnt(2)
	v_cndmask_b32_e64 v2, v2, v16, s[4:5]
	;; [unrolled: 2-line block ×3, first 2 shown]
	ds_bpermute_b32 v16, v24, v5
	ds_bpermute_b32 v17, v24, v6
	;; [unrolled: 1-line block ×10, first 2 shown]
	s_waitcnt lgkmcnt(10)
	v_cndmask_b32_e64 v2, v2, v19, s[2:3]
	s_waitcnt lgkmcnt(9)
	v_cndmask_b32_e64 v1, v2, v16, s[0:1]
	s_waitcnt lgkmcnt(8)
	v_cndmask_b32_e64 v2, v8, v17, s[0:1]
	s_waitcnt lgkmcnt(7)
	v_cndmask_b32_e64 v8, 0, v18, s[6:7]
	s_waitcnt lgkmcnt(6)
	v_cndmask_b32_e64 v7, 0, v7, s[6:7]
	s_waitcnt lgkmcnt(5)
	v_cndmask_b32_e64 v7, v7, v9, s[4:5]
	s_waitcnt lgkmcnt(4)
	v_cndmask_b32_e64 v8, v8, v15, s[4:5]
	s_waitcnt lgkmcnt(3)
	v_cndmask_b32_e64 v4, v8, v4, s[2:3]
	s_waitcnt lgkmcnt(2)
	v_cndmask_b32_e64 v3, v7, v3, s[2:3]
	v_mov_b32_e32 v7, 0
	s_waitcnt lgkmcnt(1)
	v_cndmask_b32_e64 v3, v3, v5, s[0:1]
	s_waitcnt lgkmcnt(0)
	v_cndmask_b32_e64 v4, v4, v6, s[0:1]
	v_mov_b32_e32 v8, 0
	; wave barrier
	s_branch .LBB100_4
.LBB100_3:                              ;   in Loop: Header=BB100_4 Depth=2
	s_andn2_b64 vcc, exec, s[22:23]
	s_cbranch_vccz .LBB100_1
.LBB100_4:                              ;   Parent Loop BB100_2 Depth=1
                                        ; =>  This Inner Loop Header: Depth=2
	v_mov_b32_e32 v21, v11
	v_mov_b32_e32 v17, v2
	v_mov_b32_e32 v20, v10
	v_mov_b32_e32 v16, v1
	v_lshrrev_b64 v[1:2], v7, v[20:21]
	v_mov_b32_e32 v6, v4
	v_and_b32_e32 v2, 0xff, v1
	v_lshl_add_u32 v9, v2, 2, v29
	v_and_b32_e32 v2, 1, v1
	v_mov_b32_e32 v5, v3
	v_add_co_u32_e32 v3, vcc, -1, v2
	v_addc_co_u32_e64 v4, s[22:23], 0, -1, vcc
	v_cmp_ne_u32_e32 vcc, 0, v2
	v_lshlrev_b32_e32 v15, 30, v1
	v_xor_b32_e32 v2, vcc_hi, v4
	v_xor_b32_e32 v3, vcc_lo, v3
	v_cmp_gt_i64_e32 vcc, 0, v[14:15]
	v_not_b32_e32 v4, v15
	v_ashrrev_i32_e32 v4, 31, v4
	v_and_b32_e32 v3, exec_lo, v3
	v_xor_b32_e32 v10, vcc_hi, v4
	v_xor_b32_e32 v4, vcc_lo, v4
	v_lshlrev_b32_e32 v15, 29, v1
	v_and_b32_e32 v3, v3, v4
	v_cmp_gt_i64_e32 vcc, 0, v[14:15]
	v_not_b32_e32 v4, v15
	v_and_b32_e32 v2, exec_hi, v2
	v_ashrrev_i32_e32 v4, 31, v4
	v_and_b32_e32 v2, v2, v10
	v_xor_b32_e32 v10, vcc_hi, v4
	v_xor_b32_e32 v4, vcc_lo, v4
	v_lshlrev_b32_e32 v15, 28, v1
	v_and_b32_e32 v3, v3, v4
	v_cmp_gt_i64_e32 vcc, 0, v[14:15]
	v_not_b32_e32 v4, v15
	v_ashrrev_i32_e32 v4, 31, v4
	v_and_b32_e32 v2, v2, v10
	v_xor_b32_e32 v10, vcc_hi, v4
	v_xor_b32_e32 v4, vcc_lo, v4
	v_lshlrev_b32_e32 v15, 27, v1
	v_and_b32_e32 v3, v3, v4
	v_cmp_gt_i64_e32 vcc, 0, v[14:15]
	v_not_b32_e32 v4, v15
	v_ashrrev_i32_e32 v4, 31, v4
	v_and_b32_e32 v2, v2, v10
	v_xor_b32_e32 v10, vcc_hi, v4
	v_xor_b32_e32 v4, vcc_lo, v4
	v_lshlrev_b32_e32 v15, 26, v1
	v_and_b32_e32 v3, v3, v4
	v_cmp_gt_i64_e32 vcc, 0, v[14:15]
	v_not_b32_e32 v4, v15
	v_ashrrev_i32_e32 v4, 31, v4
	v_and_b32_e32 v2, v2, v10
	v_xor_b32_e32 v10, vcc_hi, v4
	v_xor_b32_e32 v4, vcc_lo, v4
	v_lshlrev_b32_e32 v15, 25, v1
	v_and_b32_e32 v3, v3, v4
	v_cmp_gt_i64_e32 vcc, 0, v[14:15]
	v_not_b32_e32 v4, v15
	v_ashrrev_i32_e32 v4, 31, v4
	v_lshlrev_b32_e32 v15, 24, v1
	v_and_b32_e32 v2, v2, v10
	v_xor_b32_e32 v10, vcc_hi, v4
	v_xor_b32_e32 v4, vcc_lo, v4
	v_cmp_gt_i64_e32 vcc, 0, v[14:15]
	v_not_b32_e32 v1, v15
	v_ashrrev_i32_e32 v1, 31, v1
	v_and_b32_e32 v3, v3, v4
	v_xor_b32_e32 v4, vcc_hi, v1
	v_xor_b32_e32 v1, vcc_lo, v1
	v_and_b32_e32 v2, v2, v10
	v_and_b32_e32 v1, v3, v1
	v_and_b32_e32 v2, v2, v4
	v_mbcnt_lo_u32_b32 v3, v1, 0
	v_mbcnt_hi_u32_b32 v10, v2, v3
	v_cmp_ne_u64_e32 vcc, 0, v[1:2]
	v_mov_b32_e32 v19, v13
	v_cmp_eq_u32_e64 s[22:23], 0, v10
	v_mov_b32_e32 v18, v12
	s_and_b64 s[34:35], vcc, s[22:23]
	ds_write2_b32 v26, v14, v14 offset0:1 offset1:2
	ds_write2_b32 v26, v14, v14 offset0:3 offset1:4
	s_waitcnt lgkmcnt(0)
	; wave barrier
	; wave barrier
	s_and_saveexec_b64 s[22:23], s[34:35]
; %bb.5:                                ;   in Loop: Header=BB100_4 Depth=2
	v_bcnt_u32_b32 v1, v1, 0
	v_bcnt_u32_b32 v1, v2, v1
	ds_write_b32 v9, v1 offset:4
; %bb.6:                                ;   in Loop: Header=BB100_4 Depth=2
	s_or_b64 exec, exec, s[22:23]
	v_lshrrev_b64 v[1:2], v7, v[18:19]
	v_and_b32_e32 v2, 0xff, v1
	v_lshl_add_u32 v12, v2, 2, v29
	v_and_b32_e32 v2, 1, v1
	v_add_co_u32_e32 v3, vcc, -1, v2
	v_addc_co_u32_e64 v4, s[22:23], 0, -1, vcc
	v_cmp_ne_u32_e32 vcc, 0, v2
	v_lshlrev_b32_e32 v15, 30, v1
	v_xor_b32_e32 v2, vcc_hi, v4
	v_xor_b32_e32 v3, vcc_lo, v3
	v_cmp_gt_i64_e32 vcc, 0, v[14:15]
	v_not_b32_e32 v4, v15
	v_ashrrev_i32_e32 v4, 31, v4
	v_and_b32_e32 v3, exec_lo, v3
	v_xor_b32_e32 v13, vcc_hi, v4
	v_xor_b32_e32 v4, vcc_lo, v4
	v_lshlrev_b32_e32 v15, 29, v1
	v_and_b32_e32 v3, v3, v4
	v_cmp_gt_i64_e32 vcc, 0, v[14:15]
	v_not_b32_e32 v4, v15
	v_and_b32_e32 v2, exec_hi, v2
	v_ashrrev_i32_e32 v4, 31, v4
	v_and_b32_e32 v2, v2, v13
	v_xor_b32_e32 v13, vcc_hi, v4
	v_xor_b32_e32 v4, vcc_lo, v4
	v_lshlrev_b32_e32 v15, 28, v1
	v_and_b32_e32 v3, v3, v4
	v_cmp_gt_i64_e32 vcc, 0, v[14:15]
	v_not_b32_e32 v4, v15
	v_ashrrev_i32_e32 v4, 31, v4
	v_and_b32_e32 v2, v2, v13
	v_xor_b32_e32 v13, vcc_hi, v4
	v_xor_b32_e32 v4, vcc_lo, v4
	v_lshlrev_b32_e32 v15, 27, v1
	v_and_b32_e32 v3, v3, v4
	v_cmp_gt_i64_e32 vcc, 0, v[14:15]
	v_not_b32_e32 v4, v15
	;; [unrolled: 8-line block ×4, first 2 shown]
	v_ashrrev_i32_e32 v4, 31, v4
	v_lshlrev_b32_e32 v15, 24, v1
	v_and_b32_e32 v2, v2, v13
	v_xor_b32_e32 v13, vcc_hi, v4
	v_xor_b32_e32 v4, vcc_lo, v4
	v_cmp_gt_i64_e32 vcc, 0, v[14:15]
	v_not_b32_e32 v1, v15
	v_ashrrev_i32_e32 v1, 31, v1
	v_and_b32_e32 v3, v3, v4
	v_xor_b32_e32 v4, vcc_hi, v1
	v_xor_b32_e32 v1, vcc_lo, v1
	; wave barrier
	ds_read_b32 v11, v12 offset:4
	v_and_b32_e32 v2, v2, v13
	v_and_b32_e32 v1, v3, v1
	;; [unrolled: 1-line block ×3, first 2 shown]
	v_mbcnt_lo_u32_b32 v3, v1, 0
	v_mbcnt_hi_u32_b32 v13, v2, v3
	v_cmp_ne_u64_e32 vcc, 0, v[1:2]
	v_cmp_eq_u32_e64 s[22:23], 0, v13
	s_and_b64 s[34:35], vcc, s[22:23]
	; wave barrier
	s_and_saveexec_b64 s[22:23], s[34:35]
	s_cbranch_execz .LBB100_8
; %bb.7:                                ;   in Loop: Header=BB100_4 Depth=2
	v_bcnt_u32_b32 v1, v1, 0
	v_bcnt_u32_b32 v1, v2, v1
	s_waitcnt lgkmcnt(0)
	v_add_u32_e32 v1, v11, v1
	ds_write_b32 v12, v1 offset:4
.LBB100_8:                              ;   in Loop: Header=BB100_4 Depth=2
	s_or_b64 exec, exec, s[22:23]
	v_lshrrev_b64 v[1:2], v7, v[16:17]
	v_and_b32_e32 v2, 0xff, v1
	v_lshl_add_u32 v32, v2, 2, v29
	v_and_b32_e32 v2, 1, v1
	v_add_co_u32_e32 v3, vcc, -1, v2
	v_addc_co_u32_e64 v4, s[22:23], 0, -1, vcc
	v_cmp_ne_u32_e32 vcc, 0, v2
	v_lshlrev_b32_e32 v15, 30, v1
	v_xor_b32_e32 v2, vcc_hi, v4
	v_xor_b32_e32 v3, vcc_lo, v3
	v_cmp_gt_i64_e32 vcc, 0, v[14:15]
	v_not_b32_e32 v4, v15
	v_ashrrev_i32_e32 v4, 31, v4
	v_and_b32_e32 v2, exec_hi, v2
	v_xor_b32_e32 v15, vcc_hi, v4
	v_and_b32_e32 v3, exec_lo, v3
	v_xor_b32_e32 v4, vcc_lo, v4
	v_and_b32_e32 v2, v2, v15
	v_lshlrev_b32_e32 v15, 29, v1
	v_and_b32_e32 v3, v3, v4
	v_cmp_gt_i64_e32 vcc, 0, v[14:15]
	v_not_b32_e32 v4, v15
	v_ashrrev_i32_e32 v4, 31, v4
	v_xor_b32_e32 v15, vcc_hi, v4
	v_xor_b32_e32 v4, vcc_lo, v4
	v_and_b32_e32 v2, v2, v15
	v_lshlrev_b32_e32 v15, 28, v1
	v_and_b32_e32 v3, v3, v4
	v_cmp_gt_i64_e32 vcc, 0, v[14:15]
	v_not_b32_e32 v4, v15
	v_ashrrev_i32_e32 v4, 31, v4
	v_xor_b32_e32 v15, vcc_hi, v4
	;; [unrolled: 8-line block ×5, first 2 shown]
	v_and_b32_e32 v2, v2, v15
	v_lshlrev_b32_e32 v15, 24, v1
	v_xor_b32_e32 v4, vcc_lo, v4
	v_cmp_gt_i64_e32 vcc, 0, v[14:15]
	v_not_b32_e32 v1, v15
	v_ashrrev_i32_e32 v1, 31, v1
	v_and_b32_e32 v3, v3, v4
	v_xor_b32_e32 v4, vcc_hi, v1
	v_xor_b32_e32 v1, vcc_lo, v1
	; wave barrier
	ds_read_b32 v31, v32 offset:4
	v_and_b32_e32 v1, v3, v1
	v_and_b32_e32 v2, v2, v4
	v_mbcnt_lo_u32_b32 v3, v1, 0
	v_mbcnt_hi_u32_b32 v33, v2, v3
	v_cmp_ne_u64_e32 vcc, 0, v[1:2]
	v_cmp_eq_u32_e64 s[22:23], 0, v33
	s_and_b64 s[34:35], vcc, s[22:23]
	; wave barrier
	s_and_saveexec_b64 s[22:23], s[34:35]
	s_cbranch_execz .LBB100_10
; %bb.9:                                ;   in Loop: Header=BB100_4 Depth=2
	v_bcnt_u32_b32 v1, v1, 0
	v_bcnt_u32_b32 v1, v2, v1
	s_waitcnt lgkmcnt(0)
	v_add_u32_e32 v1, v31, v1
	ds_write_b32 v32, v1 offset:4
.LBB100_10:                             ;   in Loop: Header=BB100_4 Depth=2
	s_or_b64 exec, exec, s[22:23]
	v_lshrrev_b64 v[1:2], v7, v[5:6]
	v_and_b32_e32 v2, 0xff, v1
	v_lshl_add_u32 v35, v2, 2, v29
	v_and_b32_e32 v2, 1, v1
	v_add_co_u32_e32 v3, vcc, -1, v2
	v_addc_co_u32_e64 v4, s[22:23], 0, -1, vcc
	v_cmp_ne_u32_e32 vcc, 0, v2
	v_lshlrev_b32_e32 v15, 30, v1
	v_xor_b32_e32 v2, vcc_hi, v4
	v_xor_b32_e32 v3, vcc_lo, v3
	v_cmp_gt_i64_e32 vcc, 0, v[14:15]
	v_not_b32_e32 v4, v15
	v_ashrrev_i32_e32 v4, 31, v4
	v_and_b32_e32 v2, exec_hi, v2
	v_xor_b32_e32 v15, vcc_hi, v4
	v_and_b32_e32 v3, exec_lo, v3
	v_xor_b32_e32 v4, vcc_lo, v4
	v_and_b32_e32 v2, v2, v15
	v_lshlrev_b32_e32 v15, 29, v1
	v_and_b32_e32 v3, v3, v4
	v_cmp_gt_i64_e32 vcc, 0, v[14:15]
	v_not_b32_e32 v4, v15
	v_ashrrev_i32_e32 v4, 31, v4
	v_xor_b32_e32 v15, vcc_hi, v4
	v_xor_b32_e32 v4, vcc_lo, v4
	v_and_b32_e32 v2, v2, v15
	v_lshlrev_b32_e32 v15, 28, v1
	v_and_b32_e32 v3, v3, v4
	v_cmp_gt_i64_e32 vcc, 0, v[14:15]
	v_not_b32_e32 v4, v15
	v_ashrrev_i32_e32 v4, 31, v4
	v_xor_b32_e32 v15, vcc_hi, v4
	;; [unrolled: 8-line block ×5, first 2 shown]
	v_and_b32_e32 v2, v2, v15
	v_lshlrev_b32_e32 v15, 24, v1
	v_xor_b32_e32 v4, vcc_lo, v4
	v_cmp_gt_i64_e32 vcc, 0, v[14:15]
	v_not_b32_e32 v1, v15
	v_ashrrev_i32_e32 v1, 31, v1
	v_and_b32_e32 v3, v3, v4
	v_xor_b32_e32 v4, vcc_hi, v1
	v_xor_b32_e32 v1, vcc_lo, v1
	; wave barrier
	ds_read_b32 v34, v35 offset:4
	v_and_b32_e32 v1, v3, v1
	v_and_b32_e32 v2, v2, v4
	v_mbcnt_lo_u32_b32 v3, v1, 0
	v_mbcnt_hi_u32_b32 v15, v2, v3
	v_cmp_ne_u64_e32 vcc, 0, v[1:2]
	v_cmp_eq_u32_e64 s[22:23], 0, v15
	s_and_b64 s[34:35], vcc, s[22:23]
	; wave barrier
	s_and_saveexec_b64 s[22:23], s[34:35]
	s_cbranch_execz .LBB100_12
; %bb.11:                               ;   in Loop: Header=BB100_4 Depth=2
	v_bcnt_u32_b32 v1, v1, 0
	v_bcnt_u32_b32 v1, v2, v1
	s_waitcnt lgkmcnt(0)
	v_add_u32_e32 v1, v34, v1
	ds_write_b32 v35, v1 offset:4
.LBB100_12:                             ;   in Loop: Header=BB100_4 Depth=2
	s_or_b64 exec, exec, s[22:23]
	; wave barrier
	s_waitcnt lgkmcnt(0)
	; wave barrier
	ds_read2_b32 v[3:4], v26 offset0:1 offset1:2
	ds_read2_b32 v[1:2], v26 offset0:3 offset1:4
	s_waitcnt lgkmcnt(1)
	v_add_u32_e32 v36, v4, v3
	s_waitcnt lgkmcnt(0)
	v_add3_u32 v2, v36, v1, v2
	s_nop 1
	v_mov_b32_dpp v36, v2 row_shr:1 row_mask:0xf bank_mask:0xf
	v_cndmask_b32_e64 v36, v36, 0, s[8:9]
	v_add_u32_e32 v2, v36, v2
	s_nop 1
	v_mov_b32_dpp v36, v2 row_shr:2 row_mask:0xf bank_mask:0xf
	v_cndmask_b32_e64 v36, 0, v36, s[10:11]
	v_add_u32_e32 v2, v2, v36
	;; [unrolled: 4-line block ×4, first 2 shown]
	s_nop 1
	v_mov_b32_dpp v36, v2 row_bcast:15 row_mask:0xf bank_mask:0xf
	v_cndmask_b32_e64 v36, v36, 0, s[16:17]
	v_add_u32_e32 v2, v2, v36
	s_nop 1
	v_mov_b32_dpp v36, v2 row_bcast:31 row_mask:0xf bank_mask:0xf
	v_cndmask_b32_e64 v36, 0, v36, s[18:19]
	v_add_u32_e32 v2, v2, v36
	s_and_saveexec_b64 s[22:23], s[20:21]
; %bb.13:                               ;   in Loop: Header=BB100_4 Depth=2
	ds_write_b32 v14, v2
; %bb.14:                               ;   in Loop: Header=BB100_4 Depth=2
	s_or_b64 exec, exec, s[22:23]
	ds_bpermute_b32 v2, v27, v2
	s_waitcnt lgkmcnt(0)
	; wave barrier
	v_cmp_lt_u32_e32 vcc, 55, v7
	s_and_b64 vcc, exec, vcc
	v_cndmask_b32_e64 v2, v2, 0, s[24:25]
	v_add_u32_e32 v3, v2, v3
	v_add_u32_e32 v4, v3, v4
	;; [unrolled: 1-line block ×3, first 2 shown]
	ds_write2_b32 v26, v2, v3 offset0:1 offset1:2
	ds_write2_b32 v26, v4, v1 offset0:3 offset1:4
	s_waitcnt lgkmcnt(0)
	; wave barrier
	ds_read_b32 v1, v9 offset:4
	ds_read_b32 v2, v12 offset:4
	;; [unrolled: 1-line block ×4, first 2 shown]
	s_mov_b64 s[22:23], -1
	s_waitcnt lgkmcnt(3)
	v_add_u32_e32 v35, v1, v10
	s_waitcnt lgkmcnt(2)
	v_add3_u32 v32, v13, v11, v2
	s_waitcnt lgkmcnt(1)
	v_add3_u32 v31, v33, v31, v3
	;; [unrolled: 2-line block ×3, first 2 shown]
                                        ; implicit-def: $vgpr3_vgpr4
                                        ; implicit-def: $vgpr12_vgpr13
	s_cbranch_vccnz .LBB100_3
; %bb.15:                               ;   in Loop: Header=BB100_4 Depth=2
	v_lshlrev_b32_e32 v1, 3, v35
	; wave barrier
	ds_write_b64 v1, v[20:21]
	v_lshlrev_b32_e32 v1, 3, v32
	ds_write_b64 v1, v[18:19]
	v_lshlrev_b32_e32 v1, 3, v31
	;; [unrolled: 2-line block ×3, first 2 shown]
	ds_write_b64 v1, v[5:6]
	s_waitcnt lgkmcnt(0)
	; wave barrier
	ds_read2st64_b64 v[10:13], v28 offset1:1
	ds_read2st64_b64 v[1:4], v28 offset0:2 offset1:3
	v_add_co_u32_e32 v7, vcc, 8, v7
	v_addc_co_u32_e32 v8, vcc, 0, v8, vcc
	s_mov_b64 s[22:23], 0
	s_waitcnt lgkmcnt(0)
	; wave barrier
	s_branch .LBB100_3
.LBB100_16:
	s_add_u32 s0, s26, s30
	s_addc_u32 s1, s27, s31
	v_lshlrev_b32_e32 v0, 3, v0
	global_store_dwordx2 v0, v[7:8], s[0:1]
	global_store_dwordx2 v0, v[9:10], s[0:1] offset:512
	global_store_dwordx2 v0, v[3:4], s[0:1] offset:1024
	;; [unrolled: 1-line block ×3, first 2 shown]
	s_endpgm
	.section	.rodata,"a",@progbits
	.p2align	6, 0x0
	.amdhsa_kernel _Z16sort_keys_kernelI22helper_blocked_blockedxLj64ELj4ELj10EEvPKT0_PS1_
		.amdhsa_group_segment_fixed_size 2048
		.amdhsa_private_segment_fixed_size 0
		.amdhsa_kernarg_size 272
		.amdhsa_user_sgpr_count 6
		.amdhsa_user_sgpr_private_segment_buffer 1
		.amdhsa_user_sgpr_dispatch_ptr 0
		.amdhsa_user_sgpr_queue_ptr 0
		.amdhsa_user_sgpr_kernarg_segment_ptr 1
		.amdhsa_user_sgpr_dispatch_id 0
		.amdhsa_user_sgpr_flat_scratch_init 0
		.amdhsa_user_sgpr_private_segment_size 0
		.amdhsa_uses_dynamic_stack 0
		.amdhsa_system_sgpr_private_segment_wavefront_offset 0
		.amdhsa_system_sgpr_workgroup_id_x 1
		.amdhsa_system_sgpr_workgroup_id_y 0
		.amdhsa_system_sgpr_workgroup_id_z 0
		.amdhsa_system_sgpr_workgroup_info 0
		.amdhsa_system_vgpr_workitem_id 2
		.amdhsa_next_free_vgpr 37
		.amdhsa_next_free_sgpr 61
		.amdhsa_reserve_vcc 1
		.amdhsa_reserve_flat_scratch 0
		.amdhsa_float_round_mode_32 0
		.amdhsa_float_round_mode_16_64 0
		.amdhsa_float_denorm_mode_32 3
		.amdhsa_float_denorm_mode_16_64 3
		.amdhsa_dx10_clamp 1
		.amdhsa_ieee_mode 1
		.amdhsa_fp16_overflow 0
		.amdhsa_exception_fp_ieee_invalid_op 0
		.amdhsa_exception_fp_denorm_src 0
		.amdhsa_exception_fp_ieee_div_zero 0
		.amdhsa_exception_fp_ieee_overflow 0
		.amdhsa_exception_fp_ieee_underflow 0
		.amdhsa_exception_fp_ieee_inexact 0
		.amdhsa_exception_int_div_zero 0
	.end_amdhsa_kernel
	.section	.text._Z16sort_keys_kernelI22helper_blocked_blockedxLj64ELj4ELj10EEvPKT0_PS1_,"axG",@progbits,_Z16sort_keys_kernelI22helper_blocked_blockedxLj64ELj4ELj10EEvPKT0_PS1_,comdat
.Lfunc_end100:
	.size	_Z16sort_keys_kernelI22helper_blocked_blockedxLj64ELj4ELj10EEvPKT0_PS1_, .Lfunc_end100-_Z16sort_keys_kernelI22helper_blocked_blockedxLj64ELj4ELj10EEvPKT0_PS1_
                                        ; -- End function
	.set _Z16sort_keys_kernelI22helper_blocked_blockedxLj64ELj4ELj10EEvPKT0_PS1_.num_vgpr, 37
	.set _Z16sort_keys_kernelI22helper_blocked_blockedxLj64ELj4ELj10EEvPKT0_PS1_.num_agpr, 0
	.set _Z16sort_keys_kernelI22helper_blocked_blockedxLj64ELj4ELj10EEvPKT0_PS1_.numbered_sgpr, 36
	.set _Z16sort_keys_kernelI22helper_blocked_blockedxLj64ELj4ELj10EEvPKT0_PS1_.num_named_barrier, 0
	.set _Z16sort_keys_kernelI22helper_blocked_blockedxLj64ELj4ELj10EEvPKT0_PS1_.private_seg_size, 0
	.set _Z16sort_keys_kernelI22helper_blocked_blockedxLj64ELj4ELj10EEvPKT0_PS1_.uses_vcc, 1
	.set _Z16sort_keys_kernelI22helper_blocked_blockedxLj64ELj4ELj10EEvPKT0_PS1_.uses_flat_scratch, 0
	.set _Z16sort_keys_kernelI22helper_blocked_blockedxLj64ELj4ELj10EEvPKT0_PS1_.has_dyn_sized_stack, 0
	.set _Z16sort_keys_kernelI22helper_blocked_blockedxLj64ELj4ELj10EEvPKT0_PS1_.has_recursion, 0
	.set _Z16sort_keys_kernelI22helper_blocked_blockedxLj64ELj4ELj10EEvPKT0_PS1_.has_indirect_call, 0
	.section	.AMDGPU.csdata,"",@progbits
; Kernel info:
; codeLenInByte = 3144
; TotalNumSgprs: 40
; NumVgprs: 37
; ScratchSize: 0
; MemoryBound: 0
; FloatMode: 240
; IeeeMode: 1
; LDSByteSize: 2048 bytes/workgroup (compile time only)
; SGPRBlocks: 8
; VGPRBlocks: 9
; NumSGPRsForWavesPerEU: 65
; NumVGPRsForWavesPerEU: 37
; Occupancy: 6
; WaveLimiterHint : 1
; COMPUTE_PGM_RSRC2:SCRATCH_EN: 0
; COMPUTE_PGM_RSRC2:USER_SGPR: 6
; COMPUTE_PGM_RSRC2:TRAP_HANDLER: 0
; COMPUTE_PGM_RSRC2:TGID_X_EN: 1
; COMPUTE_PGM_RSRC2:TGID_Y_EN: 0
; COMPUTE_PGM_RSRC2:TGID_Z_EN: 0
; COMPUTE_PGM_RSRC2:TIDIG_COMP_CNT: 2
	.section	.text._Z17sort_pairs_kernelI22helper_blocked_blockedxLj64ELj4ELj10EEvPKT0_PS1_,"axG",@progbits,_Z17sort_pairs_kernelI22helper_blocked_blockedxLj64ELj4ELj10EEvPKT0_PS1_,comdat
	.protected	_Z17sort_pairs_kernelI22helper_blocked_blockedxLj64ELj4ELj10EEvPKT0_PS1_ ; -- Begin function _Z17sort_pairs_kernelI22helper_blocked_blockedxLj64ELj4ELj10EEvPKT0_PS1_
	.globl	_Z17sort_pairs_kernelI22helper_blocked_blockedxLj64ELj4ELj10EEvPKT0_PS1_
	.p2align	8
	.type	_Z17sort_pairs_kernelI22helper_blocked_blockedxLj64ELj4ELj10EEvPKT0_PS1_,@function
_Z17sort_pairs_kernelI22helper_blocked_blockedxLj64ELj4ELj10EEvPKT0_PS1_: ; @_Z17sort_pairs_kernelI22helper_blocked_blockedxLj64ELj4ELj10EEvPKT0_PS1_
; %bb.0:
	s_load_dwordx4 s[24:27], s[4:5], 0x0
	s_load_dword s33, s[4:5], 0x1c
	s_lshl_b32 s30, s6, 8
	s_mov_b32 s31, 0
	s_lshl_b64 s[28:29], s[30:31], 3
	s_waitcnt lgkmcnt(0)
	s_add_u32 s0, s24, s28
	s_addc_u32 s1, s25, s29
	v_lshlrev_b32_e32 v3, 3, v0
	global_load_dwordx2 v[21:22], v3, s[0:1]
	global_load_dwordx2 v[23:24], v3, s[0:1] offset:512
	global_load_dwordx2 v[17:18], v3, s[0:1] offset:1024
	;; [unrolled: 1-line block ×3, first 2 shown]
	v_mbcnt_lo_u32_b32 v3, -1, 0
	v_mbcnt_hi_u32_b32 v3, -1, v3
	v_and_b32_e32 v6, 64, v3
	v_subrev_co_u32_e64 v9, s[22:23], 1, v3
	v_cmp_eq_u32_e32 vcc, 0, v0
	v_cmp_lt_i32_e64 s[24:25], v9, v6
	v_lshrrev_b32_e32 v4, 2, v3
	v_and_b32_e32 v5, 3, v3
	v_and_b32_e32 v7, 15, v3
	;; [unrolled: 1-line block ×3, first 2 shown]
	v_cmp_lt_u32_e64 s[2:3], 31, v3
	v_lshlrev_b32_e32 v38, 3, v3
	v_cndmask_b32_e64 v3, v9, v3, s[24:25]
	s_or_b64 s[24:25], vcc, s[22:23]
	s_lshr_b32 s30, s33, 16
	s_and_b32 s33, s33, 0xffff
	v_mad_u32_u24 v1, v2, s30, v1
	v_cmp_eq_u32_e64 s[4:5], 3, v5
	v_cmp_eq_u32_e64 s[6:7], 2, v5
	;; [unrolled: 1-line block ×4, first 2 shown]
	v_or_b32_e32 v5, v4, v6
	v_add_u32_e32 v4, 48, v4
	v_mad_u32_u24 v1, v1, s33, v0
	v_lshlrev_b32_e32 v37, 4, v0
	v_lshlrev_b32_e32 v39, 2, v5
	v_and_or_b32 v4, v4, 63, v6
	v_lshrrev_b32_e32 v1, 4, v1
	v_mov_b32_e32 v25, 0
	v_cmp_eq_u32_e64 s[0:1], 63, v0
	v_cmp_eq_u32_e64 s[12:13], 0, v7
	v_cmp_lt_u32_e64 s[14:15], 1, v7
	v_cmp_lt_u32_e64 s[16:17], 3, v7
	;; [unrolled: 1-line block ×3, first 2 shown]
	v_cmp_eq_u32_e64 s[20:21], 0, v8
	v_lshlrev_b32_e32 v40, 2, v3
	v_add_u32_e32 v41, 64, v39
	v_or_b32_e32 v42, 0x80, v39
	v_lshlrev_b32_e32 v43, 2, v4
	v_and_b32_e32 v44, 0xffffffc, v1
	v_add_u32_e32 v45, v37, v37
	s_waitcnt vmcnt(3)
	v_add_co_u32_e32 v13, vcc, 1, v21
	v_addc_co_u32_e32 v14, vcc, 0, v22, vcc
	s_waitcnt vmcnt(2)
	v_add_co_u32_e32 v15, vcc, 1, v23
	v_addc_co_u32_e32 v16, vcc, 0, v24, vcc
	;; [unrolled: 3-line block ×4, first 2 shown]
	s_branch .LBB101_2
.LBB101_1:                              ;   in Loop: Header=BB101_2 Depth=1
	v_lshlrev_b32_e32 v1, 3, v48
	v_lshlrev_b32_e32 v2, 3, v47
	;; [unrolled: 1-line block ×4, first 2 shown]
	; wave barrier
	ds_write_b64 v1, v[35:36]
	ds_write_b64 v2, v[33:34]
	;; [unrolled: 1-line block ×4, first 2 shown]
	s_waitcnt lgkmcnt(0)
	; wave barrier
	ds_read2_b64 v[21:24], v45 offset1:1
	ds_read2_b64 v[17:20], v45 offset0:2 offset1:3
	s_waitcnt lgkmcnt(0)
	; wave barrier
	ds_write_b64 v1, v[29:30]
	ds_write_b64 v2, v[27:28]
	;; [unrolled: 1-line block ×4, first 2 shown]
	s_waitcnt lgkmcnt(0)
	; wave barrier
	ds_read2_b64 v[13:16], v45 offset1:1
	ds_read2_b64 v[9:12], v45 offset0:2 offset1:3
	s_add_i32 s31, s31, 1
	v_xor_b32_e32 v22, 0x80000000, v22
	v_xor_b32_e32 v24, 0x80000000, v24
	;; [unrolled: 1-line block ×3, first 2 shown]
	s_cmp_lg_u32 s31, 10
	v_xor_b32_e32 v20, 0x80000000, v20
	s_cbranch_scc0 .LBB101_16
.LBB101_2:                              ; =>This Loop Header: Depth=1
                                        ;     Child Loop BB101_4 Depth 2
	v_xor_b32_e32 v6, 0x80000000, v22
	ds_bpermute_b32 v1, v39, v21
	ds_bpermute_b32 v2, v39, v6
	v_xor_b32_e32 v7, 0x80000000, v24
	ds_bpermute_b32 v3, v39, v23
	ds_bpermute_b32 v4, v39, v7
	s_waitcnt lgkmcnt(3)
	v_cndmask_b32_e64 v1, 0, v1, s[10:11]
	s_waitcnt lgkmcnt(2)
	v_cndmask_b32_e64 v2, 0, v2, s[10:11]
	v_xor_b32_e32 v8, 0x80000000, v18
	s_waitcnt lgkmcnt(1)
	v_cndmask_b32_e64 v1, v1, v3, s[8:9]
	s_waitcnt lgkmcnt(0)
	v_cndmask_b32_e64 v2, v2, v4, s[8:9]
	ds_bpermute_b32 v3, v39, v8
	ds_bpermute_b32 v4, v39, v17
	v_xor_b32_e32 v18, 0x80000000, v20
	ds_bpermute_b32 v5, v39, v19
	ds_bpermute_b32 v20, v39, v18
	s_waitcnt lgkmcnt(3)
	v_cndmask_b32_e64 v2, v2, v3, s[6:7]
	ds_bpermute_b32 v3, v41, v6
	s_waitcnt lgkmcnt(3)
	v_cndmask_b32_e64 v1, v1, v4, s[6:7]
	;; [unrolled: 3-line block ×3, first 2 shown]
	s_waitcnt lgkmcnt(2)
	v_cndmask_b32_e64 v2, v2, v20, s[4:5]
	ds_bpermute_b32 v5, v41, v23
	ds_bpermute_b32 v20, v41, v7
	;; [unrolled: 1-line block ×4, first 2 shown]
	s_waitcnt lgkmcnt(5)
	v_cndmask_b32_e64 v3, 0, v3, s[10:11]
	s_waitcnt lgkmcnt(4)
	v_cndmask_b32_e64 v4, 0, v4, s[10:11]
	;; [unrolled: 2-line block ×5, first 2 shown]
	ds_bpermute_b32 v3, v41, v19
	s_waitcnt lgkmcnt(1)
	v_cndmask_b32_e64 v4, v4, v24, s[6:7]
	ds_bpermute_b32 v20, v41, v18
	ds_bpermute_b32 v22, v42, v6
	;; [unrolled: 1-line block ×4, first 2 shown]
	s_waitcnt lgkmcnt(4)
	v_cndmask_b32_e64 v3, v4, v3, s[4:5]
	s_waitcnt lgkmcnt(3)
	v_cndmask_b32_e64 v4, v5, v20, s[4:5]
	;; [unrolled: 2-line block ×4, first 2 shown]
	ds_bpermute_b32 v22, v42, v7
	s_waitcnt lgkmcnt(1)
	v_cndmask_b32_e64 v20, v20, v26, s[8:9]
	ds_bpermute_b32 v24, v42, v8
	ds_bpermute_b32 v26, v42, v17
	;; [unrolled: 1-line block ×3, first 2 shown]
	s_waitcnt lgkmcnt(3)
	v_cndmask_b32_e64 v5, v5, v22, s[8:9]
	ds_bpermute_b32 v22, v42, v18
	s_waitcnt lgkmcnt(3)
	v_cndmask_b32_e64 v24, v5, v24, s[6:7]
	s_waitcnt lgkmcnt(2)
	v_cndmask_b32_e64 v5, v20, v26, s[6:7]
	ds_bpermute_b32 v20, v43, v6
	ds_bpermute_b32 v8, v43, v8
	;; [unrolled: 1-line block ×3, first 2 shown]
	s_waitcnt lgkmcnt(3)
	v_cndmask_b32_e64 v6, v24, v22, s[4:5]
	ds_bpermute_b32 v22, v43, v23
	s_waitcnt lgkmcnt(3)
	v_cndmask_b32_e64 v20, 0, v20, s[10:11]
	v_cndmask_b32_e64 v7, v20, v7, s[8:9]
	ds_bpermute_b32 v17, v43, v17
	ds_bpermute_b32 v18, v43, v18
	;; [unrolled: 1-line block ×3, first 2 shown]
	s_waitcnt lgkmcnt(5)
	v_cndmask_b32_e64 v8, v7, v8, s[6:7]
	ds_bpermute_b32 v7, v43, v19
	ds_bpermute_b32 v19, v39, v13
	;; [unrolled: 1-line block ×3, first 2 shown]
	s_waitcnt lgkmcnt(7)
	v_cndmask_b32_e64 v21, 0, v21, s[10:11]
	s_waitcnt lgkmcnt(6)
	v_cndmask_b32_e64 v21, v21, v22, s[8:9]
	s_waitcnt lgkmcnt(5)
	v_cndmask_b32_e64 v17, v21, v17, s[6:7]
	s_waitcnt lgkmcnt(4)
	v_cndmask_b32_e64 v8, v8, v18, s[4:5]
	ds_bpermute_b32 v18, v39, v16
	s_waitcnt lgkmcnt(3)
	v_cndmask_b32_e64 v7, v17, v7, s[4:5]
	s_waitcnt lgkmcnt(2)
	v_cndmask_b32_e64 v17, 0, v19, s[10:11]
	;; [unrolled: 2-line block ×3, first 2 shown]
	ds_bpermute_b32 v20, v39, v15
	ds_bpermute_b32 v22, v39, v10
	;; [unrolled: 1-line block ×3, first 2 shown]
	s_waitcnt lgkmcnt(3)
	v_cndmask_b32_e64 v18, v19, v18, s[8:9]
	ds_bpermute_b32 v19, v39, v12
	s_waitcnt lgkmcnt(3)
	v_cndmask_b32_e64 v17, v17, v20, s[8:9]
	ds_bpermute_b32 v20, v39, v11
	s_waitcnt lgkmcnt(3)
	v_cndmask_b32_e64 v18, v18, v22, s[6:7]
	s_waitcnt lgkmcnt(2)
	v_cndmask_b32_e64 v17, v17, v21, s[6:7]
	s_waitcnt lgkmcnt(1)
	v_cndmask_b32_e64 v18, v18, v19, s[4:5]
	ds_bpermute_b32 v19, v41, v13
	ds_bpermute_b32 v21, v41, v14
	;; [unrolled: 1-line block ×3, first 2 shown]
	s_waitcnt lgkmcnt(3)
	v_cndmask_b32_e64 v17, v17, v20, s[4:5]
	ds_bpermute_b32 v20, v41, v15
	s_waitcnt lgkmcnt(3)
	v_cndmask_b32_e64 v19, 0, v19, s[10:11]
	s_waitcnt lgkmcnt(2)
	v_cndmask_b32_e64 v21, 0, v21, s[10:11]
	;; [unrolled: 2-line block ×3, first 2 shown]
	ds_bpermute_b32 v22, v41, v9
	s_waitcnt lgkmcnt(1)
	v_cndmask_b32_e64 v19, v19, v20, s[8:9]
	ds_bpermute_b32 v20, v41, v10
	ds_bpermute_b32 v23, v41, v12
	;; [unrolled: 1-line block ×3, first 2 shown]
	s_waitcnt lgkmcnt(3)
	v_cndmask_b32_e64 v19, v19, v22, s[6:7]
	ds_bpermute_b32 v22, v42, v13
	s_waitcnt lgkmcnt(3)
	v_cndmask_b32_e64 v20, v21, v20, s[6:7]
	ds_bpermute_b32 v21, v42, v14
	s_waitcnt lgkmcnt(3)
	v_cndmask_b32_e64 v20, v20, v23, s[4:5]
	s_waitcnt lgkmcnt(2)
	v_cndmask_b32_e64 v19, v19, v24, s[4:5]
	ds_bpermute_b32 v23, v42, v16
	ds_bpermute_b32 v24, v42, v15
	v_cndmask_b32_e64 v5, v5, v27, s[4:5]
	ds_bpermute_b32 v26, v42, v9
	ds_bpermute_b32 v27, v42, v10
	s_waitcnt lgkmcnt(5)
	v_cndmask_b32_e64 v22, 0, v22, s[10:11]
	s_waitcnt lgkmcnt(4)
	v_cndmask_b32_e64 v21, 0, v21, s[10:11]
	;; [unrolled: 2-line block ×5, first 2 shown]
	ds_bpermute_b32 v23, v42, v12
	s_waitcnt lgkmcnt(1)
	v_cndmask_b32_e64 v21, v21, v27, s[6:7]
	ds_bpermute_b32 v24, v42, v11
	ds_bpermute_b32 v26, v43, v13
	;; [unrolled: 1-line block ×9, first 2 shown]
	s_waitcnt lgkmcnt(9)
	v_cndmask_b32_e64 v14, v21, v23, s[4:5]
	s_waitcnt lgkmcnt(8)
	v_cndmask_b32_e64 v13, v22, v24, s[4:5]
	;; [unrolled: 2-line block ×8, first 2 shown]
	v_mov_b32_e32 v21, 0
	s_waitcnt lgkmcnt(1)
	v_cndmask_b32_e64 v16, v10, v12, s[4:5]
	s_waitcnt lgkmcnt(0)
	v_cndmask_b32_e64 v15, v9, v11, s[4:5]
	v_mov_b32_e32 v22, 0
	; wave barrier
	s_branch .LBB101_4
.LBB101_3:                              ;   in Loop: Header=BB101_4 Depth=2
	s_andn2_b64 vcc, exec, s[22:23]
	s_cbranch_vccz .LBB101_1
.LBB101_4:                              ;   Parent Loop BB101_2 Depth=1
                                        ; =>  This Inner Loop Header: Depth=2
	v_mov_b32_e32 v36, v2
	v_mov_b32_e32 v35, v1
	v_lshrrev_b64 v[1:2], v21, v[35:36]
	v_mov_b32_e32 v32, v6
	v_and_b32_e32 v2, 0xff, v1
	v_mov_b32_e32 v31, v5
	v_mov_b32_e32 v34, v4
	v_lshl_add_u32 v5, v2, 2, v44
	v_and_b32_e32 v2, 1, v1
	v_mov_b32_e32 v33, v3
	v_add_co_u32_e32 v3, vcc, -1, v2
	v_addc_co_u32_e64 v4, s[22:23], 0, -1, vcc
	v_cmp_ne_u32_e32 vcc, 0, v2
	v_lshlrev_b32_e32 v26, 30, v1
	v_xor_b32_e32 v2, vcc_hi, v4
	v_xor_b32_e32 v3, vcc_lo, v3
	v_cmp_gt_i64_e32 vcc, 0, v[25:26]
	v_not_b32_e32 v4, v26
	v_ashrrev_i32_e32 v4, 31, v4
	v_and_b32_e32 v3, exec_lo, v3
	v_xor_b32_e32 v6, vcc_hi, v4
	v_xor_b32_e32 v4, vcc_lo, v4
	v_lshlrev_b32_e32 v26, 29, v1
	v_and_b32_e32 v3, v3, v4
	v_cmp_gt_i64_e32 vcc, 0, v[25:26]
	v_not_b32_e32 v4, v26
	v_and_b32_e32 v2, exec_hi, v2
	v_ashrrev_i32_e32 v4, 31, v4
	v_and_b32_e32 v2, v2, v6
	v_xor_b32_e32 v6, vcc_hi, v4
	v_xor_b32_e32 v4, vcc_lo, v4
	v_lshlrev_b32_e32 v26, 28, v1
	v_and_b32_e32 v3, v3, v4
	v_cmp_gt_i64_e32 vcc, 0, v[25:26]
	v_not_b32_e32 v4, v26
	v_ashrrev_i32_e32 v4, 31, v4
	v_and_b32_e32 v2, v2, v6
	v_xor_b32_e32 v6, vcc_hi, v4
	v_xor_b32_e32 v4, vcc_lo, v4
	v_lshlrev_b32_e32 v26, 27, v1
	v_and_b32_e32 v3, v3, v4
	v_cmp_gt_i64_e32 vcc, 0, v[25:26]
	v_not_b32_e32 v4, v26
	;; [unrolled: 8-line block ×4, first 2 shown]
	v_ashrrev_i32_e32 v4, 31, v4
	v_lshlrev_b32_e32 v26, 24, v1
	v_and_b32_e32 v2, v2, v6
	v_xor_b32_e32 v6, vcc_hi, v4
	v_xor_b32_e32 v4, vcc_lo, v4
	v_cmp_gt_i64_e32 vcc, 0, v[25:26]
	v_not_b32_e32 v1, v26
	v_ashrrev_i32_e32 v1, 31, v1
	v_and_b32_e32 v3, v3, v4
	v_xor_b32_e32 v4, vcc_hi, v1
	v_xor_b32_e32 v1, vcc_lo, v1
	v_and_b32_e32 v2, v2, v6
	v_and_b32_e32 v1, v3, v1
	;; [unrolled: 1-line block ×3, first 2 shown]
	v_mbcnt_lo_u32_b32 v3, v1, 0
	v_mbcnt_hi_u32_b32 v6, v2, v3
	v_cmp_ne_u64_e32 vcc, 0, v[1:2]
	v_mov_b32_e32 v24, v8
	v_mov_b32_e32 v30, v18
	;; [unrolled: 1-line block ×5, first 2 shown]
	v_cmp_eq_u32_e64 s[22:23], 0, v6
	v_mov_b32_e32 v23, v7
	v_mov_b32_e32 v29, v17
	;; [unrolled: 1-line block ×5, first 2 shown]
	s_and_b64 s[34:35], vcc, s[22:23]
	ds_write2_b32 v37, v25, v25 offset0:1 offset1:2
	ds_write2_b32 v37, v25, v25 offset0:3 offset1:4
	s_waitcnt lgkmcnt(0)
	; wave barrier
	; wave barrier
	s_and_saveexec_b64 s[22:23], s[34:35]
; %bb.5:                                ;   in Loop: Header=BB101_4 Depth=2
	v_bcnt_u32_b32 v1, v1, 0
	v_bcnt_u32_b32 v1, v2, v1
	ds_write_b32 v5, v1 offset:4
; %bb.6:                                ;   in Loop: Header=BB101_4 Depth=2
	s_or_b64 exec, exec, s[22:23]
	v_lshrrev_b64 v[1:2], v21, v[33:34]
	v_and_b32_e32 v2, 0xff, v1
	v_lshl_add_u32 v8, v2, 2, v44
	v_and_b32_e32 v2, 1, v1
	v_add_co_u32_e32 v3, vcc, -1, v2
	v_addc_co_u32_e64 v4, s[22:23], 0, -1, vcc
	v_cmp_ne_u32_e32 vcc, 0, v2
	v_lshlrev_b32_e32 v26, 30, v1
	v_xor_b32_e32 v2, vcc_hi, v4
	v_xor_b32_e32 v3, vcc_lo, v3
	v_cmp_gt_i64_e32 vcc, 0, v[25:26]
	v_not_b32_e32 v4, v26
	v_ashrrev_i32_e32 v4, 31, v4
	v_and_b32_e32 v3, exec_lo, v3
	v_xor_b32_e32 v13, vcc_hi, v4
	v_xor_b32_e32 v4, vcc_lo, v4
	v_lshlrev_b32_e32 v26, 29, v1
	v_and_b32_e32 v3, v3, v4
	v_cmp_gt_i64_e32 vcc, 0, v[25:26]
	v_not_b32_e32 v4, v26
	v_and_b32_e32 v2, exec_hi, v2
	v_ashrrev_i32_e32 v4, 31, v4
	v_and_b32_e32 v2, v2, v13
	v_xor_b32_e32 v13, vcc_hi, v4
	v_xor_b32_e32 v4, vcc_lo, v4
	v_lshlrev_b32_e32 v26, 28, v1
	v_and_b32_e32 v3, v3, v4
	v_cmp_gt_i64_e32 vcc, 0, v[25:26]
	v_not_b32_e32 v4, v26
	v_ashrrev_i32_e32 v4, 31, v4
	v_and_b32_e32 v2, v2, v13
	v_xor_b32_e32 v13, vcc_hi, v4
	v_xor_b32_e32 v4, vcc_lo, v4
	v_lshlrev_b32_e32 v26, 27, v1
	v_and_b32_e32 v3, v3, v4
	v_cmp_gt_i64_e32 vcc, 0, v[25:26]
	v_not_b32_e32 v4, v26
	;; [unrolled: 8-line block ×4, first 2 shown]
	v_ashrrev_i32_e32 v4, 31, v4
	v_lshlrev_b32_e32 v26, 24, v1
	v_and_b32_e32 v2, v2, v13
	v_xor_b32_e32 v13, vcc_hi, v4
	v_xor_b32_e32 v4, vcc_lo, v4
	v_cmp_gt_i64_e32 vcc, 0, v[25:26]
	v_not_b32_e32 v1, v26
	v_ashrrev_i32_e32 v1, 31, v1
	v_and_b32_e32 v3, v3, v4
	v_xor_b32_e32 v4, vcc_hi, v1
	v_xor_b32_e32 v1, vcc_lo, v1
	; wave barrier
	ds_read_b32 v7, v8 offset:4
	v_and_b32_e32 v2, v2, v13
	v_and_b32_e32 v1, v3, v1
	;; [unrolled: 1-line block ×3, first 2 shown]
	v_mbcnt_lo_u32_b32 v3, v1, 0
	v_mbcnt_hi_u32_b32 v13, v2, v3
	v_cmp_ne_u64_e32 vcc, 0, v[1:2]
	v_cmp_eq_u32_e64 s[22:23], 0, v13
	s_and_b64 s[34:35], vcc, s[22:23]
	; wave barrier
	s_and_saveexec_b64 s[22:23], s[34:35]
	s_cbranch_execz .LBB101_8
; %bb.7:                                ;   in Loop: Header=BB101_4 Depth=2
	v_bcnt_u32_b32 v1, v1, 0
	v_bcnt_u32_b32 v1, v2, v1
	s_waitcnt lgkmcnt(0)
	v_add_u32_e32 v1, v7, v1
	ds_write_b32 v8, v1 offset:4
.LBB101_8:                              ;   in Loop: Header=BB101_4 Depth=2
	s_or_b64 exec, exec, s[22:23]
	v_lshrrev_b64 v[1:2], v21, v[31:32]
	v_and_b32_e32 v2, 0xff, v1
	v_lshl_add_u32 v15, v2, 2, v44
	v_and_b32_e32 v2, 1, v1
	v_add_co_u32_e32 v3, vcc, -1, v2
	v_addc_co_u32_e64 v4, s[22:23], 0, -1, vcc
	v_cmp_ne_u32_e32 vcc, 0, v2
	v_lshlrev_b32_e32 v26, 30, v1
	v_xor_b32_e32 v2, vcc_hi, v4
	v_xor_b32_e32 v3, vcc_lo, v3
	v_cmp_gt_i64_e32 vcc, 0, v[25:26]
	v_not_b32_e32 v4, v26
	v_ashrrev_i32_e32 v4, 31, v4
	v_and_b32_e32 v3, exec_lo, v3
	v_xor_b32_e32 v16, vcc_hi, v4
	v_xor_b32_e32 v4, vcc_lo, v4
	v_lshlrev_b32_e32 v26, 29, v1
	v_and_b32_e32 v3, v3, v4
	v_cmp_gt_i64_e32 vcc, 0, v[25:26]
	v_not_b32_e32 v4, v26
	v_and_b32_e32 v2, exec_hi, v2
	v_ashrrev_i32_e32 v4, 31, v4
	v_and_b32_e32 v2, v2, v16
	v_xor_b32_e32 v16, vcc_hi, v4
	v_xor_b32_e32 v4, vcc_lo, v4
	v_lshlrev_b32_e32 v26, 28, v1
	v_and_b32_e32 v3, v3, v4
	v_cmp_gt_i64_e32 vcc, 0, v[25:26]
	v_not_b32_e32 v4, v26
	v_ashrrev_i32_e32 v4, 31, v4
	v_and_b32_e32 v2, v2, v16
	v_xor_b32_e32 v16, vcc_hi, v4
	v_xor_b32_e32 v4, vcc_lo, v4
	v_lshlrev_b32_e32 v26, 27, v1
	v_and_b32_e32 v3, v3, v4
	v_cmp_gt_i64_e32 vcc, 0, v[25:26]
	v_not_b32_e32 v4, v26
	;; [unrolled: 8-line block ×4, first 2 shown]
	v_ashrrev_i32_e32 v4, 31, v4
	v_lshlrev_b32_e32 v26, 24, v1
	v_and_b32_e32 v2, v2, v16
	v_xor_b32_e32 v16, vcc_hi, v4
	v_xor_b32_e32 v4, vcc_lo, v4
	v_cmp_gt_i64_e32 vcc, 0, v[25:26]
	v_not_b32_e32 v1, v26
	v_ashrrev_i32_e32 v1, 31, v1
	v_and_b32_e32 v3, v3, v4
	v_xor_b32_e32 v4, vcc_hi, v1
	v_xor_b32_e32 v1, vcc_lo, v1
	; wave barrier
	ds_read_b32 v14, v15 offset:4
	v_and_b32_e32 v2, v2, v16
	v_and_b32_e32 v1, v3, v1
	;; [unrolled: 1-line block ×3, first 2 shown]
	v_mbcnt_lo_u32_b32 v3, v1, 0
	v_mbcnt_hi_u32_b32 v16, v2, v3
	v_cmp_ne_u64_e32 vcc, 0, v[1:2]
	v_cmp_eq_u32_e64 s[22:23], 0, v16
	s_and_b64 s[34:35], vcc, s[22:23]
	; wave barrier
	s_and_saveexec_b64 s[22:23], s[34:35]
	s_cbranch_execz .LBB101_10
; %bb.9:                                ;   in Loop: Header=BB101_4 Depth=2
	v_bcnt_u32_b32 v1, v1, 0
	v_bcnt_u32_b32 v1, v2, v1
	s_waitcnt lgkmcnt(0)
	v_add_u32_e32 v1, v14, v1
	ds_write_b32 v15, v1 offset:4
.LBB101_10:                             ;   in Loop: Header=BB101_4 Depth=2
	s_or_b64 exec, exec, s[22:23]
	v_lshrrev_b64 v[1:2], v21, v[23:24]
	v_and_b32_e32 v2, 0xff, v1
	v_lshl_add_u32 v18, v2, 2, v44
	v_and_b32_e32 v2, 1, v1
	v_add_co_u32_e32 v3, vcc, -1, v2
	v_addc_co_u32_e64 v4, s[22:23], 0, -1, vcc
	v_cmp_ne_u32_e32 vcc, 0, v2
	v_lshlrev_b32_e32 v26, 30, v1
	v_xor_b32_e32 v2, vcc_hi, v4
	v_xor_b32_e32 v3, vcc_lo, v3
	v_cmp_gt_i64_e32 vcc, 0, v[25:26]
	v_not_b32_e32 v4, v26
	v_ashrrev_i32_e32 v4, 31, v4
	v_and_b32_e32 v3, exec_lo, v3
	v_xor_b32_e32 v19, vcc_hi, v4
	v_xor_b32_e32 v4, vcc_lo, v4
	v_lshlrev_b32_e32 v26, 29, v1
	v_and_b32_e32 v3, v3, v4
	v_cmp_gt_i64_e32 vcc, 0, v[25:26]
	v_not_b32_e32 v4, v26
	v_and_b32_e32 v2, exec_hi, v2
	v_ashrrev_i32_e32 v4, 31, v4
	v_and_b32_e32 v2, v2, v19
	v_xor_b32_e32 v19, vcc_hi, v4
	v_xor_b32_e32 v4, vcc_lo, v4
	v_lshlrev_b32_e32 v26, 28, v1
	v_and_b32_e32 v3, v3, v4
	v_cmp_gt_i64_e32 vcc, 0, v[25:26]
	v_not_b32_e32 v4, v26
	v_ashrrev_i32_e32 v4, 31, v4
	v_and_b32_e32 v2, v2, v19
	v_xor_b32_e32 v19, vcc_hi, v4
	v_xor_b32_e32 v4, vcc_lo, v4
	v_lshlrev_b32_e32 v26, 27, v1
	v_and_b32_e32 v3, v3, v4
	v_cmp_gt_i64_e32 vcc, 0, v[25:26]
	v_not_b32_e32 v4, v26
	;; [unrolled: 8-line block ×4, first 2 shown]
	v_ashrrev_i32_e32 v4, 31, v4
	v_lshlrev_b32_e32 v26, 24, v1
	v_and_b32_e32 v2, v2, v19
	v_xor_b32_e32 v19, vcc_hi, v4
	v_xor_b32_e32 v4, vcc_lo, v4
	v_cmp_gt_i64_e32 vcc, 0, v[25:26]
	v_not_b32_e32 v1, v26
	v_ashrrev_i32_e32 v1, 31, v1
	v_and_b32_e32 v3, v3, v4
	v_xor_b32_e32 v4, vcc_hi, v1
	v_xor_b32_e32 v1, vcc_lo, v1
	; wave barrier
	ds_read_b32 v17, v18 offset:4
	v_and_b32_e32 v2, v2, v19
	v_and_b32_e32 v1, v3, v1
	v_and_b32_e32 v2, v2, v4
	v_mbcnt_lo_u32_b32 v3, v1, 0
	v_mbcnt_hi_u32_b32 v19, v2, v3
	v_cmp_ne_u64_e32 vcc, 0, v[1:2]
	v_cmp_eq_u32_e64 s[22:23], 0, v19
	s_and_b64 s[34:35], vcc, s[22:23]
	; wave barrier
	s_and_saveexec_b64 s[22:23], s[34:35]
	s_cbranch_execz .LBB101_12
; %bb.11:                               ;   in Loop: Header=BB101_4 Depth=2
	v_bcnt_u32_b32 v1, v1, 0
	v_bcnt_u32_b32 v1, v2, v1
	s_waitcnt lgkmcnt(0)
	v_add_u32_e32 v1, v17, v1
	ds_write_b32 v18, v1 offset:4
.LBB101_12:                             ;   in Loop: Header=BB101_4 Depth=2
	s_or_b64 exec, exec, s[22:23]
	; wave barrier
	s_waitcnt lgkmcnt(0)
	; wave barrier
	ds_read2_b32 v[3:4], v37 offset0:1 offset1:2
	ds_read2_b32 v[1:2], v37 offset0:3 offset1:4
	s_waitcnt lgkmcnt(1)
	v_add_u32_e32 v20, v4, v3
	s_waitcnt lgkmcnt(0)
	v_add3_u32 v2, v20, v1, v2
	s_nop 1
	v_mov_b32_dpp v20, v2 row_shr:1 row_mask:0xf bank_mask:0xf
	v_cndmask_b32_e64 v20, v20, 0, s[12:13]
	v_add_u32_e32 v2, v20, v2
	s_nop 1
	v_mov_b32_dpp v20, v2 row_shr:2 row_mask:0xf bank_mask:0xf
	v_cndmask_b32_e64 v20, 0, v20, s[14:15]
	v_add_u32_e32 v2, v2, v20
	;; [unrolled: 4-line block ×4, first 2 shown]
	s_nop 1
	v_mov_b32_dpp v20, v2 row_bcast:15 row_mask:0xf bank_mask:0xf
	v_cndmask_b32_e64 v20, v20, 0, s[20:21]
	v_add_u32_e32 v2, v2, v20
	s_nop 1
	v_mov_b32_dpp v20, v2 row_bcast:31 row_mask:0xf bank_mask:0xf
	v_cndmask_b32_e64 v20, 0, v20, s[2:3]
	v_add_u32_e32 v2, v2, v20
	s_and_saveexec_b64 s[22:23], s[0:1]
; %bb.13:                               ;   in Loop: Header=BB101_4 Depth=2
	ds_write_b32 v25, v2
; %bb.14:                               ;   in Loop: Header=BB101_4 Depth=2
	s_or_b64 exec, exec, s[22:23]
	ds_bpermute_b32 v2, v40, v2
	s_waitcnt lgkmcnt(0)
	; wave barrier
	v_cmp_lt_u32_e32 vcc, 55, v21
	s_and_b64 vcc, exec, vcc
	v_cndmask_b32_e64 v2, v2, 0, s[24:25]
	v_add_u32_e32 v3, v2, v3
	v_add_u32_e32 v4, v3, v4
	;; [unrolled: 1-line block ×3, first 2 shown]
	ds_write2_b32 v37, v2, v3 offset0:1 offset1:2
	ds_write2_b32 v37, v4, v1 offset0:3 offset1:4
	s_waitcnt lgkmcnt(0)
	; wave barrier
	ds_read_b32 v1, v5 offset:4
	ds_read_b32 v2, v8 offset:4
	;; [unrolled: 1-line block ×4, first 2 shown]
	s_mov_b64 s[22:23], -1
	s_waitcnt lgkmcnt(3)
	v_add_u32_e32 v48, v1, v6
	s_waitcnt lgkmcnt(2)
	v_add3_u32 v47, v13, v7, v2
	s_waitcnt lgkmcnt(1)
	v_add3_u32 v46, v16, v14, v3
	;; [unrolled: 2-line block ×3, first 2 shown]
                                        ; implicit-def: $vgpr7_vgpr8
                                        ; implicit-def: $vgpr3_vgpr4
                                        ; implicit-def: $vgpr17_vgpr18
                                        ; implicit-def: $vgpr13_vgpr14
	s_cbranch_vccnz .LBB101_3
; %bb.15:                               ;   in Loop: Header=BB101_4 Depth=2
	v_lshlrev_b32_e32 v13, 3, v48
	v_lshlrev_b32_e32 v14, 3, v47
	;; [unrolled: 1-line block ×4, first 2 shown]
	; wave barrier
	ds_write_b64 v13, v[35:36]
	ds_write_b64 v14, v[33:34]
	;; [unrolled: 1-line block ×4, first 2 shown]
	s_waitcnt lgkmcnt(0)
	; wave barrier
	ds_read2st64_b64 v[1:4], v38 offset1:1
	ds_read2st64_b64 v[5:8], v38 offset0:2 offset1:3
	s_waitcnt lgkmcnt(0)
	; wave barrier
	ds_write_b64 v13, v[29:30]
	ds_write_b64 v14, v[27:28]
	ds_write_b64 v15, v[11:12]
	ds_write_b64 v16, v[9:10]
	s_waitcnt lgkmcnt(0)
	; wave barrier
	ds_read2st64_b64 v[17:20], v38 offset1:1
	ds_read2st64_b64 v[13:16], v38 offset0:2 offset1:3
	v_add_co_u32_e32 v21, vcc, 8, v21
	v_addc_co_u32_e32 v22, vcc, 0, v22, vcc
	s_mov_b64 s[22:23], 0
	s_waitcnt lgkmcnt(0)
	; wave barrier
	s_branch .LBB101_3
.LBB101_16:
	s_waitcnt lgkmcnt(1)
	v_add_co_u32_e32 v1, vcc, v13, v21
	v_addc_co_u32_e32 v2, vcc, v14, v22, vcc
	v_add_co_u32_e32 v3, vcc, v15, v23
	v_addc_co_u32_e32 v4, vcc, v16, v24, vcc
	s_waitcnt lgkmcnt(0)
	v_add_co_u32_e32 v5, vcc, v9, v17
	v_addc_co_u32_e32 v6, vcc, v10, v18, vcc
	s_add_u32 s0, s26, s28
	v_add_co_u32_e32 v7, vcc, v11, v19
	s_addc_u32 s1, s27, s29
	v_lshlrev_b32_e32 v0, 3, v0
	v_addc_co_u32_e32 v8, vcc, v12, v20, vcc
	global_store_dwordx2 v0, v[1:2], s[0:1]
	global_store_dwordx2 v0, v[3:4], s[0:1] offset:512
	global_store_dwordx2 v0, v[5:6], s[0:1] offset:1024
	;; [unrolled: 1-line block ×3, first 2 shown]
	s_endpgm
	.section	.rodata,"a",@progbits
	.p2align	6, 0x0
	.amdhsa_kernel _Z17sort_pairs_kernelI22helper_blocked_blockedxLj64ELj4ELj10EEvPKT0_PS1_
		.amdhsa_group_segment_fixed_size 2048
		.amdhsa_private_segment_fixed_size 0
		.amdhsa_kernarg_size 272
		.amdhsa_user_sgpr_count 6
		.amdhsa_user_sgpr_private_segment_buffer 1
		.amdhsa_user_sgpr_dispatch_ptr 0
		.amdhsa_user_sgpr_queue_ptr 0
		.amdhsa_user_sgpr_kernarg_segment_ptr 1
		.amdhsa_user_sgpr_dispatch_id 0
		.amdhsa_user_sgpr_flat_scratch_init 0
		.amdhsa_user_sgpr_private_segment_size 0
		.amdhsa_uses_dynamic_stack 0
		.amdhsa_system_sgpr_private_segment_wavefront_offset 0
		.amdhsa_system_sgpr_workgroup_id_x 1
		.amdhsa_system_sgpr_workgroup_id_y 0
		.amdhsa_system_sgpr_workgroup_id_z 0
		.amdhsa_system_sgpr_workgroup_info 0
		.amdhsa_system_vgpr_workitem_id 2
		.amdhsa_next_free_vgpr 49
		.amdhsa_next_free_sgpr 61
		.amdhsa_reserve_vcc 1
		.amdhsa_reserve_flat_scratch 0
		.amdhsa_float_round_mode_32 0
		.amdhsa_float_round_mode_16_64 0
		.amdhsa_float_denorm_mode_32 3
		.amdhsa_float_denorm_mode_16_64 3
		.amdhsa_dx10_clamp 1
		.amdhsa_ieee_mode 1
		.amdhsa_fp16_overflow 0
		.amdhsa_exception_fp_ieee_invalid_op 0
		.amdhsa_exception_fp_denorm_src 0
		.amdhsa_exception_fp_ieee_div_zero 0
		.amdhsa_exception_fp_ieee_overflow 0
		.amdhsa_exception_fp_ieee_underflow 0
		.amdhsa_exception_fp_ieee_inexact 0
		.amdhsa_exception_int_div_zero 0
	.end_amdhsa_kernel
	.section	.text._Z17sort_pairs_kernelI22helper_blocked_blockedxLj64ELj4ELj10EEvPKT0_PS1_,"axG",@progbits,_Z17sort_pairs_kernelI22helper_blocked_blockedxLj64ELj4ELj10EEvPKT0_PS1_,comdat
.Lfunc_end101:
	.size	_Z17sort_pairs_kernelI22helper_blocked_blockedxLj64ELj4ELj10EEvPKT0_PS1_, .Lfunc_end101-_Z17sort_pairs_kernelI22helper_blocked_blockedxLj64ELj4ELj10EEvPKT0_PS1_
                                        ; -- End function
	.set _Z17sort_pairs_kernelI22helper_blocked_blockedxLj64ELj4ELj10EEvPKT0_PS1_.num_vgpr, 49
	.set _Z17sort_pairs_kernelI22helper_blocked_blockedxLj64ELj4ELj10EEvPKT0_PS1_.num_agpr, 0
	.set _Z17sort_pairs_kernelI22helper_blocked_blockedxLj64ELj4ELj10EEvPKT0_PS1_.numbered_sgpr, 36
	.set _Z17sort_pairs_kernelI22helper_blocked_blockedxLj64ELj4ELj10EEvPKT0_PS1_.num_named_barrier, 0
	.set _Z17sort_pairs_kernelI22helper_blocked_blockedxLj64ELj4ELj10EEvPKT0_PS1_.private_seg_size, 0
	.set _Z17sort_pairs_kernelI22helper_blocked_blockedxLj64ELj4ELj10EEvPKT0_PS1_.uses_vcc, 1
	.set _Z17sort_pairs_kernelI22helper_blocked_blockedxLj64ELj4ELj10EEvPKT0_PS1_.uses_flat_scratch, 0
	.set _Z17sort_pairs_kernelI22helper_blocked_blockedxLj64ELj4ELj10EEvPKT0_PS1_.has_dyn_sized_stack, 0
	.set _Z17sort_pairs_kernelI22helper_blocked_blockedxLj64ELj4ELj10EEvPKT0_PS1_.has_recursion, 0
	.set _Z17sort_pairs_kernelI22helper_blocked_blockedxLj64ELj4ELj10EEvPKT0_PS1_.has_indirect_call, 0
	.section	.AMDGPU.csdata,"",@progbits
; Kernel info:
; codeLenInByte = 3984
; TotalNumSgprs: 40
; NumVgprs: 49
; ScratchSize: 0
; MemoryBound: 0
; FloatMode: 240
; IeeeMode: 1
; LDSByteSize: 2048 bytes/workgroup (compile time only)
; SGPRBlocks: 8
; VGPRBlocks: 12
; NumSGPRsForWavesPerEU: 65
; NumVGPRsForWavesPerEU: 49
; Occupancy: 4
; WaveLimiterHint : 1
; COMPUTE_PGM_RSRC2:SCRATCH_EN: 0
; COMPUTE_PGM_RSRC2:USER_SGPR: 6
; COMPUTE_PGM_RSRC2:TRAP_HANDLER: 0
; COMPUTE_PGM_RSRC2:TGID_X_EN: 1
; COMPUTE_PGM_RSRC2:TGID_Y_EN: 0
; COMPUTE_PGM_RSRC2:TGID_Z_EN: 0
; COMPUTE_PGM_RSRC2:TIDIG_COMP_CNT: 2
	.section	.text._Z16sort_keys_kernelI22helper_blocked_blockedxLj64ELj8ELj10EEvPKT0_PS1_,"axG",@progbits,_Z16sort_keys_kernelI22helper_blocked_blockedxLj64ELj8ELj10EEvPKT0_PS1_,comdat
	.protected	_Z16sort_keys_kernelI22helper_blocked_blockedxLj64ELj8ELj10EEvPKT0_PS1_ ; -- Begin function _Z16sort_keys_kernelI22helper_blocked_blockedxLj64ELj8ELj10EEvPKT0_PS1_
	.globl	_Z16sort_keys_kernelI22helper_blocked_blockedxLj64ELj8ELj10EEvPKT0_PS1_
	.p2align	8
	.type	_Z16sort_keys_kernelI22helper_blocked_blockedxLj64ELj8ELj10EEvPKT0_PS1_,@function
_Z16sort_keys_kernelI22helper_blocked_blockedxLj64ELj8ELj10EEvPKT0_PS1_: ; @_Z16sort_keys_kernelI22helper_blocked_blockedxLj64ELj8ELj10EEvPKT0_PS1_
; %bb.0:
	s_load_dwordx4 s[16:19], s[4:5], 0x0
	s_load_dword s2, s[4:5], 0x1c
	s_lshl_b32 s20, s6, 9
	s_mov_b32 s21, 0
	s_lshl_b64 s[22:23], s[20:21], 3
	s_waitcnt lgkmcnt(0)
	s_add_u32 s0, s16, s22
	s_addc_u32 s1, s17, s23
	v_lshlrev_b32_e32 v19, 3, v0
	global_load_dwordx2 v[15:16], v19, s[0:1]
	global_load_dwordx2 v[17:18], v19, s[0:1] offset:512
	global_load_dwordx2 v[11:12], v19, s[0:1] offset:1024
	;; [unrolled: 1-line block ×7, first 2 shown]
	v_mbcnt_lo_u32_b32 v20, -1, 0
	v_mbcnt_hi_u32_b32 v20, -1, v20
	s_lshr_b32 s0, s2, 16
	s_and_b32 s1, s2, 0xffff
	v_mad_u32_u24 v1, v2, s0, v1
	v_and_b32_e32 v2, 15, v20
	v_mad_u32_u24 v1, v1, s1, v0
	v_cmp_eq_u32_e64 s[0:1], 0, v2
	v_cmp_lt_u32_e64 s[2:3], 1, v2
	v_cmp_lt_u32_e64 s[4:5], 3, v2
	;; [unrolled: 1-line block ×3, first 2 shown]
	v_and_b32_e32 v2, 16, v20
	v_cmp_eq_u32_e64 s[8:9], 0, v2
	v_subrev_co_u32_e32 v2, vcc, 1, v20
	v_and_b32_e32 v21, 64, v20
	v_cmp_lt_i32_e64 s[14:15], v2, v21
	v_lshrrev_b32_e32 v1, 4, v1
	v_lshlrev_b32_e32 v39, 4, v0
	v_cndmask_b32_e64 v2, v2, v20, s[14:15]
	v_cmp_eq_u32_e64 s[14:15], 0, v0
	v_and_b32_e32 v41, 0xffffffc, v1
	v_mul_u32_u24_e32 v1, 48, v0
	v_mov_b32_e32 v19, 0
	v_lshlrev_b32_e32 v37, 6, v20
	v_lshlrev_b32_e32 v38, 3, v20
	v_cmp_lt_u32_e64 s[10:11], 31, v20
	v_cmp_eq_u32_e64 s[12:13], 63, v0
	v_lshlrev_b32_e32 v40, 2, v2
	s_or_b64 s[16:17], s[14:15], vcc
	v_add_u32_e32 v42, v39, v1
	s_branch .LBB102_2
.LBB102_1:                              ;   in Loop: Header=BB102_2 Depth=1
	v_lshlrev_b32_e32 v1, 3, v54
	; wave barrier
	ds_write_b64 v1, v[35:36]
	v_lshlrev_b32_e32 v1, 3, v53
	ds_write_b64 v1, v[33:34]
	v_lshlrev_b32_e32 v1, 3, v52
	;; [unrolled: 2-line block ×7, first 2 shown]
	ds_write_b64 v1, v[17:18]
	s_waitcnt lgkmcnt(0)
	; wave barrier
	ds_read2_b64 v[15:18], v42 offset1:1
	ds_read2_b64 v[11:14], v42 offset0:2 offset1:3
	ds_read2_b64 v[7:10], v42 offset0:4 offset1:5
	;; [unrolled: 1-line block ×3, first 2 shown]
	s_add_i32 s21, s21, 1
	s_waitcnt lgkmcnt(3)
	v_xor_b32_e32 v16, 0x80000000, v16
	v_xor_b32_e32 v18, 0x80000000, v18
	s_waitcnt lgkmcnt(2)
	v_xor_b32_e32 v12, 0x80000000, v12
	v_xor_b32_e32 v14, 0x80000000, v14
	;; [unrolled: 3-line block ×3, first 2 shown]
	s_waitcnt lgkmcnt(0)
	v_xor_b32_e32 v4, 0x80000000, v4
	s_cmp_eq_u32 s21, 10
	v_xor_b32_e32 v6, 0x80000000, v6
	s_cbranch_scc1 .LBB102_24
.LBB102_2:                              ; =>This Loop Header: Depth=1
                                        ;     Child Loop BB102_4 Depth 2
	s_waitcnt vmcnt(7)
	v_xor_b32_e32 v16, 0x80000000, v16
	s_waitcnt vmcnt(6)
	v_xor_b32_e32 v18, 0x80000000, v18
	;; [unrolled: 2-line block ×8, first 2 shown]
	ds_write2_b64 v37, v[15:16], v[17:18] offset1:1
	ds_write2_b64 v37, v[11:12], v[13:14] offset0:2 offset1:3
	ds_write2_b64 v37, v[7:8], v[9:10] offset0:4 offset1:5
	;; [unrolled: 1-line block ×3, first 2 shown]
	; wave barrier
	ds_read2st64_b64 v[1:4], v38 offset1:1
	ds_read2st64_b64 v[5:8], v38 offset0:2 offset1:3
	ds_read2st64_b64 v[9:12], v38 offset0:4 offset1:5
	;; [unrolled: 1-line block ×3, first 2 shown]
	v_mov_b32_e32 v25, 0
	v_mov_b32_e32 v26, 0
	s_waitcnt lgkmcnt(0)
	; wave barrier
	; wave barrier
	;; [unrolled: 1-line block ×3, first 2 shown]
	s_branch .LBB102_4
.LBB102_3:                              ;   in Loop: Header=BB102_4 Depth=2
	s_andn2_b64 vcc, exec, s[14:15]
	s_cbranch_vccz .LBB102_1
.LBB102_4:                              ;   Parent Loop BB102_2 Depth=1
                                        ; =>  This Inner Loop Header: Depth=2
	v_mov_b32_e32 v36, v2
	v_mov_b32_e32 v35, v1
	v_lshrrev_b64 v[1:2], v25, v[35:36]
	v_mov_b32_e32 v32, v6
	v_and_b32_e32 v2, 0xff, v1
	v_mov_b32_e32 v31, v5
	v_mov_b32_e32 v34, v4
	v_lshl_add_u32 v5, v2, 2, v41
	v_and_b32_e32 v2, 1, v1
	v_mov_b32_e32 v33, v3
	v_add_co_u32_e32 v3, vcc, -1, v2
	v_addc_co_u32_e64 v4, s[14:15], 0, -1, vcc
	v_cmp_ne_u32_e32 vcc, 0, v2
	v_lshlrev_b32_e32 v20, 30, v1
	v_xor_b32_e32 v2, vcc_hi, v4
	v_xor_b32_e32 v3, vcc_lo, v3
	v_cmp_gt_i64_e32 vcc, 0, v[19:20]
	v_not_b32_e32 v4, v20
	v_ashrrev_i32_e32 v4, 31, v4
	v_and_b32_e32 v3, exec_lo, v3
	v_xor_b32_e32 v6, vcc_hi, v4
	v_xor_b32_e32 v4, vcc_lo, v4
	v_lshlrev_b32_e32 v20, 29, v1
	v_and_b32_e32 v3, v3, v4
	v_cmp_gt_i64_e32 vcc, 0, v[19:20]
	v_not_b32_e32 v4, v20
	v_and_b32_e32 v2, exec_hi, v2
	v_ashrrev_i32_e32 v4, 31, v4
	v_and_b32_e32 v2, v2, v6
	v_xor_b32_e32 v6, vcc_hi, v4
	v_xor_b32_e32 v4, vcc_lo, v4
	v_lshlrev_b32_e32 v20, 28, v1
	v_and_b32_e32 v3, v3, v4
	v_cmp_gt_i64_e32 vcc, 0, v[19:20]
	v_not_b32_e32 v4, v20
	v_ashrrev_i32_e32 v4, 31, v4
	v_and_b32_e32 v2, v2, v6
	v_xor_b32_e32 v6, vcc_hi, v4
	v_xor_b32_e32 v4, vcc_lo, v4
	v_lshlrev_b32_e32 v20, 27, v1
	v_and_b32_e32 v3, v3, v4
	v_cmp_gt_i64_e32 vcc, 0, v[19:20]
	v_not_b32_e32 v4, v20
	;; [unrolled: 8-line block ×4, first 2 shown]
	v_ashrrev_i32_e32 v4, 31, v4
	v_lshlrev_b32_e32 v20, 24, v1
	v_and_b32_e32 v2, v2, v6
	v_xor_b32_e32 v6, vcc_hi, v4
	v_xor_b32_e32 v4, vcc_lo, v4
	v_cmp_gt_i64_e32 vcc, 0, v[19:20]
	v_not_b32_e32 v1, v20
	v_ashrrev_i32_e32 v1, 31, v1
	v_and_b32_e32 v3, v3, v4
	v_xor_b32_e32 v4, vcc_hi, v1
	v_xor_b32_e32 v1, vcc_lo, v1
	v_and_b32_e32 v2, v2, v6
	v_and_b32_e32 v1, v3, v1
	;; [unrolled: 1-line block ×3, first 2 shown]
	v_mbcnt_lo_u32_b32 v3, v1, 0
	v_mbcnt_hi_u32_b32 v6, v2, v3
	v_cmp_ne_u64_e32 vcc, 0, v[1:2]
	v_mov_b32_e32 v18, v16
	v_mov_b32_e32 v22, v14
	;; [unrolled: 1-line block ×5, first 2 shown]
	v_cmp_eq_u32_e64 s[14:15], 0, v6
	v_mov_b32_e32 v17, v15
	v_mov_b32_e32 v21, v13
	;; [unrolled: 1-line block ×5, first 2 shown]
	s_and_b64 s[24:25], vcc, s[14:15]
	ds_write2_b32 v39, v19, v19 offset0:1 offset1:2
	ds_write2_b32 v39, v19, v19 offset0:3 offset1:4
	s_waitcnt lgkmcnt(0)
	; wave barrier
	; wave barrier
	s_and_saveexec_b64 s[14:15], s[24:25]
; %bb.5:                                ;   in Loop: Header=BB102_4 Depth=2
	v_bcnt_u32_b32 v1, v1, 0
	v_bcnt_u32_b32 v1, v2, v1
	ds_write_b32 v5, v1 offset:4
; %bb.6:                                ;   in Loop: Header=BB102_4 Depth=2
	s_or_b64 exec, exec, s[14:15]
	v_lshrrev_b64 v[1:2], v25, v[33:34]
	v_and_b32_e32 v2, 0xff, v1
	v_lshl_add_u32 v8, v2, 2, v41
	v_and_b32_e32 v2, 1, v1
	v_add_co_u32_e32 v3, vcc, -1, v2
	v_addc_co_u32_e64 v4, s[14:15], 0, -1, vcc
	v_cmp_ne_u32_e32 vcc, 0, v2
	v_lshlrev_b32_e32 v20, 30, v1
	v_xor_b32_e32 v2, vcc_hi, v4
	v_xor_b32_e32 v3, vcc_lo, v3
	v_cmp_gt_i64_e32 vcc, 0, v[19:20]
	v_not_b32_e32 v4, v20
	v_ashrrev_i32_e32 v4, 31, v4
	v_and_b32_e32 v3, exec_lo, v3
	v_xor_b32_e32 v9, vcc_hi, v4
	v_xor_b32_e32 v4, vcc_lo, v4
	v_lshlrev_b32_e32 v20, 29, v1
	v_and_b32_e32 v3, v3, v4
	v_cmp_gt_i64_e32 vcc, 0, v[19:20]
	v_not_b32_e32 v4, v20
	v_and_b32_e32 v2, exec_hi, v2
	v_ashrrev_i32_e32 v4, 31, v4
	v_and_b32_e32 v2, v2, v9
	v_xor_b32_e32 v9, vcc_hi, v4
	v_xor_b32_e32 v4, vcc_lo, v4
	v_lshlrev_b32_e32 v20, 28, v1
	v_and_b32_e32 v3, v3, v4
	v_cmp_gt_i64_e32 vcc, 0, v[19:20]
	v_not_b32_e32 v4, v20
	v_ashrrev_i32_e32 v4, 31, v4
	v_and_b32_e32 v2, v2, v9
	v_xor_b32_e32 v9, vcc_hi, v4
	v_xor_b32_e32 v4, vcc_lo, v4
	v_lshlrev_b32_e32 v20, 27, v1
	v_and_b32_e32 v3, v3, v4
	v_cmp_gt_i64_e32 vcc, 0, v[19:20]
	v_not_b32_e32 v4, v20
	v_ashrrev_i32_e32 v4, 31, v4
	v_and_b32_e32 v2, v2, v9
	v_xor_b32_e32 v9, vcc_hi, v4
	v_xor_b32_e32 v4, vcc_lo, v4
	v_lshlrev_b32_e32 v20, 26, v1
	v_and_b32_e32 v3, v3, v4
	v_cmp_gt_i64_e32 vcc, 0, v[19:20]
	v_not_b32_e32 v4, v20
	v_ashrrev_i32_e32 v4, 31, v4
	v_and_b32_e32 v2, v2, v9
	v_xor_b32_e32 v9, vcc_hi, v4
	v_xor_b32_e32 v4, vcc_lo, v4
	v_lshlrev_b32_e32 v20, 25, v1
	v_and_b32_e32 v3, v3, v4
	v_cmp_gt_i64_e32 vcc, 0, v[19:20]
	v_not_b32_e32 v4, v20
	v_ashrrev_i32_e32 v4, 31, v4
	v_lshlrev_b32_e32 v20, 24, v1
	v_and_b32_e32 v2, v2, v9
	v_xor_b32_e32 v9, vcc_hi, v4
	v_xor_b32_e32 v4, vcc_lo, v4
	v_cmp_gt_i64_e32 vcc, 0, v[19:20]
	v_not_b32_e32 v1, v20
	v_ashrrev_i32_e32 v1, 31, v1
	v_and_b32_e32 v3, v3, v4
	v_xor_b32_e32 v4, vcc_hi, v1
	v_xor_b32_e32 v1, vcc_lo, v1
	; wave barrier
	ds_read_b32 v7, v8 offset:4
	v_and_b32_e32 v2, v2, v9
	v_and_b32_e32 v1, v3, v1
	;; [unrolled: 1-line block ×3, first 2 shown]
	v_mbcnt_lo_u32_b32 v3, v1, 0
	v_mbcnt_hi_u32_b32 v9, v2, v3
	v_cmp_ne_u64_e32 vcc, 0, v[1:2]
	v_cmp_eq_u32_e64 s[14:15], 0, v9
	s_and_b64 s[24:25], vcc, s[14:15]
	; wave barrier
	s_and_saveexec_b64 s[14:15], s[24:25]
	s_cbranch_execz .LBB102_8
; %bb.7:                                ;   in Loop: Header=BB102_4 Depth=2
	v_bcnt_u32_b32 v1, v1, 0
	v_bcnt_u32_b32 v1, v2, v1
	s_waitcnt lgkmcnt(0)
	v_add_u32_e32 v1, v7, v1
	ds_write_b32 v8, v1 offset:4
.LBB102_8:                              ;   in Loop: Header=BB102_4 Depth=2
	s_or_b64 exec, exec, s[14:15]
	v_lshrrev_b64 v[1:2], v25, v[31:32]
	v_and_b32_e32 v2, 0xff, v1
	v_lshl_add_u32 v11, v2, 2, v41
	v_and_b32_e32 v2, 1, v1
	v_add_co_u32_e32 v3, vcc, -1, v2
	v_addc_co_u32_e64 v4, s[14:15], 0, -1, vcc
	v_cmp_ne_u32_e32 vcc, 0, v2
	v_lshlrev_b32_e32 v20, 30, v1
	v_xor_b32_e32 v2, vcc_hi, v4
	v_xor_b32_e32 v3, vcc_lo, v3
	v_cmp_gt_i64_e32 vcc, 0, v[19:20]
	v_not_b32_e32 v4, v20
	v_ashrrev_i32_e32 v4, 31, v4
	v_and_b32_e32 v3, exec_lo, v3
	v_xor_b32_e32 v12, vcc_hi, v4
	v_xor_b32_e32 v4, vcc_lo, v4
	v_lshlrev_b32_e32 v20, 29, v1
	v_and_b32_e32 v3, v3, v4
	v_cmp_gt_i64_e32 vcc, 0, v[19:20]
	v_not_b32_e32 v4, v20
	v_and_b32_e32 v2, exec_hi, v2
	v_ashrrev_i32_e32 v4, 31, v4
	v_and_b32_e32 v2, v2, v12
	v_xor_b32_e32 v12, vcc_hi, v4
	v_xor_b32_e32 v4, vcc_lo, v4
	v_lshlrev_b32_e32 v20, 28, v1
	v_and_b32_e32 v3, v3, v4
	v_cmp_gt_i64_e32 vcc, 0, v[19:20]
	v_not_b32_e32 v4, v20
	v_ashrrev_i32_e32 v4, 31, v4
	v_and_b32_e32 v2, v2, v12
	v_xor_b32_e32 v12, vcc_hi, v4
	v_xor_b32_e32 v4, vcc_lo, v4
	v_lshlrev_b32_e32 v20, 27, v1
	v_and_b32_e32 v3, v3, v4
	v_cmp_gt_i64_e32 vcc, 0, v[19:20]
	v_not_b32_e32 v4, v20
	v_ashrrev_i32_e32 v4, 31, v4
	v_and_b32_e32 v2, v2, v12
	v_xor_b32_e32 v12, vcc_hi, v4
	v_xor_b32_e32 v4, vcc_lo, v4
	v_lshlrev_b32_e32 v20, 26, v1
	v_and_b32_e32 v3, v3, v4
	v_cmp_gt_i64_e32 vcc, 0, v[19:20]
	v_not_b32_e32 v4, v20
	v_ashrrev_i32_e32 v4, 31, v4
	v_and_b32_e32 v2, v2, v12
	v_xor_b32_e32 v12, vcc_hi, v4
	v_xor_b32_e32 v4, vcc_lo, v4
	v_lshlrev_b32_e32 v20, 25, v1
	v_and_b32_e32 v3, v3, v4
	v_cmp_gt_i64_e32 vcc, 0, v[19:20]
	v_not_b32_e32 v4, v20
	v_ashrrev_i32_e32 v4, 31, v4
	v_lshlrev_b32_e32 v20, 24, v1
	v_and_b32_e32 v2, v2, v12
	v_xor_b32_e32 v12, vcc_hi, v4
	v_xor_b32_e32 v4, vcc_lo, v4
	v_cmp_gt_i64_e32 vcc, 0, v[19:20]
	v_not_b32_e32 v1, v20
	v_ashrrev_i32_e32 v1, 31, v1
	v_and_b32_e32 v3, v3, v4
	v_xor_b32_e32 v4, vcc_hi, v1
	v_xor_b32_e32 v1, vcc_lo, v1
	; wave barrier
	ds_read_b32 v10, v11 offset:4
	v_and_b32_e32 v2, v2, v12
	v_and_b32_e32 v1, v3, v1
	;; [unrolled: 1-line block ×3, first 2 shown]
	v_mbcnt_lo_u32_b32 v3, v1, 0
	v_mbcnt_hi_u32_b32 v12, v2, v3
	v_cmp_ne_u64_e32 vcc, 0, v[1:2]
	v_cmp_eq_u32_e64 s[14:15], 0, v12
	s_and_b64 s[24:25], vcc, s[14:15]
	; wave barrier
	s_and_saveexec_b64 s[14:15], s[24:25]
	s_cbranch_execz .LBB102_10
; %bb.9:                                ;   in Loop: Header=BB102_4 Depth=2
	v_bcnt_u32_b32 v1, v1, 0
	v_bcnt_u32_b32 v1, v2, v1
	s_waitcnt lgkmcnt(0)
	v_add_u32_e32 v1, v10, v1
	ds_write_b32 v11, v1 offset:4
.LBB102_10:                             ;   in Loop: Header=BB102_4 Depth=2
	s_or_b64 exec, exec, s[14:15]
	v_lshrrev_b64 v[1:2], v25, v[29:30]
	v_and_b32_e32 v2, 0xff, v1
	v_lshl_add_u32 v14, v2, 2, v41
	v_and_b32_e32 v2, 1, v1
	v_add_co_u32_e32 v3, vcc, -1, v2
	v_addc_co_u32_e64 v4, s[14:15], 0, -1, vcc
	v_cmp_ne_u32_e32 vcc, 0, v2
	v_lshlrev_b32_e32 v20, 30, v1
	v_xor_b32_e32 v2, vcc_hi, v4
	v_xor_b32_e32 v3, vcc_lo, v3
	v_cmp_gt_i64_e32 vcc, 0, v[19:20]
	v_not_b32_e32 v4, v20
	v_ashrrev_i32_e32 v4, 31, v4
	v_and_b32_e32 v3, exec_lo, v3
	v_xor_b32_e32 v15, vcc_hi, v4
	v_xor_b32_e32 v4, vcc_lo, v4
	v_lshlrev_b32_e32 v20, 29, v1
	v_and_b32_e32 v3, v3, v4
	v_cmp_gt_i64_e32 vcc, 0, v[19:20]
	v_not_b32_e32 v4, v20
	v_and_b32_e32 v2, exec_hi, v2
	v_ashrrev_i32_e32 v4, 31, v4
	v_and_b32_e32 v2, v2, v15
	v_xor_b32_e32 v15, vcc_hi, v4
	v_xor_b32_e32 v4, vcc_lo, v4
	v_lshlrev_b32_e32 v20, 28, v1
	v_and_b32_e32 v3, v3, v4
	v_cmp_gt_i64_e32 vcc, 0, v[19:20]
	v_not_b32_e32 v4, v20
	v_ashrrev_i32_e32 v4, 31, v4
	v_and_b32_e32 v2, v2, v15
	v_xor_b32_e32 v15, vcc_hi, v4
	v_xor_b32_e32 v4, vcc_lo, v4
	v_lshlrev_b32_e32 v20, 27, v1
	v_and_b32_e32 v3, v3, v4
	v_cmp_gt_i64_e32 vcc, 0, v[19:20]
	v_not_b32_e32 v4, v20
	v_ashrrev_i32_e32 v4, 31, v4
	v_and_b32_e32 v2, v2, v15
	v_xor_b32_e32 v15, vcc_hi, v4
	v_xor_b32_e32 v4, vcc_lo, v4
	v_lshlrev_b32_e32 v20, 26, v1
	v_and_b32_e32 v3, v3, v4
	v_cmp_gt_i64_e32 vcc, 0, v[19:20]
	v_not_b32_e32 v4, v20
	v_ashrrev_i32_e32 v4, 31, v4
	v_and_b32_e32 v2, v2, v15
	v_xor_b32_e32 v15, vcc_hi, v4
	v_xor_b32_e32 v4, vcc_lo, v4
	v_lshlrev_b32_e32 v20, 25, v1
	v_and_b32_e32 v3, v3, v4
	v_cmp_gt_i64_e32 vcc, 0, v[19:20]
	v_not_b32_e32 v4, v20
	v_ashrrev_i32_e32 v4, 31, v4
	v_lshlrev_b32_e32 v20, 24, v1
	v_and_b32_e32 v2, v2, v15
	v_xor_b32_e32 v15, vcc_hi, v4
	v_xor_b32_e32 v4, vcc_lo, v4
	v_cmp_gt_i64_e32 vcc, 0, v[19:20]
	v_not_b32_e32 v1, v20
	v_ashrrev_i32_e32 v1, 31, v1
	v_and_b32_e32 v3, v3, v4
	v_xor_b32_e32 v4, vcc_hi, v1
	v_xor_b32_e32 v1, vcc_lo, v1
	; wave barrier
	ds_read_b32 v13, v14 offset:4
	v_and_b32_e32 v2, v2, v15
	v_and_b32_e32 v1, v3, v1
	;; [unrolled: 1-line block ×3, first 2 shown]
	v_mbcnt_lo_u32_b32 v3, v1, 0
	v_mbcnt_hi_u32_b32 v15, v2, v3
	v_cmp_ne_u64_e32 vcc, 0, v[1:2]
	v_cmp_eq_u32_e64 s[14:15], 0, v15
	s_and_b64 s[24:25], vcc, s[14:15]
	; wave barrier
	s_and_saveexec_b64 s[14:15], s[24:25]
	s_cbranch_execz .LBB102_12
; %bb.11:                               ;   in Loop: Header=BB102_4 Depth=2
	v_bcnt_u32_b32 v1, v1, 0
	v_bcnt_u32_b32 v1, v2, v1
	s_waitcnt lgkmcnt(0)
	v_add_u32_e32 v1, v13, v1
	ds_write_b32 v14, v1 offset:4
.LBB102_12:                             ;   in Loop: Header=BB102_4 Depth=2
	s_or_b64 exec, exec, s[14:15]
	v_lshrrev_b64 v[1:2], v25, v[27:28]
	v_and_b32_e32 v2, 0xff, v1
	v_lshl_add_u32 v43, v2, 2, v41
	v_and_b32_e32 v2, 1, v1
	v_add_co_u32_e32 v3, vcc, -1, v2
	v_addc_co_u32_e64 v4, s[14:15], 0, -1, vcc
	v_cmp_ne_u32_e32 vcc, 0, v2
	v_lshlrev_b32_e32 v20, 30, v1
	v_xor_b32_e32 v2, vcc_hi, v4
	v_xor_b32_e32 v3, vcc_lo, v3
	v_cmp_gt_i64_e32 vcc, 0, v[19:20]
	v_not_b32_e32 v4, v20
	v_ashrrev_i32_e32 v4, 31, v4
	v_and_b32_e32 v2, exec_hi, v2
	v_xor_b32_e32 v20, vcc_hi, v4
	v_and_b32_e32 v3, exec_lo, v3
	v_xor_b32_e32 v4, vcc_lo, v4
	v_and_b32_e32 v2, v2, v20
	v_lshlrev_b32_e32 v20, 29, v1
	v_and_b32_e32 v3, v3, v4
	v_cmp_gt_i64_e32 vcc, 0, v[19:20]
	v_not_b32_e32 v4, v20
	v_ashrrev_i32_e32 v4, 31, v4
	v_xor_b32_e32 v20, vcc_hi, v4
	v_xor_b32_e32 v4, vcc_lo, v4
	v_and_b32_e32 v2, v2, v20
	v_lshlrev_b32_e32 v20, 28, v1
	v_and_b32_e32 v3, v3, v4
	v_cmp_gt_i64_e32 vcc, 0, v[19:20]
	v_not_b32_e32 v4, v20
	v_ashrrev_i32_e32 v4, 31, v4
	v_xor_b32_e32 v20, vcc_hi, v4
	;; [unrolled: 8-line block ×5, first 2 shown]
	v_and_b32_e32 v2, v2, v20
	v_lshlrev_b32_e32 v20, 24, v1
	v_xor_b32_e32 v4, vcc_lo, v4
	v_cmp_gt_i64_e32 vcc, 0, v[19:20]
	v_not_b32_e32 v1, v20
	v_ashrrev_i32_e32 v1, 31, v1
	v_and_b32_e32 v3, v3, v4
	v_xor_b32_e32 v4, vcc_hi, v1
	v_xor_b32_e32 v1, vcc_lo, v1
	; wave barrier
	ds_read_b32 v16, v43 offset:4
	v_and_b32_e32 v1, v3, v1
	v_and_b32_e32 v2, v2, v4
	v_mbcnt_lo_u32_b32 v3, v1, 0
	v_mbcnt_hi_u32_b32 v44, v2, v3
	v_cmp_ne_u64_e32 vcc, 0, v[1:2]
	v_cmp_eq_u32_e64 s[14:15], 0, v44
	s_and_b64 s[24:25], vcc, s[14:15]
	; wave barrier
	s_and_saveexec_b64 s[14:15], s[24:25]
	s_cbranch_execz .LBB102_14
; %bb.13:                               ;   in Loop: Header=BB102_4 Depth=2
	v_bcnt_u32_b32 v1, v1, 0
	v_bcnt_u32_b32 v1, v2, v1
	s_waitcnt lgkmcnt(0)
	v_add_u32_e32 v1, v16, v1
	ds_write_b32 v43, v1 offset:4
.LBB102_14:                             ;   in Loop: Header=BB102_4 Depth=2
	s_or_b64 exec, exec, s[14:15]
	v_lshrrev_b64 v[1:2], v25, v[23:24]
	v_and_b32_e32 v2, 0xff, v1
	v_lshl_add_u32 v46, v2, 2, v41
	v_and_b32_e32 v2, 1, v1
	v_add_co_u32_e32 v3, vcc, -1, v2
	v_addc_co_u32_e64 v4, s[14:15], 0, -1, vcc
	v_cmp_ne_u32_e32 vcc, 0, v2
	v_lshlrev_b32_e32 v20, 30, v1
	v_xor_b32_e32 v2, vcc_hi, v4
	v_xor_b32_e32 v3, vcc_lo, v3
	v_cmp_gt_i64_e32 vcc, 0, v[19:20]
	v_not_b32_e32 v4, v20
	v_ashrrev_i32_e32 v4, 31, v4
	v_and_b32_e32 v2, exec_hi, v2
	v_xor_b32_e32 v20, vcc_hi, v4
	v_and_b32_e32 v3, exec_lo, v3
	v_xor_b32_e32 v4, vcc_lo, v4
	v_and_b32_e32 v2, v2, v20
	v_lshlrev_b32_e32 v20, 29, v1
	v_and_b32_e32 v3, v3, v4
	v_cmp_gt_i64_e32 vcc, 0, v[19:20]
	v_not_b32_e32 v4, v20
	v_ashrrev_i32_e32 v4, 31, v4
	v_xor_b32_e32 v20, vcc_hi, v4
	v_xor_b32_e32 v4, vcc_lo, v4
	v_and_b32_e32 v2, v2, v20
	v_lshlrev_b32_e32 v20, 28, v1
	v_and_b32_e32 v3, v3, v4
	v_cmp_gt_i64_e32 vcc, 0, v[19:20]
	v_not_b32_e32 v4, v20
	v_ashrrev_i32_e32 v4, 31, v4
	v_xor_b32_e32 v20, vcc_hi, v4
	;; [unrolled: 8-line block ×5, first 2 shown]
	v_and_b32_e32 v2, v2, v20
	v_lshlrev_b32_e32 v20, 24, v1
	v_xor_b32_e32 v4, vcc_lo, v4
	v_cmp_gt_i64_e32 vcc, 0, v[19:20]
	v_not_b32_e32 v1, v20
	v_ashrrev_i32_e32 v1, 31, v1
	v_and_b32_e32 v3, v3, v4
	v_xor_b32_e32 v4, vcc_hi, v1
	v_xor_b32_e32 v1, vcc_lo, v1
	; wave barrier
	ds_read_b32 v45, v46 offset:4
	v_and_b32_e32 v1, v3, v1
	v_and_b32_e32 v2, v2, v4
	v_mbcnt_lo_u32_b32 v3, v1, 0
	v_mbcnt_hi_u32_b32 v47, v2, v3
	v_cmp_ne_u64_e32 vcc, 0, v[1:2]
	v_cmp_eq_u32_e64 s[14:15], 0, v47
	s_and_b64 s[24:25], vcc, s[14:15]
	; wave barrier
	s_and_saveexec_b64 s[14:15], s[24:25]
	s_cbranch_execz .LBB102_16
; %bb.15:                               ;   in Loop: Header=BB102_4 Depth=2
	v_bcnt_u32_b32 v1, v1, 0
	v_bcnt_u32_b32 v1, v2, v1
	s_waitcnt lgkmcnt(0)
	v_add_u32_e32 v1, v45, v1
	ds_write_b32 v46, v1 offset:4
.LBB102_16:                             ;   in Loop: Header=BB102_4 Depth=2
	s_or_b64 exec, exec, s[14:15]
	v_lshrrev_b64 v[1:2], v25, v[21:22]
	v_and_b32_e32 v2, 0xff, v1
	v_lshl_add_u32 v49, v2, 2, v41
	v_and_b32_e32 v2, 1, v1
	v_add_co_u32_e32 v3, vcc, -1, v2
	v_addc_co_u32_e64 v4, s[14:15], 0, -1, vcc
	v_cmp_ne_u32_e32 vcc, 0, v2
	v_lshlrev_b32_e32 v20, 30, v1
	v_xor_b32_e32 v2, vcc_hi, v4
	v_xor_b32_e32 v3, vcc_lo, v3
	v_cmp_gt_i64_e32 vcc, 0, v[19:20]
	v_not_b32_e32 v4, v20
	v_ashrrev_i32_e32 v4, 31, v4
	v_and_b32_e32 v2, exec_hi, v2
	v_xor_b32_e32 v20, vcc_hi, v4
	v_and_b32_e32 v3, exec_lo, v3
	v_xor_b32_e32 v4, vcc_lo, v4
	v_and_b32_e32 v2, v2, v20
	v_lshlrev_b32_e32 v20, 29, v1
	v_and_b32_e32 v3, v3, v4
	v_cmp_gt_i64_e32 vcc, 0, v[19:20]
	v_not_b32_e32 v4, v20
	v_ashrrev_i32_e32 v4, 31, v4
	v_xor_b32_e32 v20, vcc_hi, v4
	v_xor_b32_e32 v4, vcc_lo, v4
	v_and_b32_e32 v2, v2, v20
	v_lshlrev_b32_e32 v20, 28, v1
	v_and_b32_e32 v3, v3, v4
	v_cmp_gt_i64_e32 vcc, 0, v[19:20]
	v_not_b32_e32 v4, v20
	v_ashrrev_i32_e32 v4, 31, v4
	v_xor_b32_e32 v20, vcc_hi, v4
	v_xor_b32_e32 v4, vcc_lo, v4
	v_and_b32_e32 v2, v2, v20
	v_lshlrev_b32_e32 v20, 27, v1
	v_and_b32_e32 v3, v3, v4
	v_cmp_gt_i64_e32 vcc, 0, v[19:20]
	v_not_b32_e32 v4, v20
	v_ashrrev_i32_e32 v4, 31, v4
	v_xor_b32_e32 v20, vcc_hi, v4
	v_xor_b32_e32 v4, vcc_lo, v4
	v_and_b32_e32 v2, v2, v20
	v_lshlrev_b32_e32 v20, 26, v1
	v_and_b32_e32 v3, v3, v4
	v_cmp_gt_i64_e32 vcc, 0, v[19:20]
	v_not_b32_e32 v4, v20
	v_ashrrev_i32_e32 v4, 31, v4
	v_xor_b32_e32 v20, vcc_hi, v4
	v_xor_b32_e32 v4, vcc_lo, v4
	v_and_b32_e32 v2, v2, v20
	v_lshlrev_b32_e32 v20, 25, v1
	v_and_b32_e32 v3, v3, v4
	v_cmp_gt_i64_e32 vcc, 0, v[19:20]
	v_not_b32_e32 v4, v20
	v_ashrrev_i32_e32 v4, 31, v4
	v_xor_b32_e32 v20, vcc_hi, v4
	v_and_b32_e32 v2, v2, v20
	v_lshlrev_b32_e32 v20, 24, v1
	v_xor_b32_e32 v4, vcc_lo, v4
	v_cmp_gt_i64_e32 vcc, 0, v[19:20]
	v_not_b32_e32 v1, v20
	v_ashrrev_i32_e32 v1, 31, v1
	v_and_b32_e32 v3, v3, v4
	v_xor_b32_e32 v4, vcc_hi, v1
	v_xor_b32_e32 v1, vcc_lo, v1
	; wave barrier
	ds_read_b32 v48, v49 offset:4
	v_and_b32_e32 v1, v3, v1
	v_and_b32_e32 v2, v2, v4
	v_mbcnt_lo_u32_b32 v3, v1, 0
	v_mbcnt_hi_u32_b32 v50, v2, v3
	v_cmp_ne_u64_e32 vcc, 0, v[1:2]
	v_cmp_eq_u32_e64 s[14:15], 0, v50
	s_and_b64 s[24:25], vcc, s[14:15]
	; wave barrier
	s_and_saveexec_b64 s[14:15], s[24:25]
	s_cbranch_execz .LBB102_18
; %bb.17:                               ;   in Loop: Header=BB102_4 Depth=2
	v_bcnt_u32_b32 v1, v1, 0
	v_bcnt_u32_b32 v1, v2, v1
	s_waitcnt lgkmcnt(0)
	v_add_u32_e32 v1, v48, v1
	ds_write_b32 v49, v1 offset:4
.LBB102_18:                             ;   in Loop: Header=BB102_4 Depth=2
	s_or_b64 exec, exec, s[14:15]
	v_lshrrev_b64 v[1:2], v25, v[17:18]
	v_and_b32_e32 v2, 0xff, v1
	v_lshl_add_u32 v52, v2, 2, v41
	v_and_b32_e32 v2, 1, v1
	v_add_co_u32_e32 v3, vcc, -1, v2
	v_addc_co_u32_e64 v4, s[14:15], 0, -1, vcc
	v_cmp_ne_u32_e32 vcc, 0, v2
	v_lshlrev_b32_e32 v20, 30, v1
	v_xor_b32_e32 v2, vcc_hi, v4
	v_xor_b32_e32 v3, vcc_lo, v3
	v_cmp_gt_i64_e32 vcc, 0, v[19:20]
	v_not_b32_e32 v4, v20
	v_ashrrev_i32_e32 v4, 31, v4
	v_and_b32_e32 v2, exec_hi, v2
	v_xor_b32_e32 v20, vcc_hi, v4
	v_and_b32_e32 v3, exec_lo, v3
	v_xor_b32_e32 v4, vcc_lo, v4
	v_and_b32_e32 v2, v2, v20
	v_lshlrev_b32_e32 v20, 29, v1
	v_and_b32_e32 v3, v3, v4
	v_cmp_gt_i64_e32 vcc, 0, v[19:20]
	v_not_b32_e32 v4, v20
	v_ashrrev_i32_e32 v4, 31, v4
	v_xor_b32_e32 v20, vcc_hi, v4
	v_xor_b32_e32 v4, vcc_lo, v4
	v_and_b32_e32 v2, v2, v20
	v_lshlrev_b32_e32 v20, 28, v1
	v_and_b32_e32 v3, v3, v4
	v_cmp_gt_i64_e32 vcc, 0, v[19:20]
	v_not_b32_e32 v4, v20
	v_ashrrev_i32_e32 v4, 31, v4
	v_xor_b32_e32 v20, vcc_hi, v4
	;; [unrolled: 8-line block ×5, first 2 shown]
	v_and_b32_e32 v2, v2, v20
	v_lshlrev_b32_e32 v20, 24, v1
	v_xor_b32_e32 v4, vcc_lo, v4
	v_cmp_gt_i64_e32 vcc, 0, v[19:20]
	v_not_b32_e32 v1, v20
	v_ashrrev_i32_e32 v1, 31, v1
	v_and_b32_e32 v3, v3, v4
	v_xor_b32_e32 v4, vcc_hi, v1
	v_xor_b32_e32 v1, vcc_lo, v1
	; wave barrier
	ds_read_b32 v51, v52 offset:4
	v_and_b32_e32 v1, v3, v1
	v_and_b32_e32 v2, v2, v4
	v_mbcnt_lo_u32_b32 v3, v1, 0
	v_mbcnt_hi_u32_b32 v20, v2, v3
	v_cmp_ne_u64_e32 vcc, 0, v[1:2]
	v_cmp_eq_u32_e64 s[14:15], 0, v20
	s_and_b64 s[24:25], vcc, s[14:15]
	; wave barrier
	s_and_saveexec_b64 s[14:15], s[24:25]
	s_cbranch_execz .LBB102_20
; %bb.19:                               ;   in Loop: Header=BB102_4 Depth=2
	v_bcnt_u32_b32 v1, v1, 0
	v_bcnt_u32_b32 v1, v2, v1
	s_waitcnt lgkmcnt(0)
	v_add_u32_e32 v1, v51, v1
	ds_write_b32 v52, v1 offset:4
.LBB102_20:                             ;   in Loop: Header=BB102_4 Depth=2
	s_or_b64 exec, exec, s[14:15]
	; wave barrier
	s_waitcnt lgkmcnt(0)
	; wave barrier
	ds_read2_b32 v[3:4], v39 offset0:1 offset1:2
	ds_read2_b32 v[1:2], v39 offset0:3 offset1:4
	s_waitcnt lgkmcnt(1)
	v_add_u32_e32 v53, v4, v3
	s_waitcnt lgkmcnt(0)
	v_add3_u32 v2, v53, v1, v2
	s_nop 1
	v_mov_b32_dpp v53, v2 row_shr:1 row_mask:0xf bank_mask:0xf
	v_cndmask_b32_e64 v53, v53, 0, s[0:1]
	v_add_u32_e32 v2, v53, v2
	s_nop 1
	v_mov_b32_dpp v53, v2 row_shr:2 row_mask:0xf bank_mask:0xf
	v_cndmask_b32_e64 v53, 0, v53, s[2:3]
	v_add_u32_e32 v2, v2, v53
	s_nop 1
	v_mov_b32_dpp v53, v2 row_shr:4 row_mask:0xf bank_mask:0xf
	v_cndmask_b32_e64 v53, 0, v53, s[4:5]
	v_add_u32_e32 v2, v2, v53
	s_nop 1
	v_mov_b32_dpp v53, v2 row_shr:8 row_mask:0xf bank_mask:0xf
	v_cndmask_b32_e64 v53, 0, v53, s[6:7]
	v_add_u32_e32 v2, v2, v53
	s_nop 1
	v_mov_b32_dpp v53, v2 row_bcast:15 row_mask:0xf bank_mask:0xf
	v_cndmask_b32_e64 v53, v53, 0, s[8:9]
	v_add_u32_e32 v2, v2, v53
	s_nop 1
	v_mov_b32_dpp v53, v2 row_bcast:31 row_mask:0xf bank_mask:0xf
	v_cndmask_b32_e64 v53, 0, v53, s[10:11]
	v_add_u32_e32 v2, v2, v53
	s_and_saveexec_b64 s[14:15], s[12:13]
; %bb.21:                               ;   in Loop: Header=BB102_4 Depth=2
	ds_write_b32 v19, v2
; %bb.22:                               ;   in Loop: Header=BB102_4 Depth=2
	s_or_b64 exec, exec, s[14:15]
	ds_bpermute_b32 v2, v40, v2
	s_waitcnt lgkmcnt(0)
	; wave barrier
	v_cmp_lt_u32_e32 vcc, 55, v25
	s_and_b64 vcc, exec, vcc
	v_cndmask_b32_e64 v2, v2, 0, s[16:17]
	v_add_u32_e32 v3, v2, v3
	v_add_u32_e32 v4, v3, v4
	;; [unrolled: 1-line block ×3, first 2 shown]
	ds_write2_b32 v39, v2, v3 offset0:1 offset1:2
	ds_write2_b32 v39, v4, v1 offset0:3 offset1:4
	s_waitcnt lgkmcnt(0)
	; wave barrier
	ds_read_b32 v1, v5 offset:4
	ds_read_b32 v2, v8 offset:4
	;; [unrolled: 1-line block ×8, first 2 shown]
	s_waitcnt lgkmcnt(7)
	v_add_u32_e32 v54, v1, v6
	s_waitcnt lgkmcnt(6)
	v_add3_u32 v53, v9, v7, v2
	s_waitcnt lgkmcnt(5)
	v_add3_u32 v52, v12, v10, v3
	;; [unrolled: 2-line block ×7, first 2 shown]
	s_mov_b64 s[14:15], -1
                                        ; implicit-def: $vgpr15_vgpr16
                                        ; implicit-def: $vgpr11_vgpr12
                                        ; implicit-def: $vgpr7_vgpr8
                                        ; implicit-def: $vgpr3_vgpr4
	s_cbranch_vccnz .LBB102_3
; %bb.23:                               ;   in Loop: Header=BB102_4 Depth=2
	v_lshlrev_b32_e32 v1, 3, v54
	; wave barrier
	ds_write_b64 v1, v[35:36]
	v_lshlrev_b32_e32 v1, 3, v53
	ds_write_b64 v1, v[33:34]
	v_lshlrev_b32_e32 v1, 3, v52
	;; [unrolled: 2-line block ×7, first 2 shown]
	ds_write_b64 v1, v[17:18]
	s_waitcnt lgkmcnt(0)
	; wave barrier
	ds_read2st64_b64 v[1:4], v38 offset1:1
	ds_read2st64_b64 v[5:8], v38 offset0:2 offset1:3
	ds_read2st64_b64 v[9:12], v38 offset0:4 offset1:5
	;; [unrolled: 1-line block ×3, first 2 shown]
	v_add_co_u32_e32 v25, vcc, 8, v25
	v_addc_co_u32_e32 v26, vcc, 0, v26, vcc
	s_mov_b64 s[14:15], 0
	s_waitcnt lgkmcnt(0)
	; wave barrier
	s_branch .LBB102_3
.LBB102_24:
	s_add_u32 s0, s18, s22
	s_addc_u32 s1, s19, s23
	v_lshlrev_b32_e32 v0, 3, v0
	global_store_dwordx2 v0, v[15:16], s[0:1]
	global_store_dwordx2 v0, v[17:18], s[0:1] offset:512
	global_store_dwordx2 v0, v[11:12], s[0:1] offset:1024
	;; [unrolled: 1-line block ×7, first 2 shown]
	s_endpgm
	.section	.rodata,"a",@progbits
	.p2align	6, 0x0
	.amdhsa_kernel _Z16sort_keys_kernelI22helper_blocked_blockedxLj64ELj8ELj10EEvPKT0_PS1_
		.amdhsa_group_segment_fixed_size 4096
		.amdhsa_private_segment_fixed_size 0
		.amdhsa_kernarg_size 272
		.amdhsa_user_sgpr_count 6
		.amdhsa_user_sgpr_private_segment_buffer 1
		.amdhsa_user_sgpr_dispatch_ptr 0
		.amdhsa_user_sgpr_queue_ptr 0
		.amdhsa_user_sgpr_kernarg_segment_ptr 1
		.amdhsa_user_sgpr_dispatch_id 0
		.amdhsa_user_sgpr_flat_scratch_init 0
		.amdhsa_user_sgpr_private_segment_size 0
		.amdhsa_uses_dynamic_stack 0
		.amdhsa_system_sgpr_private_segment_wavefront_offset 0
		.amdhsa_system_sgpr_workgroup_id_x 1
		.amdhsa_system_sgpr_workgroup_id_y 0
		.amdhsa_system_sgpr_workgroup_id_z 0
		.amdhsa_system_sgpr_workgroup_info 0
		.amdhsa_system_vgpr_workitem_id 2
		.amdhsa_next_free_vgpr 55
		.amdhsa_next_free_sgpr 98
		.amdhsa_reserve_vcc 1
		.amdhsa_reserve_flat_scratch 0
		.amdhsa_float_round_mode_32 0
		.amdhsa_float_round_mode_16_64 0
		.amdhsa_float_denorm_mode_32 3
		.amdhsa_float_denorm_mode_16_64 3
		.amdhsa_dx10_clamp 1
		.amdhsa_ieee_mode 1
		.amdhsa_fp16_overflow 0
		.amdhsa_exception_fp_ieee_invalid_op 0
		.amdhsa_exception_fp_denorm_src 0
		.amdhsa_exception_fp_ieee_div_zero 0
		.amdhsa_exception_fp_ieee_overflow 0
		.amdhsa_exception_fp_ieee_underflow 0
		.amdhsa_exception_fp_ieee_inexact 0
		.amdhsa_exception_int_div_zero 0
	.end_amdhsa_kernel
	.section	.text._Z16sort_keys_kernelI22helper_blocked_blockedxLj64ELj8ELj10EEvPKT0_PS1_,"axG",@progbits,_Z16sort_keys_kernelI22helper_blocked_blockedxLj64ELj8ELj10EEvPKT0_PS1_,comdat
.Lfunc_end102:
	.size	_Z16sort_keys_kernelI22helper_blocked_blockedxLj64ELj8ELj10EEvPKT0_PS1_, .Lfunc_end102-_Z16sort_keys_kernelI22helper_blocked_blockedxLj64ELj8ELj10EEvPKT0_PS1_
                                        ; -- End function
	.set _Z16sort_keys_kernelI22helper_blocked_blockedxLj64ELj8ELj10EEvPKT0_PS1_.num_vgpr, 55
	.set _Z16sort_keys_kernelI22helper_blocked_blockedxLj64ELj8ELj10EEvPKT0_PS1_.num_agpr, 0
	.set _Z16sort_keys_kernelI22helper_blocked_blockedxLj64ELj8ELj10EEvPKT0_PS1_.numbered_sgpr, 26
	.set _Z16sort_keys_kernelI22helper_blocked_blockedxLj64ELj8ELj10EEvPKT0_PS1_.num_named_barrier, 0
	.set _Z16sort_keys_kernelI22helper_blocked_blockedxLj64ELj8ELj10EEvPKT0_PS1_.private_seg_size, 0
	.set _Z16sort_keys_kernelI22helper_blocked_blockedxLj64ELj8ELj10EEvPKT0_PS1_.uses_vcc, 1
	.set _Z16sort_keys_kernelI22helper_blocked_blockedxLj64ELj8ELj10EEvPKT0_PS1_.uses_flat_scratch, 0
	.set _Z16sort_keys_kernelI22helper_blocked_blockedxLj64ELj8ELj10EEvPKT0_PS1_.has_dyn_sized_stack, 0
	.set _Z16sort_keys_kernelI22helper_blocked_blockedxLj64ELj8ELj10EEvPKT0_PS1_.has_recursion, 0
	.set _Z16sort_keys_kernelI22helper_blocked_blockedxLj64ELj8ELj10EEvPKT0_PS1_.has_indirect_call, 0
	.section	.AMDGPU.csdata,"",@progbits
; Kernel info:
; codeLenInByte = 4368
; TotalNumSgprs: 30
; NumVgprs: 55
; ScratchSize: 0
; MemoryBound: 0
; FloatMode: 240
; IeeeMode: 1
; LDSByteSize: 4096 bytes/workgroup (compile time only)
; SGPRBlocks: 12
; VGPRBlocks: 13
; NumSGPRsForWavesPerEU: 102
; NumVGPRsForWavesPerEU: 55
; Occupancy: 4
; WaveLimiterHint : 1
; COMPUTE_PGM_RSRC2:SCRATCH_EN: 0
; COMPUTE_PGM_RSRC2:USER_SGPR: 6
; COMPUTE_PGM_RSRC2:TRAP_HANDLER: 0
; COMPUTE_PGM_RSRC2:TGID_X_EN: 1
; COMPUTE_PGM_RSRC2:TGID_Y_EN: 0
; COMPUTE_PGM_RSRC2:TGID_Z_EN: 0
; COMPUTE_PGM_RSRC2:TIDIG_COMP_CNT: 2
	.section	.text._Z17sort_pairs_kernelI22helper_blocked_blockedxLj64ELj8ELj10EEvPKT0_PS1_,"axG",@progbits,_Z17sort_pairs_kernelI22helper_blocked_blockedxLj64ELj8ELj10EEvPKT0_PS1_,comdat
	.protected	_Z17sort_pairs_kernelI22helper_blocked_blockedxLj64ELj8ELj10EEvPKT0_PS1_ ; -- Begin function _Z17sort_pairs_kernelI22helper_blocked_blockedxLj64ELj8ELj10EEvPKT0_PS1_
	.globl	_Z17sort_pairs_kernelI22helper_blocked_blockedxLj64ELj8ELj10EEvPKT0_PS1_
	.p2align	8
	.type	_Z17sort_pairs_kernelI22helper_blocked_blockedxLj64ELj8ELj10EEvPKT0_PS1_,@function
_Z17sort_pairs_kernelI22helper_blocked_blockedxLj64ELj8ELj10EEvPKT0_PS1_: ; @_Z17sort_pairs_kernelI22helper_blocked_blockedxLj64ELj8ELj10EEvPKT0_PS1_
; %bb.0:
	s_load_dwordx4 s[16:19], s[4:5], 0x0
	s_load_dword s24, s[4:5], 0x1c
	s_lshl_b32 s22, s6, 9
	s_mov_b32 s23, 0
	s_lshl_b64 s[20:21], s[22:23], 3
	s_waitcnt lgkmcnt(0)
	s_add_u32 s0, s16, s20
	s_addc_u32 s1, s17, s21
	v_lshlrev_b32_e32 v19, 3, v0
	global_load_dwordx2 v[15:16], v19, s[0:1]
	global_load_dwordx2 v[17:18], v19, s[0:1] offset:512
	global_load_dwordx2 v[11:12], v19, s[0:1] offset:1024
	global_load_dwordx2 v[13:14], v19, s[0:1] offset:1536
	global_load_dwordx2 v[7:8], v19, s[0:1] offset:2048
	global_load_dwordx2 v[9:10], v19, s[0:1] offset:2560
	global_load_dwordx2 v[3:4], v19, s[0:1] offset:3072
	global_load_dwordx2 v[5:6], v19, s[0:1] offset:3584
	v_mbcnt_lo_u32_b32 v19, -1, 0
	v_mbcnt_hi_u32_b32 v19, -1, v19
	v_subrev_co_u32_e64 v22, s[14:15], 1, v19
	v_and_b32_e32 v23, 64, v19
	v_cmp_eq_u32_e32 vcc, 0, v0
	v_cmp_lt_i32_e64 s[16:17], v22, v23
	v_lshlrev_b32_e32 v70, 6, v19
	v_lshlrev_b32_e32 v71, 3, v19
	v_and_b32_e32 v20, 15, v19
	v_and_b32_e32 v21, 16, v19
	v_cmp_lt_u32_e64 s[2:3], 31, v19
	v_cndmask_b32_e64 v19, v22, v19, s[16:17]
	s_or_b64 s[16:17], vcc, s[14:15]
	s_lshr_b32 s22, s24, 16
	v_lshlrev_b32_e32 v72, 2, v19
	s_and_b32 s24, s24, 0xffff
	v_mad_u32_u24 v1, v2, s22, v1
	v_cmp_eq_u32_e64 s[4:5], 0, v20
	v_cmp_lt_u32_e64 s[6:7], 1, v20
	v_cmp_lt_u32_e64 s[8:9], 3, v20
	;; [unrolled: 1-line block ×3, first 2 shown]
	v_mad_u32_u24 v1, v1, s24, v0
	v_lshlrev_b32_e32 v69, 4, v0
	v_mul_u32_u24_e32 v36, 48, v0
	v_cmp_eq_u32_e64 s[12:13], 0, v21
	v_lshrrev_b32_e32 v1, 4, v1
	v_mov_b32_e32 v35, 0
	v_cmp_eq_u32_e64 s[0:1], 63, v0
	v_and_b32_e32 v73, 0xffffffc, v1
	v_add_u32_e32 v74, v69, v36
	s_waitcnt vmcnt(7)
	v_add_co_u32_e32 v31, vcc, 1, v15
	v_addc_co_u32_e32 v32, vcc, 0, v16, vcc
	s_waitcnt vmcnt(6)
	v_add_co_u32_e32 v33, vcc, 1, v17
	v_addc_co_u32_e32 v34, vcc, 0, v18, vcc
	;; [unrolled: 3-line block ×8, first 2 shown]
	s_branch .LBB103_2
.LBB103_1:                              ;   in Loop: Header=BB103_2 Depth=1
	v_lshlrev_b32_e32 v1, 3, v81
	v_lshlrev_b32_e32 v2, 3, v80
	;; [unrolled: 1-line block ×8, first 2 shown]
	; wave barrier
	ds_write_b64 v1, v[67:68]
	ds_write_b64 v2, v[65:66]
	;; [unrolled: 1-line block ×8, first 2 shown]
	s_waitcnt lgkmcnt(0)
	; wave barrier
	ds_read2_b64 v[15:18], v74 offset1:1
	ds_read2_b64 v[11:14], v74 offset0:2 offset1:3
	ds_read2_b64 v[7:10], v74 offset0:4 offset1:5
	;; [unrolled: 1-line block ×3, first 2 shown]
	s_waitcnt lgkmcnt(0)
	; wave barrier
	ds_write_b64 v1, v[55:56]
	ds_write_b64 v2, v[51:52]
	;; [unrolled: 1-line block ×8, first 2 shown]
	s_waitcnt lgkmcnt(0)
	; wave barrier
	ds_read2_b64 v[31:34], v74 offset1:1
	ds_read2_b64 v[27:30], v74 offset0:2 offset1:3
	ds_read2_b64 v[23:26], v74 offset0:4 offset1:5
	;; [unrolled: 1-line block ×3, first 2 shown]
	s_add_i32 s23, s23, 1
	v_xor_b32_e32 v16, 0x80000000, v16
	v_xor_b32_e32 v18, 0x80000000, v18
	;; [unrolled: 1-line block ×7, first 2 shown]
	s_cmp_eq_u32 s23, 10
	v_xor_b32_e32 v6, 0x80000000, v6
	s_cbranch_scc1 .LBB103_24
.LBB103_2:                              ; =>This Loop Header: Depth=1
                                        ;     Child Loop BB103_4 Depth 2
	v_xor_b32_e32 v16, 0x80000000, v16
	v_xor_b32_e32 v18, 0x80000000, v18
	;; [unrolled: 1-line block ×8, first 2 shown]
	ds_write2_b64 v70, v[15:16], v[17:18] offset1:1
	ds_write2_b64 v70, v[11:12], v[13:14] offset0:2 offset1:3
	ds_write2_b64 v70, v[7:8], v[9:10] offset0:4 offset1:5
	ds_write2_b64 v70, v[3:4], v[5:6] offset0:6 offset1:7
	; wave barrier
	ds_read2st64_b64 v[1:4], v71 offset1:1
	ds_read2st64_b64 v[5:8], v71 offset0:2 offset1:3
	ds_read2st64_b64 v[9:12], v71 offset0:4 offset1:5
	;; [unrolled: 1-line block ×3, first 2 shown]
	; wave barrier
	s_waitcnt lgkmcnt(11)
	ds_write2_b64 v70, v[31:32], v[33:34] offset1:1
	s_waitcnt lgkmcnt(11)
	ds_write2_b64 v70, v[27:28], v[29:30] offset0:2 offset1:3
	s_waitcnt lgkmcnt(11)
	ds_write2_b64 v70, v[23:24], v[25:26] offset0:4 offset1:5
	;; [unrolled: 2-line block ×3, first 2 shown]
	; wave barrier
	ds_read2st64_b64 v[17:20], v71 offset1:1
	ds_read2st64_b64 v[21:24], v71 offset0:2 offset1:3
	ds_read2st64_b64 v[25:28], v71 offset0:4 offset1:5
	ds_read2st64_b64 v[29:32], v71 offset0:6 offset1:7
	v_mov_b32_e32 v45, 0
	v_mov_b32_e32 v46, 0
	s_waitcnt lgkmcnt(0)
	; wave barrier
	s_branch .LBB103_4
.LBB103_3:                              ;   in Loop: Header=BB103_4 Depth=2
	s_andn2_b64 vcc, exec, s[14:15]
	s_cbranch_vccz .LBB103_1
.LBB103_4:                              ;   Parent Loop BB103_2 Depth=1
                                        ; =>  This Inner Loop Header: Depth=2
	v_mov_b32_e32 v68, v2
	v_mov_b32_e32 v67, v1
	v_lshrrev_b64 v[1:2], v45, v[67:68]
	v_mov_b32_e32 v64, v6
	v_and_b32_e32 v2, 0xff, v1
	v_mov_b32_e32 v63, v5
	v_mov_b32_e32 v66, v4
	v_lshl_add_u32 v5, v2, 2, v73
	v_and_b32_e32 v2, 1, v1
	v_mov_b32_e32 v65, v3
	v_add_co_u32_e32 v3, vcc, -1, v2
	v_addc_co_u32_e64 v4, s[14:15], 0, -1, vcc
	v_cmp_ne_u32_e32 vcc, 0, v2
	v_lshlrev_b32_e32 v36, 30, v1
	v_xor_b32_e32 v2, vcc_hi, v4
	v_xor_b32_e32 v3, vcc_lo, v3
	v_cmp_gt_i64_e32 vcc, 0, v[35:36]
	v_not_b32_e32 v4, v36
	v_ashrrev_i32_e32 v4, 31, v4
	v_and_b32_e32 v3, exec_lo, v3
	v_xor_b32_e32 v6, vcc_hi, v4
	v_xor_b32_e32 v4, vcc_lo, v4
	v_lshlrev_b32_e32 v36, 29, v1
	v_and_b32_e32 v3, v3, v4
	v_cmp_gt_i64_e32 vcc, 0, v[35:36]
	v_not_b32_e32 v4, v36
	v_and_b32_e32 v2, exec_hi, v2
	v_ashrrev_i32_e32 v4, 31, v4
	v_and_b32_e32 v2, v2, v6
	v_xor_b32_e32 v6, vcc_hi, v4
	v_xor_b32_e32 v4, vcc_lo, v4
	v_lshlrev_b32_e32 v36, 28, v1
	v_and_b32_e32 v3, v3, v4
	v_cmp_gt_i64_e32 vcc, 0, v[35:36]
	v_not_b32_e32 v4, v36
	v_ashrrev_i32_e32 v4, 31, v4
	v_and_b32_e32 v2, v2, v6
	v_xor_b32_e32 v6, vcc_hi, v4
	v_xor_b32_e32 v4, vcc_lo, v4
	v_lshlrev_b32_e32 v36, 27, v1
	v_and_b32_e32 v3, v3, v4
	v_cmp_gt_i64_e32 vcc, 0, v[35:36]
	v_not_b32_e32 v4, v36
	;; [unrolled: 8-line block ×4, first 2 shown]
	v_ashrrev_i32_e32 v4, 31, v4
	v_lshlrev_b32_e32 v36, 24, v1
	v_and_b32_e32 v2, v2, v6
	v_xor_b32_e32 v6, vcc_hi, v4
	v_xor_b32_e32 v4, vcc_lo, v4
	v_cmp_gt_i64_e32 vcc, 0, v[35:36]
	v_not_b32_e32 v1, v36
	v_ashrrev_i32_e32 v1, 31, v1
	v_and_b32_e32 v3, v3, v4
	v_xor_b32_e32 v4, vcc_hi, v1
	v_xor_b32_e32 v1, vcc_lo, v1
	v_and_b32_e32 v2, v2, v6
	v_and_b32_e32 v1, v3, v1
	;; [unrolled: 1-line block ×3, first 2 shown]
	v_mbcnt_lo_u32_b32 v3, v1, 0
	v_mbcnt_hi_u32_b32 v6, v2, v3
	v_cmp_ne_u64_e32 vcc, 0, v[1:2]
	v_mov_b32_e32 v50, v16
	v_mov_b32_e32 v54, v14
	;; [unrolled: 1-line block ×13, first 2 shown]
	v_cmp_eq_u32_e64 s[14:15], 0, v6
	v_mov_b32_e32 v49, v15
	v_mov_b32_e32 v53, v13
	;; [unrolled: 1-line block ×13, first 2 shown]
	s_and_b64 s[24:25], vcc, s[14:15]
	ds_write2_b32 v69, v35, v35 offset0:1 offset1:2
	ds_write2_b32 v69, v35, v35 offset0:3 offset1:4
	s_waitcnt lgkmcnt(0)
	; wave barrier
	; wave barrier
	s_and_saveexec_b64 s[14:15], s[24:25]
; %bb.5:                                ;   in Loop: Header=BB103_4 Depth=2
	v_bcnt_u32_b32 v1, v1, 0
	v_bcnt_u32_b32 v1, v2, v1
	ds_write_b32 v5, v1 offset:4
; %bb.6:                                ;   in Loop: Header=BB103_4 Depth=2
	s_or_b64 exec, exec, s[14:15]
	v_lshrrev_b64 v[1:2], v45, v[65:66]
	v_and_b32_e32 v2, 0xff, v1
	v_lshl_add_u32 v8, v2, 2, v73
	v_and_b32_e32 v2, 1, v1
	v_add_co_u32_e32 v3, vcc, -1, v2
	v_addc_co_u32_e64 v4, s[14:15], 0, -1, vcc
	v_cmp_ne_u32_e32 vcc, 0, v2
	v_lshlrev_b32_e32 v36, 30, v1
	v_xor_b32_e32 v2, vcc_hi, v4
	v_xor_b32_e32 v3, vcc_lo, v3
	v_cmp_gt_i64_e32 vcc, 0, v[35:36]
	v_not_b32_e32 v4, v36
	v_ashrrev_i32_e32 v4, 31, v4
	v_and_b32_e32 v3, exec_lo, v3
	v_xor_b32_e32 v9, vcc_hi, v4
	v_xor_b32_e32 v4, vcc_lo, v4
	v_lshlrev_b32_e32 v36, 29, v1
	v_and_b32_e32 v3, v3, v4
	v_cmp_gt_i64_e32 vcc, 0, v[35:36]
	v_not_b32_e32 v4, v36
	v_and_b32_e32 v2, exec_hi, v2
	v_ashrrev_i32_e32 v4, 31, v4
	v_and_b32_e32 v2, v2, v9
	v_xor_b32_e32 v9, vcc_hi, v4
	v_xor_b32_e32 v4, vcc_lo, v4
	v_lshlrev_b32_e32 v36, 28, v1
	v_and_b32_e32 v3, v3, v4
	v_cmp_gt_i64_e32 vcc, 0, v[35:36]
	v_not_b32_e32 v4, v36
	v_ashrrev_i32_e32 v4, 31, v4
	v_and_b32_e32 v2, v2, v9
	v_xor_b32_e32 v9, vcc_hi, v4
	v_xor_b32_e32 v4, vcc_lo, v4
	v_lshlrev_b32_e32 v36, 27, v1
	v_and_b32_e32 v3, v3, v4
	v_cmp_gt_i64_e32 vcc, 0, v[35:36]
	v_not_b32_e32 v4, v36
	;; [unrolled: 8-line block ×4, first 2 shown]
	v_ashrrev_i32_e32 v4, 31, v4
	v_lshlrev_b32_e32 v36, 24, v1
	v_and_b32_e32 v2, v2, v9
	v_xor_b32_e32 v9, vcc_hi, v4
	v_xor_b32_e32 v4, vcc_lo, v4
	v_cmp_gt_i64_e32 vcc, 0, v[35:36]
	v_not_b32_e32 v1, v36
	v_ashrrev_i32_e32 v1, 31, v1
	v_and_b32_e32 v3, v3, v4
	v_xor_b32_e32 v4, vcc_hi, v1
	v_xor_b32_e32 v1, vcc_lo, v1
	; wave barrier
	ds_read_b32 v7, v8 offset:4
	v_and_b32_e32 v2, v2, v9
	v_and_b32_e32 v1, v3, v1
	;; [unrolled: 1-line block ×3, first 2 shown]
	v_mbcnt_lo_u32_b32 v3, v1, 0
	v_mbcnt_hi_u32_b32 v9, v2, v3
	v_cmp_ne_u64_e32 vcc, 0, v[1:2]
	v_cmp_eq_u32_e64 s[14:15], 0, v9
	s_and_b64 s[24:25], vcc, s[14:15]
	; wave barrier
	s_and_saveexec_b64 s[14:15], s[24:25]
	s_cbranch_execz .LBB103_8
; %bb.7:                                ;   in Loop: Header=BB103_4 Depth=2
	v_bcnt_u32_b32 v1, v1, 0
	v_bcnt_u32_b32 v1, v2, v1
	s_waitcnt lgkmcnt(0)
	v_add_u32_e32 v1, v7, v1
	ds_write_b32 v8, v1 offset:4
.LBB103_8:                              ;   in Loop: Header=BB103_4 Depth=2
	s_or_b64 exec, exec, s[14:15]
	v_lshrrev_b64 v[1:2], v45, v[63:64]
	v_and_b32_e32 v2, 0xff, v1
	v_lshl_add_u32 v11, v2, 2, v73
	v_and_b32_e32 v2, 1, v1
	v_add_co_u32_e32 v3, vcc, -1, v2
	v_addc_co_u32_e64 v4, s[14:15], 0, -1, vcc
	v_cmp_ne_u32_e32 vcc, 0, v2
	v_lshlrev_b32_e32 v36, 30, v1
	v_xor_b32_e32 v2, vcc_hi, v4
	v_xor_b32_e32 v3, vcc_lo, v3
	v_cmp_gt_i64_e32 vcc, 0, v[35:36]
	v_not_b32_e32 v4, v36
	v_ashrrev_i32_e32 v4, 31, v4
	v_and_b32_e32 v3, exec_lo, v3
	v_xor_b32_e32 v12, vcc_hi, v4
	v_xor_b32_e32 v4, vcc_lo, v4
	v_lshlrev_b32_e32 v36, 29, v1
	v_and_b32_e32 v3, v3, v4
	v_cmp_gt_i64_e32 vcc, 0, v[35:36]
	v_not_b32_e32 v4, v36
	v_and_b32_e32 v2, exec_hi, v2
	v_ashrrev_i32_e32 v4, 31, v4
	v_and_b32_e32 v2, v2, v12
	v_xor_b32_e32 v12, vcc_hi, v4
	v_xor_b32_e32 v4, vcc_lo, v4
	v_lshlrev_b32_e32 v36, 28, v1
	v_and_b32_e32 v3, v3, v4
	v_cmp_gt_i64_e32 vcc, 0, v[35:36]
	v_not_b32_e32 v4, v36
	v_ashrrev_i32_e32 v4, 31, v4
	v_and_b32_e32 v2, v2, v12
	v_xor_b32_e32 v12, vcc_hi, v4
	v_xor_b32_e32 v4, vcc_lo, v4
	v_lshlrev_b32_e32 v36, 27, v1
	v_and_b32_e32 v3, v3, v4
	v_cmp_gt_i64_e32 vcc, 0, v[35:36]
	v_not_b32_e32 v4, v36
	;; [unrolled: 8-line block ×4, first 2 shown]
	v_ashrrev_i32_e32 v4, 31, v4
	v_lshlrev_b32_e32 v36, 24, v1
	v_and_b32_e32 v2, v2, v12
	v_xor_b32_e32 v12, vcc_hi, v4
	v_xor_b32_e32 v4, vcc_lo, v4
	v_cmp_gt_i64_e32 vcc, 0, v[35:36]
	v_not_b32_e32 v1, v36
	v_ashrrev_i32_e32 v1, 31, v1
	v_and_b32_e32 v3, v3, v4
	v_xor_b32_e32 v4, vcc_hi, v1
	v_xor_b32_e32 v1, vcc_lo, v1
	; wave barrier
	ds_read_b32 v10, v11 offset:4
	v_and_b32_e32 v2, v2, v12
	v_and_b32_e32 v1, v3, v1
	;; [unrolled: 1-line block ×3, first 2 shown]
	v_mbcnt_lo_u32_b32 v3, v1, 0
	v_mbcnt_hi_u32_b32 v12, v2, v3
	v_cmp_ne_u64_e32 vcc, 0, v[1:2]
	v_cmp_eq_u32_e64 s[14:15], 0, v12
	s_and_b64 s[24:25], vcc, s[14:15]
	; wave barrier
	s_and_saveexec_b64 s[14:15], s[24:25]
	s_cbranch_execz .LBB103_10
; %bb.9:                                ;   in Loop: Header=BB103_4 Depth=2
	v_bcnt_u32_b32 v1, v1, 0
	v_bcnt_u32_b32 v1, v2, v1
	s_waitcnt lgkmcnt(0)
	v_add_u32_e32 v1, v10, v1
	ds_write_b32 v11, v1 offset:4
.LBB103_10:                             ;   in Loop: Header=BB103_4 Depth=2
	s_or_b64 exec, exec, s[14:15]
	v_lshrrev_b64 v[1:2], v45, v[61:62]
	v_and_b32_e32 v2, 0xff, v1
	v_lshl_add_u32 v14, v2, 2, v73
	v_and_b32_e32 v2, 1, v1
	v_add_co_u32_e32 v3, vcc, -1, v2
	v_addc_co_u32_e64 v4, s[14:15], 0, -1, vcc
	v_cmp_ne_u32_e32 vcc, 0, v2
	v_lshlrev_b32_e32 v36, 30, v1
	v_xor_b32_e32 v2, vcc_hi, v4
	v_xor_b32_e32 v3, vcc_lo, v3
	v_cmp_gt_i64_e32 vcc, 0, v[35:36]
	v_not_b32_e32 v4, v36
	v_ashrrev_i32_e32 v4, 31, v4
	v_and_b32_e32 v3, exec_lo, v3
	v_xor_b32_e32 v15, vcc_hi, v4
	v_xor_b32_e32 v4, vcc_lo, v4
	v_lshlrev_b32_e32 v36, 29, v1
	v_and_b32_e32 v3, v3, v4
	v_cmp_gt_i64_e32 vcc, 0, v[35:36]
	v_not_b32_e32 v4, v36
	v_and_b32_e32 v2, exec_hi, v2
	v_ashrrev_i32_e32 v4, 31, v4
	v_and_b32_e32 v2, v2, v15
	v_xor_b32_e32 v15, vcc_hi, v4
	v_xor_b32_e32 v4, vcc_lo, v4
	v_lshlrev_b32_e32 v36, 28, v1
	v_and_b32_e32 v3, v3, v4
	v_cmp_gt_i64_e32 vcc, 0, v[35:36]
	v_not_b32_e32 v4, v36
	v_ashrrev_i32_e32 v4, 31, v4
	v_and_b32_e32 v2, v2, v15
	v_xor_b32_e32 v15, vcc_hi, v4
	v_xor_b32_e32 v4, vcc_lo, v4
	v_lshlrev_b32_e32 v36, 27, v1
	v_and_b32_e32 v3, v3, v4
	v_cmp_gt_i64_e32 vcc, 0, v[35:36]
	v_not_b32_e32 v4, v36
	;; [unrolled: 8-line block ×4, first 2 shown]
	v_ashrrev_i32_e32 v4, 31, v4
	v_lshlrev_b32_e32 v36, 24, v1
	v_and_b32_e32 v2, v2, v15
	v_xor_b32_e32 v15, vcc_hi, v4
	v_xor_b32_e32 v4, vcc_lo, v4
	v_cmp_gt_i64_e32 vcc, 0, v[35:36]
	v_not_b32_e32 v1, v36
	v_ashrrev_i32_e32 v1, 31, v1
	v_and_b32_e32 v3, v3, v4
	v_xor_b32_e32 v4, vcc_hi, v1
	v_xor_b32_e32 v1, vcc_lo, v1
	; wave barrier
	ds_read_b32 v13, v14 offset:4
	v_and_b32_e32 v2, v2, v15
	v_and_b32_e32 v1, v3, v1
	;; [unrolled: 1-line block ×3, first 2 shown]
	v_mbcnt_lo_u32_b32 v3, v1, 0
	v_mbcnt_hi_u32_b32 v15, v2, v3
	v_cmp_ne_u64_e32 vcc, 0, v[1:2]
	v_cmp_eq_u32_e64 s[14:15], 0, v15
	s_and_b64 s[24:25], vcc, s[14:15]
	; wave barrier
	s_and_saveexec_b64 s[14:15], s[24:25]
	s_cbranch_execz .LBB103_12
; %bb.11:                               ;   in Loop: Header=BB103_4 Depth=2
	v_bcnt_u32_b32 v1, v1, 0
	v_bcnt_u32_b32 v1, v2, v1
	s_waitcnt lgkmcnt(0)
	v_add_u32_e32 v1, v13, v1
	ds_write_b32 v14, v1 offset:4
.LBB103_12:                             ;   in Loop: Header=BB103_4 Depth=2
	s_or_b64 exec, exec, s[14:15]
	v_lshrrev_b64 v[1:2], v45, v[59:60]
	v_and_b32_e32 v2, 0xff, v1
	v_lshl_add_u32 v17, v2, 2, v73
	v_and_b32_e32 v2, 1, v1
	v_add_co_u32_e32 v3, vcc, -1, v2
	v_addc_co_u32_e64 v4, s[14:15], 0, -1, vcc
	v_cmp_ne_u32_e32 vcc, 0, v2
	v_lshlrev_b32_e32 v36, 30, v1
	v_xor_b32_e32 v2, vcc_hi, v4
	v_xor_b32_e32 v3, vcc_lo, v3
	v_cmp_gt_i64_e32 vcc, 0, v[35:36]
	v_not_b32_e32 v4, v36
	v_ashrrev_i32_e32 v4, 31, v4
	v_and_b32_e32 v3, exec_lo, v3
	v_xor_b32_e32 v18, vcc_hi, v4
	v_xor_b32_e32 v4, vcc_lo, v4
	v_lshlrev_b32_e32 v36, 29, v1
	v_and_b32_e32 v3, v3, v4
	v_cmp_gt_i64_e32 vcc, 0, v[35:36]
	v_not_b32_e32 v4, v36
	v_and_b32_e32 v2, exec_hi, v2
	v_ashrrev_i32_e32 v4, 31, v4
	v_and_b32_e32 v2, v2, v18
	v_xor_b32_e32 v18, vcc_hi, v4
	v_xor_b32_e32 v4, vcc_lo, v4
	v_lshlrev_b32_e32 v36, 28, v1
	v_and_b32_e32 v3, v3, v4
	v_cmp_gt_i64_e32 vcc, 0, v[35:36]
	v_not_b32_e32 v4, v36
	v_ashrrev_i32_e32 v4, 31, v4
	v_and_b32_e32 v2, v2, v18
	v_xor_b32_e32 v18, vcc_hi, v4
	v_xor_b32_e32 v4, vcc_lo, v4
	v_lshlrev_b32_e32 v36, 27, v1
	v_and_b32_e32 v3, v3, v4
	v_cmp_gt_i64_e32 vcc, 0, v[35:36]
	v_not_b32_e32 v4, v36
	;; [unrolled: 8-line block ×4, first 2 shown]
	v_ashrrev_i32_e32 v4, 31, v4
	v_lshlrev_b32_e32 v36, 24, v1
	v_and_b32_e32 v2, v2, v18
	v_xor_b32_e32 v18, vcc_hi, v4
	v_xor_b32_e32 v4, vcc_lo, v4
	v_cmp_gt_i64_e32 vcc, 0, v[35:36]
	v_not_b32_e32 v1, v36
	v_ashrrev_i32_e32 v1, 31, v1
	v_and_b32_e32 v3, v3, v4
	v_xor_b32_e32 v4, vcc_hi, v1
	v_xor_b32_e32 v1, vcc_lo, v1
	; wave barrier
	ds_read_b32 v16, v17 offset:4
	v_and_b32_e32 v2, v2, v18
	v_and_b32_e32 v1, v3, v1
	;; [unrolled: 1-line block ×3, first 2 shown]
	v_mbcnt_lo_u32_b32 v3, v1, 0
	v_mbcnt_hi_u32_b32 v18, v2, v3
	v_cmp_ne_u64_e32 vcc, 0, v[1:2]
	v_cmp_eq_u32_e64 s[14:15], 0, v18
	s_and_b64 s[24:25], vcc, s[14:15]
	; wave barrier
	s_and_saveexec_b64 s[14:15], s[24:25]
	s_cbranch_execz .LBB103_14
; %bb.13:                               ;   in Loop: Header=BB103_4 Depth=2
	v_bcnt_u32_b32 v1, v1, 0
	v_bcnt_u32_b32 v1, v2, v1
	s_waitcnt lgkmcnt(0)
	v_add_u32_e32 v1, v16, v1
	ds_write_b32 v17, v1 offset:4
.LBB103_14:                             ;   in Loop: Header=BB103_4 Depth=2
	s_or_b64 exec, exec, s[14:15]
	v_lshrrev_b64 v[1:2], v45, v[57:58]
	v_and_b32_e32 v2, 0xff, v1
	v_lshl_add_u32 v20, v2, 2, v73
	v_and_b32_e32 v2, 1, v1
	v_add_co_u32_e32 v3, vcc, -1, v2
	v_addc_co_u32_e64 v4, s[14:15], 0, -1, vcc
	v_cmp_ne_u32_e32 vcc, 0, v2
	v_lshlrev_b32_e32 v36, 30, v1
	v_xor_b32_e32 v2, vcc_hi, v4
	v_xor_b32_e32 v3, vcc_lo, v3
	v_cmp_gt_i64_e32 vcc, 0, v[35:36]
	v_not_b32_e32 v4, v36
	v_ashrrev_i32_e32 v4, 31, v4
	v_and_b32_e32 v3, exec_lo, v3
	v_xor_b32_e32 v21, vcc_hi, v4
	v_xor_b32_e32 v4, vcc_lo, v4
	v_lshlrev_b32_e32 v36, 29, v1
	v_and_b32_e32 v3, v3, v4
	v_cmp_gt_i64_e32 vcc, 0, v[35:36]
	v_not_b32_e32 v4, v36
	v_and_b32_e32 v2, exec_hi, v2
	v_ashrrev_i32_e32 v4, 31, v4
	v_and_b32_e32 v2, v2, v21
	v_xor_b32_e32 v21, vcc_hi, v4
	v_xor_b32_e32 v4, vcc_lo, v4
	v_lshlrev_b32_e32 v36, 28, v1
	v_and_b32_e32 v3, v3, v4
	v_cmp_gt_i64_e32 vcc, 0, v[35:36]
	v_not_b32_e32 v4, v36
	v_ashrrev_i32_e32 v4, 31, v4
	v_and_b32_e32 v2, v2, v21
	v_xor_b32_e32 v21, vcc_hi, v4
	v_xor_b32_e32 v4, vcc_lo, v4
	v_lshlrev_b32_e32 v36, 27, v1
	v_and_b32_e32 v3, v3, v4
	v_cmp_gt_i64_e32 vcc, 0, v[35:36]
	v_not_b32_e32 v4, v36
	;; [unrolled: 8-line block ×4, first 2 shown]
	v_ashrrev_i32_e32 v4, 31, v4
	v_lshlrev_b32_e32 v36, 24, v1
	v_and_b32_e32 v2, v2, v21
	v_xor_b32_e32 v21, vcc_hi, v4
	v_xor_b32_e32 v4, vcc_lo, v4
	v_cmp_gt_i64_e32 vcc, 0, v[35:36]
	v_not_b32_e32 v1, v36
	v_ashrrev_i32_e32 v1, 31, v1
	v_and_b32_e32 v3, v3, v4
	v_xor_b32_e32 v4, vcc_hi, v1
	v_xor_b32_e32 v1, vcc_lo, v1
	; wave barrier
	ds_read_b32 v19, v20 offset:4
	v_and_b32_e32 v2, v2, v21
	v_and_b32_e32 v1, v3, v1
	;; [unrolled: 1-line block ×3, first 2 shown]
	v_mbcnt_lo_u32_b32 v3, v1, 0
	v_mbcnt_hi_u32_b32 v21, v2, v3
	v_cmp_ne_u64_e32 vcc, 0, v[1:2]
	v_cmp_eq_u32_e64 s[14:15], 0, v21
	s_and_b64 s[24:25], vcc, s[14:15]
	; wave barrier
	s_and_saveexec_b64 s[14:15], s[24:25]
	s_cbranch_execz .LBB103_16
; %bb.15:                               ;   in Loop: Header=BB103_4 Depth=2
	v_bcnt_u32_b32 v1, v1, 0
	v_bcnt_u32_b32 v1, v2, v1
	s_waitcnt lgkmcnt(0)
	v_add_u32_e32 v1, v19, v1
	ds_write_b32 v20, v1 offset:4
.LBB103_16:                             ;   in Loop: Header=BB103_4 Depth=2
	s_or_b64 exec, exec, s[14:15]
	v_lshrrev_b64 v[1:2], v45, v[53:54]
	v_and_b32_e32 v2, 0xff, v1
	v_lshl_add_u32 v23, v2, 2, v73
	v_and_b32_e32 v2, 1, v1
	v_add_co_u32_e32 v3, vcc, -1, v2
	v_addc_co_u32_e64 v4, s[14:15], 0, -1, vcc
	v_cmp_ne_u32_e32 vcc, 0, v2
	v_lshlrev_b32_e32 v36, 30, v1
	v_xor_b32_e32 v2, vcc_hi, v4
	v_xor_b32_e32 v3, vcc_lo, v3
	v_cmp_gt_i64_e32 vcc, 0, v[35:36]
	v_not_b32_e32 v4, v36
	v_ashrrev_i32_e32 v4, 31, v4
	v_and_b32_e32 v3, exec_lo, v3
	v_xor_b32_e32 v24, vcc_hi, v4
	v_xor_b32_e32 v4, vcc_lo, v4
	v_lshlrev_b32_e32 v36, 29, v1
	v_and_b32_e32 v3, v3, v4
	v_cmp_gt_i64_e32 vcc, 0, v[35:36]
	v_not_b32_e32 v4, v36
	v_and_b32_e32 v2, exec_hi, v2
	v_ashrrev_i32_e32 v4, 31, v4
	v_and_b32_e32 v2, v2, v24
	v_xor_b32_e32 v24, vcc_hi, v4
	v_xor_b32_e32 v4, vcc_lo, v4
	v_lshlrev_b32_e32 v36, 28, v1
	v_and_b32_e32 v3, v3, v4
	v_cmp_gt_i64_e32 vcc, 0, v[35:36]
	v_not_b32_e32 v4, v36
	v_ashrrev_i32_e32 v4, 31, v4
	v_and_b32_e32 v2, v2, v24
	v_xor_b32_e32 v24, vcc_hi, v4
	v_xor_b32_e32 v4, vcc_lo, v4
	v_lshlrev_b32_e32 v36, 27, v1
	v_and_b32_e32 v3, v3, v4
	v_cmp_gt_i64_e32 vcc, 0, v[35:36]
	v_not_b32_e32 v4, v36
	;; [unrolled: 8-line block ×4, first 2 shown]
	v_ashrrev_i32_e32 v4, 31, v4
	v_lshlrev_b32_e32 v36, 24, v1
	v_and_b32_e32 v2, v2, v24
	v_xor_b32_e32 v24, vcc_hi, v4
	v_xor_b32_e32 v4, vcc_lo, v4
	v_cmp_gt_i64_e32 vcc, 0, v[35:36]
	v_not_b32_e32 v1, v36
	v_ashrrev_i32_e32 v1, 31, v1
	v_and_b32_e32 v3, v3, v4
	v_xor_b32_e32 v4, vcc_hi, v1
	v_xor_b32_e32 v1, vcc_lo, v1
	; wave barrier
	ds_read_b32 v22, v23 offset:4
	v_and_b32_e32 v2, v2, v24
	v_and_b32_e32 v1, v3, v1
	;; [unrolled: 1-line block ×3, first 2 shown]
	v_mbcnt_lo_u32_b32 v3, v1, 0
	v_mbcnt_hi_u32_b32 v24, v2, v3
	v_cmp_ne_u64_e32 vcc, 0, v[1:2]
	v_cmp_eq_u32_e64 s[14:15], 0, v24
	s_and_b64 s[24:25], vcc, s[14:15]
	; wave barrier
	s_and_saveexec_b64 s[14:15], s[24:25]
	s_cbranch_execz .LBB103_18
; %bb.17:                               ;   in Loop: Header=BB103_4 Depth=2
	v_bcnt_u32_b32 v1, v1, 0
	v_bcnt_u32_b32 v1, v2, v1
	s_waitcnt lgkmcnt(0)
	v_add_u32_e32 v1, v22, v1
	ds_write_b32 v23, v1 offset:4
.LBB103_18:                             ;   in Loop: Header=BB103_4 Depth=2
	s_or_b64 exec, exec, s[14:15]
	v_lshrrev_b64 v[1:2], v45, v[49:50]
	v_and_b32_e32 v2, 0xff, v1
	v_lshl_add_u32 v26, v2, 2, v73
	v_and_b32_e32 v2, 1, v1
	v_add_co_u32_e32 v3, vcc, -1, v2
	v_addc_co_u32_e64 v4, s[14:15], 0, -1, vcc
	v_cmp_ne_u32_e32 vcc, 0, v2
	v_lshlrev_b32_e32 v36, 30, v1
	v_xor_b32_e32 v2, vcc_hi, v4
	v_xor_b32_e32 v3, vcc_lo, v3
	v_cmp_gt_i64_e32 vcc, 0, v[35:36]
	v_not_b32_e32 v4, v36
	v_ashrrev_i32_e32 v4, 31, v4
	v_and_b32_e32 v3, exec_lo, v3
	v_xor_b32_e32 v27, vcc_hi, v4
	v_xor_b32_e32 v4, vcc_lo, v4
	v_lshlrev_b32_e32 v36, 29, v1
	v_and_b32_e32 v3, v3, v4
	v_cmp_gt_i64_e32 vcc, 0, v[35:36]
	v_not_b32_e32 v4, v36
	v_and_b32_e32 v2, exec_hi, v2
	v_ashrrev_i32_e32 v4, 31, v4
	v_and_b32_e32 v2, v2, v27
	v_xor_b32_e32 v27, vcc_hi, v4
	v_xor_b32_e32 v4, vcc_lo, v4
	v_lshlrev_b32_e32 v36, 28, v1
	v_and_b32_e32 v3, v3, v4
	v_cmp_gt_i64_e32 vcc, 0, v[35:36]
	v_not_b32_e32 v4, v36
	v_ashrrev_i32_e32 v4, 31, v4
	v_and_b32_e32 v2, v2, v27
	v_xor_b32_e32 v27, vcc_hi, v4
	v_xor_b32_e32 v4, vcc_lo, v4
	v_lshlrev_b32_e32 v36, 27, v1
	v_and_b32_e32 v3, v3, v4
	v_cmp_gt_i64_e32 vcc, 0, v[35:36]
	v_not_b32_e32 v4, v36
	v_ashrrev_i32_e32 v4, 31, v4
	v_and_b32_e32 v2, v2, v27
	v_xor_b32_e32 v27, vcc_hi, v4
	v_xor_b32_e32 v4, vcc_lo, v4
	v_lshlrev_b32_e32 v36, 26, v1
	v_and_b32_e32 v3, v3, v4
	v_cmp_gt_i64_e32 vcc, 0, v[35:36]
	v_not_b32_e32 v4, v36
	v_ashrrev_i32_e32 v4, 31, v4
	v_and_b32_e32 v2, v2, v27
	v_xor_b32_e32 v27, vcc_hi, v4
	v_xor_b32_e32 v4, vcc_lo, v4
	v_lshlrev_b32_e32 v36, 25, v1
	v_and_b32_e32 v3, v3, v4
	v_cmp_gt_i64_e32 vcc, 0, v[35:36]
	v_not_b32_e32 v4, v36
	v_ashrrev_i32_e32 v4, 31, v4
	v_lshlrev_b32_e32 v36, 24, v1
	v_and_b32_e32 v2, v2, v27
	v_xor_b32_e32 v27, vcc_hi, v4
	v_xor_b32_e32 v4, vcc_lo, v4
	v_cmp_gt_i64_e32 vcc, 0, v[35:36]
	v_not_b32_e32 v1, v36
	v_ashrrev_i32_e32 v1, 31, v1
	v_and_b32_e32 v3, v3, v4
	v_xor_b32_e32 v4, vcc_hi, v1
	v_xor_b32_e32 v1, vcc_lo, v1
	; wave barrier
	ds_read_b32 v25, v26 offset:4
	v_and_b32_e32 v2, v2, v27
	v_and_b32_e32 v1, v3, v1
	;; [unrolled: 1-line block ×3, first 2 shown]
	v_mbcnt_lo_u32_b32 v3, v1, 0
	v_mbcnt_hi_u32_b32 v27, v2, v3
	v_cmp_ne_u64_e32 vcc, 0, v[1:2]
	v_cmp_eq_u32_e64 s[14:15], 0, v27
	s_and_b64 s[24:25], vcc, s[14:15]
	; wave barrier
	s_and_saveexec_b64 s[14:15], s[24:25]
	s_cbranch_execz .LBB103_20
; %bb.19:                               ;   in Loop: Header=BB103_4 Depth=2
	v_bcnt_u32_b32 v1, v1, 0
	v_bcnt_u32_b32 v1, v2, v1
	s_waitcnt lgkmcnt(0)
	v_add_u32_e32 v1, v25, v1
	ds_write_b32 v26, v1 offset:4
.LBB103_20:                             ;   in Loop: Header=BB103_4 Depth=2
	s_or_b64 exec, exec, s[14:15]
	; wave barrier
	s_waitcnt lgkmcnt(0)
	; wave barrier
	ds_read2_b32 v[3:4], v69 offset0:1 offset1:2
	ds_read2_b32 v[1:2], v69 offset0:3 offset1:4
	s_waitcnt lgkmcnt(1)
	v_add_u32_e32 v28, v4, v3
	s_waitcnt lgkmcnt(0)
	v_add3_u32 v2, v28, v1, v2
	s_nop 1
	v_mov_b32_dpp v28, v2 row_shr:1 row_mask:0xf bank_mask:0xf
	v_cndmask_b32_e64 v28, v28, 0, s[4:5]
	v_add_u32_e32 v2, v28, v2
	s_nop 1
	v_mov_b32_dpp v28, v2 row_shr:2 row_mask:0xf bank_mask:0xf
	v_cndmask_b32_e64 v28, 0, v28, s[6:7]
	v_add_u32_e32 v2, v2, v28
	;; [unrolled: 4-line block ×4, first 2 shown]
	s_nop 1
	v_mov_b32_dpp v28, v2 row_bcast:15 row_mask:0xf bank_mask:0xf
	v_cndmask_b32_e64 v28, v28, 0, s[12:13]
	v_add_u32_e32 v2, v2, v28
	s_nop 1
	v_mov_b32_dpp v28, v2 row_bcast:31 row_mask:0xf bank_mask:0xf
	v_cndmask_b32_e64 v28, 0, v28, s[2:3]
	v_add_u32_e32 v2, v2, v28
	s_and_saveexec_b64 s[14:15], s[0:1]
; %bb.21:                               ;   in Loop: Header=BB103_4 Depth=2
	ds_write_b32 v35, v2
; %bb.22:                               ;   in Loop: Header=BB103_4 Depth=2
	s_or_b64 exec, exec, s[14:15]
	ds_bpermute_b32 v2, v72, v2
	s_waitcnt lgkmcnt(0)
	; wave barrier
	v_cmp_lt_u32_e32 vcc, 55, v45
	s_and_b64 vcc, exec, vcc
	v_cndmask_b32_e64 v2, v2, 0, s[16:17]
	v_add_u32_e32 v3, v2, v3
	v_add_u32_e32 v4, v3, v4
	;; [unrolled: 1-line block ×3, first 2 shown]
	ds_write2_b32 v69, v2, v3 offset0:1 offset1:2
	ds_write2_b32 v69, v4, v1 offset0:3 offset1:4
	s_waitcnt lgkmcnt(0)
	; wave barrier
	ds_read_b32 v1, v5 offset:4
	ds_read_b32 v2, v8 offset:4
	;; [unrolled: 1-line block ×8, first 2 shown]
	s_waitcnt lgkmcnt(7)
	v_add_u32_e32 v81, v1, v6
	s_waitcnt lgkmcnt(6)
	v_add3_u32 v80, v9, v7, v2
	s_waitcnt lgkmcnt(5)
	v_add3_u32 v79, v12, v10, v3
	;; [unrolled: 2-line block ×7, first 2 shown]
	s_mov_b64 s[14:15], -1
                                        ; implicit-def: $vgpr15_vgpr16
                                        ; implicit-def: $vgpr11_vgpr12
                                        ; implicit-def: $vgpr7_vgpr8
                                        ; implicit-def: $vgpr3_vgpr4
                                        ; implicit-def: $vgpr31_vgpr32
                                        ; implicit-def: $vgpr27_vgpr28
                                        ; implicit-def: $vgpr23_vgpr24
                                        ; implicit-def: $vgpr19_vgpr20
	s_cbranch_vccnz .LBB103_3
; %bb.23:                               ;   in Loop: Header=BB103_4 Depth=2
	v_lshlrev_b32_e32 v17, 3, v81
	v_lshlrev_b32_e32 v18, 3, v80
	;; [unrolled: 1-line block ×8, first 2 shown]
	; wave barrier
	ds_write_b64 v17, v[67:68]
	ds_write_b64 v18, v[65:66]
	;; [unrolled: 1-line block ×8, first 2 shown]
	s_waitcnt lgkmcnt(0)
	; wave barrier
	ds_read2st64_b64 v[1:4], v71 offset1:1
	ds_read2st64_b64 v[5:8], v71 offset0:2 offset1:3
	ds_read2st64_b64 v[9:12], v71 offset0:4 offset1:5
	;; [unrolled: 1-line block ×3, first 2 shown]
	s_waitcnt lgkmcnt(0)
	; wave barrier
	ds_write_b64 v17, v[55:56]
	ds_write_b64 v18, v[51:52]
	;; [unrolled: 1-line block ×8, first 2 shown]
	s_waitcnt lgkmcnt(0)
	; wave barrier
	ds_read2st64_b64 v[17:20], v71 offset1:1
	ds_read2st64_b64 v[21:24], v71 offset0:2 offset1:3
	ds_read2st64_b64 v[25:28], v71 offset0:4 offset1:5
	;; [unrolled: 1-line block ×3, first 2 shown]
	v_add_co_u32_e32 v45, vcc, 8, v45
	v_addc_co_u32_e32 v46, vcc, 0, v46, vcc
	s_mov_b64 s[14:15], 0
	s_waitcnt lgkmcnt(0)
	; wave barrier
	s_branch .LBB103_3
.LBB103_24:
	s_waitcnt lgkmcnt(3)
	v_add_co_u32_e32 v1, vcc, v15, v31
	v_addc_co_u32_e32 v2, vcc, v16, v32, vcc
	v_add_co_u32_e32 v15, vcc, v17, v33
	v_addc_co_u32_e32 v16, vcc, v18, v34, vcc
	s_waitcnt lgkmcnt(2)
	v_add_co_u32_e32 v11, vcc, v11, v27
	v_addc_co_u32_e32 v12, vcc, v12, v28, vcc
	v_add_co_u32_e32 v13, vcc, v13, v29
	v_addc_co_u32_e32 v14, vcc, v14, v30, vcc
	;; [unrolled: 5-line block ×3, first 2 shown]
	s_waitcnt lgkmcnt(0)
	v_add_co_u32_e32 v3, vcc, v3, v19
	v_addc_co_u32_e32 v4, vcc, v4, v20, vcc
	s_add_u32 s0, s18, s20
	v_add_co_u32_e32 v5, vcc, v5, v21
	s_addc_u32 s1, s19, s21
	v_lshlrev_b32_e32 v0, 3, v0
	v_addc_co_u32_e32 v6, vcc, v6, v22, vcc
	global_store_dwordx2 v0, v[1:2], s[0:1]
	global_store_dwordx2 v0, v[15:16], s[0:1] offset:512
	global_store_dwordx2 v0, v[11:12], s[0:1] offset:1024
	;; [unrolled: 1-line block ×7, first 2 shown]
	s_endpgm
	.section	.rodata,"a",@progbits
	.p2align	6, 0x0
	.amdhsa_kernel _Z17sort_pairs_kernelI22helper_blocked_blockedxLj64ELj8ELj10EEvPKT0_PS1_
		.amdhsa_group_segment_fixed_size 4096
		.amdhsa_private_segment_fixed_size 0
		.amdhsa_kernarg_size 272
		.amdhsa_user_sgpr_count 6
		.amdhsa_user_sgpr_private_segment_buffer 1
		.amdhsa_user_sgpr_dispatch_ptr 0
		.amdhsa_user_sgpr_queue_ptr 0
		.amdhsa_user_sgpr_kernarg_segment_ptr 1
		.amdhsa_user_sgpr_dispatch_id 0
		.amdhsa_user_sgpr_flat_scratch_init 0
		.amdhsa_user_sgpr_private_segment_size 0
		.amdhsa_uses_dynamic_stack 0
		.amdhsa_system_sgpr_private_segment_wavefront_offset 0
		.amdhsa_system_sgpr_workgroup_id_x 1
		.amdhsa_system_sgpr_workgroup_id_y 0
		.amdhsa_system_sgpr_workgroup_id_z 0
		.amdhsa_system_sgpr_workgroup_info 0
		.amdhsa_system_vgpr_workitem_id 2
		.amdhsa_next_free_vgpr 82
		.amdhsa_next_free_sgpr 98
		.amdhsa_reserve_vcc 1
		.amdhsa_reserve_flat_scratch 0
		.amdhsa_float_round_mode_32 0
		.amdhsa_float_round_mode_16_64 0
		.amdhsa_float_denorm_mode_32 3
		.amdhsa_float_denorm_mode_16_64 3
		.amdhsa_dx10_clamp 1
		.amdhsa_ieee_mode 1
		.amdhsa_fp16_overflow 0
		.amdhsa_exception_fp_ieee_invalid_op 0
		.amdhsa_exception_fp_denorm_src 0
		.amdhsa_exception_fp_ieee_div_zero 0
		.amdhsa_exception_fp_ieee_overflow 0
		.amdhsa_exception_fp_ieee_underflow 0
		.amdhsa_exception_fp_ieee_inexact 0
		.amdhsa_exception_int_div_zero 0
	.end_amdhsa_kernel
	.section	.text._Z17sort_pairs_kernelI22helper_blocked_blockedxLj64ELj8ELj10EEvPKT0_PS1_,"axG",@progbits,_Z17sort_pairs_kernelI22helper_blocked_blockedxLj64ELj8ELj10EEvPKT0_PS1_,comdat
.Lfunc_end103:
	.size	_Z17sort_pairs_kernelI22helper_blocked_blockedxLj64ELj8ELj10EEvPKT0_PS1_, .Lfunc_end103-_Z17sort_pairs_kernelI22helper_blocked_blockedxLj64ELj8ELj10EEvPKT0_PS1_
                                        ; -- End function
	.set _Z17sort_pairs_kernelI22helper_blocked_blockedxLj64ELj8ELj10EEvPKT0_PS1_.num_vgpr, 82
	.set _Z17sort_pairs_kernelI22helper_blocked_blockedxLj64ELj8ELj10EEvPKT0_PS1_.num_agpr, 0
	.set _Z17sort_pairs_kernelI22helper_blocked_blockedxLj64ELj8ELj10EEvPKT0_PS1_.numbered_sgpr, 26
	.set _Z17sort_pairs_kernelI22helper_blocked_blockedxLj64ELj8ELj10EEvPKT0_PS1_.num_named_barrier, 0
	.set _Z17sort_pairs_kernelI22helper_blocked_blockedxLj64ELj8ELj10EEvPKT0_PS1_.private_seg_size, 0
	.set _Z17sort_pairs_kernelI22helper_blocked_blockedxLj64ELj8ELj10EEvPKT0_PS1_.uses_vcc, 1
	.set _Z17sort_pairs_kernelI22helper_blocked_blockedxLj64ELj8ELj10EEvPKT0_PS1_.uses_flat_scratch, 0
	.set _Z17sort_pairs_kernelI22helper_blocked_blockedxLj64ELj8ELj10EEvPKT0_PS1_.has_dyn_sized_stack, 0
	.set _Z17sort_pairs_kernelI22helper_blocked_blockedxLj64ELj8ELj10EEvPKT0_PS1_.has_recursion, 0
	.set _Z17sort_pairs_kernelI22helper_blocked_blockedxLj64ELj8ELj10EEvPKT0_PS1_.has_indirect_call, 0
	.section	.AMDGPU.csdata,"",@progbits
; Kernel info:
; codeLenInByte = 4848
; TotalNumSgprs: 30
; NumVgprs: 82
; ScratchSize: 0
; MemoryBound: 0
; FloatMode: 240
; IeeeMode: 1
; LDSByteSize: 4096 bytes/workgroup (compile time only)
; SGPRBlocks: 12
; VGPRBlocks: 20
; NumSGPRsForWavesPerEU: 102
; NumVGPRsForWavesPerEU: 82
; Occupancy: 3
; WaveLimiterHint : 1
; COMPUTE_PGM_RSRC2:SCRATCH_EN: 0
; COMPUTE_PGM_RSRC2:USER_SGPR: 6
; COMPUTE_PGM_RSRC2:TRAP_HANDLER: 0
; COMPUTE_PGM_RSRC2:TGID_X_EN: 1
; COMPUTE_PGM_RSRC2:TGID_Y_EN: 0
; COMPUTE_PGM_RSRC2:TGID_Z_EN: 0
; COMPUTE_PGM_RSRC2:TIDIG_COMP_CNT: 2
	.section	.text._Z16sort_keys_kernelI22helper_blocked_blockedxLj128ELj1ELj10EEvPKT0_PS1_,"axG",@progbits,_Z16sort_keys_kernelI22helper_blocked_blockedxLj128ELj1ELj10EEvPKT0_PS1_,comdat
	.protected	_Z16sort_keys_kernelI22helper_blocked_blockedxLj128ELj1ELj10EEvPKT0_PS1_ ; -- Begin function _Z16sort_keys_kernelI22helper_blocked_blockedxLj128ELj1ELj10EEvPKT0_PS1_
	.globl	_Z16sort_keys_kernelI22helper_blocked_blockedxLj128ELj1ELj10EEvPKT0_PS1_
	.p2align	8
	.type	_Z16sort_keys_kernelI22helper_blocked_blockedxLj128ELj1ELj10EEvPKT0_PS1_,@function
_Z16sort_keys_kernelI22helper_blocked_blockedxLj128ELj1ELj10EEvPKT0_PS1_: ; @_Z16sort_keys_kernelI22helper_blocked_blockedxLj128ELj1ELj10EEvPKT0_PS1_
; %bb.0:
	s_load_dwordx4 s[24:27], s[4:5], 0x0
	s_load_dword s33, s[4:5], 0x1c
	s_lshl_b32 s30, s6, 7
	s_mov_b32 s31, 0
	s_lshl_b64 s[28:29], s[30:31], 3
	s_waitcnt lgkmcnt(0)
	s_add_u32 s0, s24, s28
	s_addc_u32 s1, s25, s29
	v_lshlrev_b32_e32 v3, 3, v0
	global_load_dwordx2 v[3:4], v3, s[0:1]
	v_mbcnt_lo_u32_b32 v6, -1, 0
	v_mbcnt_hi_u32_b32 v6, -1, v6
	s_lshr_b32 s24, s33, 16
	v_and_b32_e32 v7, 64, v0
	v_lshrrev_b32_e32 v8, 4, v0
	s_mov_b32 s10, s31
	v_subrev_co_u32_e64 v13, s[8:9], 1, v6
	v_and_b32_e32 v14, 64, v6
	s_and_b32 s25, s33, 0xffff
	v_mad_u32_u24 v1, v2, s24, v1
	v_lshlrev_b32_e32 v15, 4, v0
	s_mov_b32 s11, s31
	v_and_b32_e32 v9, 15, v6
	v_and_b32_e32 v10, 16, v6
	v_or_b32_e32 v12, 63, v7
	v_and_b32_e32 v16, 4, v8
	v_lshlrev_b32_e32 v19, 3, v7
	s_mov_b32 s30, s31
	v_mov_b32_e32 v7, s10
	v_cmp_lt_i32_e32 vcc, v13, v14
	v_mad_u32_u24 v1, v1, s25, v0
	v_lshlrev_b32_e32 v11, 2, v0
	v_mad_i32_i24 v17, v0, -12, v15
	v_and_b32_e32 v18, 1, v6
	v_mov_b32_e32 v8, s11
	v_cmp_eq_u32_e64 s[10:11], 0, v9
	v_cmp_lt_u32_e64 s[12:13], 1, v9
	v_cmp_lt_u32_e64 s[14:15], 3, v9
	v_cmp_lt_u32_e64 s[16:17], 7, v9
	v_cmp_eq_u32_e64 s[18:19], 0, v10
	v_cmp_eq_u32_e64 s[20:21], v0, v12
	v_cndmask_b32_e32 v12, v13, v6, vcc
	v_mov_b32_e32 v9, s30
	v_lshrrev_b32_e32 v1, 4, v1
	v_mov_b32_e32 v5, 0
	v_cmp_gt_u32_e64 s[0:1], 2, v0
	v_cmp_lt_u32_e64 s[2:3], 63, v0
	v_cmp_eq_u32_e64 s[4:5], 0, v0
	v_cmp_lt_u32_e64 s[6:7], 31, v6
	v_cmp_eq_u32_e64 s[22:23], 0, v18
	v_add_u32_e32 v18, -4, v16
	v_lshl_add_u32 v19, v6, 3, v19
	v_mov_b32_e32 v10, s31
	v_lshlrev_b32_e32 v20, 2, v12
	v_and_b32_e32 v21, 0xffffffc, v1
	v_add_u32_e32 v22, v17, v11
	s_waitcnt vmcnt(0)
	v_xor_b32_e32 v4, 0x80000000, v4
	s_branch .LBB104_2
.LBB104_1:                              ;   in Loop: Header=BB104_2 Depth=1
	v_lshlrev_b32_e32 v1, 3, v1
	s_barrier
	ds_write_b64 v1, v[13:14]
	s_waitcnt lgkmcnt(0)
	s_barrier
	ds_read_b64 v[3:4], v22
	s_add_i32 s31, s31, 1
	s_cmp_eq_u32 s31, 10
	s_cbranch_scc1 .LBB104_14
.LBB104_2:                              ; =>This Loop Header: Depth=1
                                        ;     Child Loop BB104_4 Depth 2
	v_mov_b32_e32 v11, 0
	v_mov_b32_e32 v12, 0
	s_branch .LBB104_4
.LBB104_3:                              ;   in Loop: Header=BB104_4 Depth=2
	s_andn2_b64 vcc, exec, s[24:25]
	s_cbranch_vccz .LBB104_1
.LBB104_4:                              ;   Parent Loop BB104_2 Depth=1
                                        ; =>  This Inner Loop Header: Depth=2
	s_waitcnt lgkmcnt(0)
	v_mov_b32_e32 v14, v4
	v_mov_b32_e32 v13, v3
	v_lshrrev_b64 v[1:2], v11, v[13:14]
	ds_write2_b64 v15, v[9:10], v[7:8] offset0:1 offset1:2
	v_lshlrev_b32_e32 v2, 3, v1
	v_and_b32_e32 v2, 0x7f8, v2
	v_add_u32_e32 v23, v21, v2
	v_and_b32_e32 v2, 1, v1
	v_add_co_u32_e32 v3, vcc, -1, v2
	v_addc_co_u32_e64 v4, s[24:25], 0, -1, vcc
	v_cmp_ne_u32_e32 vcc, 0, v2
	v_lshlrev_b32_e32 v6, 30, v1
	v_xor_b32_e32 v2, vcc_hi, v4
	v_xor_b32_e32 v3, vcc_lo, v3
	v_cmp_gt_i64_e32 vcc, 0, v[5:6]
	v_not_b32_e32 v4, v6
	v_ashrrev_i32_e32 v4, 31, v4
	v_and_b32_e32 v2, exec_hi, v2
	v_xor_b32_e32 v6, vcc_hi, v4
	v_and_b32_e32 v3, exec_lo, v3
	v_xor_b32_e32 v4, vcc_lo, v4
	v_and_b32_e32 v2, v2, v6
	v_lshlrev_b32_e32 v6, 29, v1
	v_and_b32_e32 v3, v3, v4
	v_cmp_gt_i64_e32 vcc, 0, v[5:6]
	v_not_b32_e32 v4, v6
	v_ashrrev_i32_e32 v4, 31, v4
	v_xor_b32_e32 v6, vcc_hi, v4
	v_xor_b32_e32 v4, vcc_lo, v4
	v_and_b32_e32 v2, v2, v6
	v_lshlrev_b32_e32 v6, 28, v1
	v_and_b32_e32 v3, v3, v4
	v_cmp_gt_i64_e32 vcc, 0, v[5:6]
	v_not_b32_e32 v4, v6
	v_ashrrev_i32_e32 v4, 31, v4
	v_xor_b32_e32 v6, vcc_hi, v4
	;; [unrolled: 8-line block ×5, first 2 shown]
	v_and_b32_e32 v2, v2, v6
	v_lshlrev_b32_e32 v6, 24, v1
	v_xor_b32_e32 v4, vcc_lo, v4
	v_cmp_gt_i64_e32 vcc, 0, v[5:6]
	v_not_b32_e32 v1, v6
	v_ashrrev_i32_e32 v1, 31, v1
	v_and_b32_e32 v3, v3, v4
	v_xor_b32_e32 v4, vcc_hi, v1
	v_xor_b32_e32 v1, vcc_lo, v1
	v_and_b32_e32 v1, v3, v1
	v_and_b32_e32 v2, v2, v4
	v_mbcnt_lo_u32_b32 v3, v1, 0
	v_mbcnt_hi_u32_b32 v6, v2, v3
	v_cmp_ne_u64_e32 vcc, 0, v[1:2]
	v_cmp_eq_u32_e64 s[24:25], 0, v6
	s_and_b64 s[34:35], vcc, s[24:25]
	s_waitcnt lgkmcnt(0)
	s_barrier
	; wave barrier
	s_and_saveexec_b64 s[24:25], s[34:35]
; %bb.5:                                ;   in Loop: Header=BB104_4 Depth=2
	v_bcnt_u32_b32 v1, v1, 0
	v_bcnt_u32_b32 v1, v2, v1
	ds_write_b32 v23, v1 offset:8
; %bb.6:                                ;   in Loop: Header=BB104_4 Depth=2
	s_or_b64 exec, exec, s[24:25]
	; wave barrier
	s_waitcnt lgkmcnt(0)
	s_barrier
	ds_read2_b64 v[1:4], v15 offset0:1 offset1:2
	s_waitcnt lgkmcnt(0)
	v_add_u32_e32 v24, v2, v1
	v_add3_u32 v4, v24, v3, v4
	s_nop 1
	v_mov_b32_dpp v24, v4 row_shr:1 row_mask:0xf bank_mask:0xf
	v_cndmask_b32_e64 v24, v24, 0, s[10:11]
	v_add_u32_e32 v4, v24, v4
	s_nop 1
	v_mov_b32_dpp v24, v4 row_shr:2 row_mask:0xf bank_mask:0xf
	v_cndmask_b32_e64 v24, 0, v24, s[12:13]
	v_add_u32_e32 v4, v4, v24
	;; [unrolled: 4-line block ×4, first 2 shown]
	s_nop 1
	v_mov_b32_dpp v24, v4 row_bcast:15 row_mask:0xf bank_mask:0xf
	v_cndmask_b32_e64 v24, v24, 0, s[18:19]
	v_add_u32_e32 v4, v4, v24
	s_nop 1
	v_mov_b32_dpp v24, v4 row_bcast:31 row_mask:0xf bank_mask:0xf
	v_cndmask_b32_e64 v24, 0, v24, s[6:7]
	v_add_u32_e32 v4, v4, v24
	s_and_saveexec_b64 s[24:25], s[20:21]
; %bb.7:                                ;   in Loop: Header=BB104_4 Depth=2
	ds_write_b32 v16, v4
; %bb.8:                                ;   in Loop: Header=BB104_4 Depth=2
	s_or_b64 exec, exec, s[24:25]
	s_waitcnt lgkmcnt(0)
	s_barrier
	s_and_saveexec_b64 s[24:25], s[0:1]
	s_cbranch_execz .LBB104_10
; %bb.9:                                ;   in Loop: Header=BB104_4 Depth=2
	ds_read_b32 v24, v17
	s_waitcnt lgkmcnt(0)
	s_nop 0
	v_mov_b32_dpp v25, v24 row_shr:1 row_mask:0xf bank_mask:0xf
	v_cndmask_b32_e64 v25, v25, 0, s[22:23]
	v_add_u32_e32 v24, v25, v24
	ds_write_b32 v17, v24
.LBB104_10:                             ;   in Loop: Header=BB104_4 Depth=2
	s_or_b64 exec, exec, s[24:25]
	v_mov_b32_e32 v24, 0
	s_waitcnt lgkmcnt(0)
	s_barrier
	s_and_saveexec_b64 s[24:25], s[2:3]
; %bb.11:                               ;   in Loop: Header=BB104_4 Depth=2
	ds_read_b32 v24, v18
; %bb.12:                               ;   in Loop: Header=BB104_4 Depth=2
	s_or_b64 exec, exec, s[24:25]
	s_waitcnt lgkmcnt(0)
	v_add_u32_e32 v4, v24, v4
	ds_bpermute_b32 v4, v20, v4
	v_cmp_lt_u32_e32 vcc, 55, v11
	s_and_b64 vcc, exec, vcc
	s_mov_b64 s[24:25], -1
	s_waitcnt lgkmcnt(0)
	v_cndmask_b32_e64 v4, v4, v24, s[8:9]
	v_cndmask_b32_e64 v24, v4, 0, s[4:5]
	v_add_u32_e32 v25, v24, v1
	v_add_u32_e32 v1, v25, v2
	;; [unrolled: 1-line block ×3, first 2 shown]
	ds_write2_b64 v15, v[24:25], v[1:2] offset0:1 offset1:2
	s_waitcnt lgkmcnt(0)
	s_barrier
	ds_read_b32 v1, v23 offset:8
                                        ; implicit-def: $vgpr3_vgpr4
	s_waitcnt lgkmcnt(0)
	v_add_u32_e32 v1, v1, v6
	s_cbranch_vccnz .LBB104_3
; %bb.13:                               ;   in Loop: Header=BB104_4 Depth=2
	v_lshlrev_b32_e32 v2, 3, v1
	s_barrier
	ds_write_b64 v2, v[13:14]
	s_waitcnt lgkmcnt(0)
	s_barrier
	ds_read_b64 v[3:4], v19
	v_add_co_u32_e32 v11, vcc, 8, v11
	v_addc_co_u32_e32 v12, vcc, 0, v12, vcc
	s_mov_b64 s[24:25], 0
	s_waitcnt lgkmcnt(0)
	s_barrier
	s_branch .LBB104_3
.LBB104_14:
	s_add_u32 s0, s26, s28
	s_waitcnt lgkmcnt(0)
	v_xor_b32_e32 v4, 0x80000000, v4
	s_addc_u32 s1, s27, s29
	v_lshlrev_b32_e32 v0, 3, v0
	global_store_dwordx2 v0, v[3:4], s[0:1]
	s_endpgm
	.section	.rodata,"a",@progbits
	.p2align	6, 0x0
	.amdhsa_kernel _Z16sort_keys_kernelI22helper_blocked_blockedxLj128ELj1ELj10EEvPKT0_PS1_
		.amdhsa_group_segment_fixed_size 2064
		.amdhsa_private_segment_fixed_size 0
		.amdhsa_kernarg_size 272
		.amdhsa_user_sgpr_count 6
		.amdhsa_user_sgpr_private_segment_buffer 1
		.amdhsa_user_sgpr_dispatch_ptr 0
		.amdhsa_user_sgpr_queue_ptr 0
		.amdhsa_user_sgpr_kernarg_segment_ptr 1
		.amdhsa_user_sgpr_dispatch_id 0
		.amdhsa_user_sgpr_flat_scratch_init 0
		.amdhsa_user_sgpr_private_segment_size 0
		.amdhsa_uses_dynamic_stack 0
		.amdhsa_system_sgpr_private_segment_wavefront_offset 0
		.amdhsa_system_sgpr_workgroup_id_x 1
		.amdhsa_system_sgpr_workgroup_id_y 0
		.amdhsa_system_sgpr_workgroup_id_z 0
		.amdhsa_system_sgpr_workgroup_info 0
		.amdhsa_system_vgpr_workitem_id 2
		.amdhsa_next_free_vgpr 29
		.amdhsa_next_free_sgpr 61
		.amdhsa_reserve_vcc 1
		.amdhsa_reserve_flat_scratch 0
		.amdhsa_float_round_mode_32 0
		.amdhsa_float_round_mode_16_64 0
		.amdhsa_float_denorm_mode_32 3
		.amdhsa_float_denorm_mode_16_64 3
		.amdhsa_dx10_clamp 1
		.amdhsa_ieee_mode 1
		.amdhsa_fp16_overflow 0
		.amdhsa_exception_fp_ieee_invalid_op 0
		.amdhsa_exception_fp_denorm_src 0
		.amdhsa_exception_fp_ieee_div_zero 0
		.amdhsa_exception_fp_ieee_overflow 0
		.amdhsa_exception_fp_ieee_underflow 0
		.amdhsa_exception_fp_ieee_inexact 0
		.amdhsa_exception_int_div_zero 0
	.end_amdhsa_kernel
	.section	.text._Z16sort_keys_kernelI22helper_blocked_blockedxLj128ELj1ELj10EEvPKT0_PS1_,"axG",@progbits,_Z16sort_keys_kernelI22helper_blocked_blockedxLj128ELj1ELj10EEvPKT0_PS1_,comdat
.Lfunc_end104:
	.size	_Z16sort_keys_kernelI22helper_blocked_blockedxLj128ELj1ELj10EEvPKT0_PS1_, .Lfunc_end104-_Z16sort_keys_kernelI22helper_blocked_blockedxLj128ELj1ELj10EEvPKT0_PS1_
                                        ; -- End function
	.set _Z16sort_keys_kernelI22helper_blocked_blockedxLj128ELj1ELj10EEvPKT0_PS1_.num_vgpr, 26
	.set _Z16sort_keys_kernelI22helper_blocked_blockedxLj128ELj1ELj10EEvPKT0_PS1_.num_agpr, 0
	.set _Z16sort_keys_kernelI22helper_blocked_blockedxLj128ELj1ELj10EEvPKT0_PS1_.numbered_sgpr, 36
	.set _Z16sort_keys_kernelI22helper_blocked_blockedxLj128ELj1ELj10EEvPKT0_PS1_.num_named_barrier, 0
	.set _Z16sort_keys_kernelI22helper_blocked_blockedxLj128ELj1ELj10EEvPKT0_PS1_.private_seg_size, 0
	.set _Z16sort_keys_kernelI22helper_blocked_blockedxLj128ELj1ELj10EEvPKT0_PS1_.uses_vcc, 1
	.set _Z16sort_keys_kernelI22helper_blocked_blockedxLj128ELj1ELj10EEvPKT0_PS1_.uses_flat_scratch, 0
	.set _Z16sort_keys_kernelI22helper_blocked_blockedxLj128ELj1ELj10EEvPKT0_PS1_.has_dyn_sized_stack, 0
	.set _Z16sort_keys_kernelI22helper_blocked_blockedxLj128ELj1ELj10EEvPKT0_PS1_.has_recursion, 0
	.set _Z16sort_keys_kernelI22helper_blocked_blockedxLj128ELj1ELj10EEvPKT0_PS1_.has_indirect_call, 0
	.section	.AMDGPU.csdata,"",@progbits
; Kernel info:
; codeLenInByte = 1244
; TotalNumSgprs: 40
; NumVgprs: 26
; ScratchSize: 0
; MemoryBound: 0
; FloatMode: 240
; IeeeMode: 1
; LDSByteSize: 2064 bytes/workgroup (compile time only)
; SGPRBlocks: 8
; VGPRBlocks: 7
; NumSGPRsForWavesPerEU: 65
; NumVGPRsForWavesPerEU: 29
; Occupancy: 8
; WaveLimiterHint : 0
; COMPUTE_PGM_RSRC2:SCRATCH_EN: 0
; COMPUTE_PGM_RSRC2:USER_SGPR: 6
; COMPUTE_PGM_RSRC2:TRAP_HANDLER: 0
; COMPUTE_PGM_RSRC2:TGID_X_EN: 1
; COMPUTE_PGM_RSRC2:TGID_Y_EN: 0
; COMPUTE_PGM_RSRC2:TGID_Z_EN: 0
; COMPUTE_PGM_RSRC2:TIDIG_COMP_CNT: 2
	.section	.text._Z17sort_pairs_kernelI22helper_blocked_blockedxLj128ELj1ELj10EEvPKT0_PS1_,"axG",@progbits,_Z17sort_pairs_kernelI22helper_blocked_blockedxLj128ELj1ELj10EEvPKT0_PS1_,comdat
	.protected	_Z17sort_pairs_kernelI22helper_blocked_blockedxLj128ELj1ELj10EEvPKT0_PS1_ ; -- Begin function _Z17sort_pairs_kernelI22helper_blocked_blockedxLj128ELj1ELj10EEvPKT0_PS1_
	.globl	_Z17sort_pairs_kernelI22helper_blocked_blockedxLj128ELj1ELj10EEvPKT0_PS1_
	.p2align	8
	.type	_Z17sort_pairs_kernelI22helper_blocked_blockedxLj128ELj1ELj10EEvPKT0_PS1_,@function
_Z17sort_pairs_kernelI22helper_blocked_blockedxLj128ELj1ELj10EEvPKT0_PS1_: ; @_Z17sort_pairs_kernelI22helper_blocked_blockedxLj128ELj1ELj10EEvPKT0_PS1_
; %bb.0:
	s_load_dwordx4 s[24:27], s[4:5], 0x0
	s_load_dword s33, s[4:5], 0x1c
	s_lshl_b32 s30, s6, 7
	s_mov_b32 s31, 0
	s_lshl_b64 s[28:29], s[30:31], 3
	s_waitcnt lgkmcnt(0)
	s_add_u32 s0, s24, s28
	s_addc_u32 s1, s25, s29
	v_lshlrev_b32_e32 v3, 3, v0
	global_load_dwordx2 v[3:4], v3, s[0:1]
	v_mbcnt_lo_u32_b32 v6, -1, 0
	s_lshr_b32 s24, s33, 16
	v_mbcnt_hi_u32_b32 v6, -1, v6
	s_and_b32 s25, s33, 0xffff
	v_mad_u32_u24 v1, v2, s24, v1
	v_and_b32_e32 v7, 64, v0
	v_lshrrev_b32_e32 v8, 4, v0
	s_mov_b32 s10, s31
	v_subrev_co_u32_e64 v13, s[8:9], 1, v6
	v_and_b32_e32 v14, 64, v6
	v_mad_u32_u24 v1, v1, s25, v0
	v_lshlrev_b32_e32 v17, 4, v0
	s_mov_b32 s11, s31
	v_and_b32_e32 v9, 15, v6
	v_and_b32_e32 v10, 16, v6
	v_or_b32_e32 v12, 63, v7
	v_and_b32_e32 v18, 4, v8
	v_lshlrev_b32_e32 v16, 3, v7
	s_mov_b32 s30, s31
	v_mov_b32_e32 v7, s10
	v_cmp_lt_i32_e32 vcc, v13, v14
	v_lshrrev_b32_e32 v1, 4, v1
	v_lshlrev_b32_e32 v11, 2, v0
	v_mad_i32_i24 v19, v0, -12, v17
	v_and_b32_e32 v15, 1, v6
	v_mov_b32_e32 v8, s11
	v_cmp_eq_u32_e64 s[10:11], 0, v9
	v_cmp_lt_u32_e64 s[12:13], 1, v9
	v_cmp_lt_u32_e64 s[14:15], 3, v9
	;; [unrolled: 1-line block ×3, first 2 shown]
	v_cmp_eq_u32_e64 s[18:19], 0, v10
	v_cmp_eq_u32_e64 s[20:21], v0, v12
	v_cndmask_b32_e32 v12, v13, v6, vcc
	v_mov_b32_e32 v9, s30
	v_and_b32_e32 v23, 0xffffffc, v1
	v_mov_b32_e32 v5, 0
	v_cmp_gt_u32_e64 s[0:1], 2, v0
	v_cmp_lt_u32_e64 s[2:3], 63, v0
	v_cmp_eq_u32_e64 s[4:5], 0, v0
	v_cmp_lt_u32_e64 s[6:7], 31, v6
	v_cmp_eq_u32_e64 s[22:23], 0, v15
	v_add_u32_e32 v20, -4, v18
	v_lshl_add_u32 v21, v6, 3, v16
	v_mov_b32_e32 v10, s31
	v_lshlrev_b32_e32 v22, 2, v12
	v_add_u32_e32 v24, v19, v11
	s_waitcnt vmcnt(0)
	v_add_co_u32_e32 v1, vcc, 1, v3
	v_addc_co_u32_e32 v2, vcc, 0, v4, vcc
	v_xor_b32_e32 v4, 0x80000000, v4
	s_branch .LBB105_2
.LBB105_1:                              ;   in Loop: Header=BB105_2 Depth=1
	v_lshlrev_b32_e32 v1, 3, v6
	s_barrier
	ds_write_b64 v1, v[15:16]
	s_waitcnt lgkmcnt(0)
	s_barrier
	ds_read_b64 v[3:4], v24
	s_waitcnt lgkmcnt(0)
	s_barrier
	ds_write_b64 v1, v[11:12]
	s_waitcnt lgkmcnt(0)
	s_barrier
	ds_read_b64 v[1:2], v24
	s_add_i32 s31, s31, 1
	s_cmp_eq_u32 s31, 10
	s_cbranch_scc1 .LBB105_14
.LBB105_2:                              ; =>This Loop Header: Depth=1
                                        ;     Child Loop BB105_4 Depth 2
	v_mov_b32_e32 v13, 0
	v_mov_b32_e32 v14, 0
	s_branch .LBB105_4
.LBB105_3:                              ;   in Loop: Header=BB105_4 Depth=2
	s_andn2_b64 vcc, exec, s[24:25]
	s_cbranch_vccz .LBB105_1
.LBB105_4:                              ;   Parent Loop BB105_2 Depth=1
                                        ; =>  This Inner Loop Header: Depth=2
	v_mov_b32_e32 v16, v4
	s_waitcnt lgkmcnt(0)
	v_mov_b32_e32 v12, v2
	v_mov_b32_e32 v15, v3
	;; [unrolled: 1-line block ×3, first 2 shown]
	v_lshrrev_b64 v[1:2], v13, v[15:16]
	ds_write2_b64 v17, v[9:10], v[7:8] offset0:1 offset1:2
	v_lshlrev_b32_e32 v2, 3, v1
	v_and_b32_e32 v2, 0x7f8, v2
	v_add_u32_e32 v25, v23, v2
	v_and_b32_e32 v2, 1, v1
	v_add_co_u32_e32 v3, vcc, -1, v2
	v_addc_co_u32_e64 v4, s[24:25], 0, -1, vcc
	v_cmp_ne_u32_e32 vcc, 0, v2
	v_lshlrev_b32_e32 v6, 30, v1
	v_xor_b32_e32 v2, vcc_hi, v4
	v_xor_b32_e32 v3, vcc_lo, v3
	v_cmp_gt_i64_e32 vcc, 0, v[5:6]
	v_not_b32_e32 v4, v6
	v_ashrrev_i32_e32 v4, 31, v4
	v_and_b32_e32 v2, exec_hi, v2
	v_xor_b32_e32 v6, vcc_hi, v4
	v_and_b32_e32 v3, exec_lo, v3
	v_xor_b32_e32 v4, vcc_lo, v4
	v_and_b32_e32 v2, v2, v6
	v_lshlrev_b32_e32 v6, 29, v1
	v_and_b32_e32 v3, v3, v4
	v_cmp_gt_i64_e32 vcc, 0, v[5:6]
	v_not_b32_e32 v4, v6
	v_ashrrev_i32_e32 v4, 31, v4
	v_xor_b32_e32 v6, vcc_hi, v4
	v_xor_b32_e32 v4, vcc_lo, v4
	v_and_b32_e32 v2, v2, v6
	v_lshlrev_b32_e32 v6, 28, v1
	v_and_b32_e32 v3, v3, v4
	v_cmp_gt_i64_e32 vcc, 0, v[5:6]
	v_not_b32_e32 v4, v6
	v_ashrrev_i32_e32 v4, 31, v4
	v_xor_b32_e32 v6, vcc_hi, v4
	;; [unrolled: 8-line block ×5, first 2 shown]
	v_and_b32_e32 v2, v2, v6
	v_lshlrev_b32_e32 v6, 24, v1
	v_xor_b32_e32 v4, vcc_lo, v4
	v_cmp_gt_i64_e32 vcc, 0, v[5:6]
	v_not_b32_e32 v1, v6
	v_ashrrev_i32_e32 v1, 31, v1
	v_and_b32_e32 v3, v3, v4
	v_xor_b32_e32 v4, vcc_hi, v1
	v_xor_b32_e32 v1, vcc_lo, v1
	v_and_b32_e32 v1, v3, v1
	v_and_b32_e32 v2, v2, v4
	v_mbcnt_lo_u32_b32 v3, v1, 0
	v_mbcnt_hi_u32_b32 v6, v2, v3
	v_cmp_ne_u64_e32 vcc, 0, v[1:2]
	v_cmp_eq_u32_e64 s[24:25], 0, v6
	s_and_b64 s[34:35], vcc, s[24:25]
	s_waitcnt lgkmcnt(0)
	s_barrier
	; wave barrier
	s_and_saveexec_b64 s[24:25], s[34:35]
; %bb.5:                                ;   in Loop: Header=BB105_4 Depth=2
	v_bcnt_u32_b32 v1, v1, 0
	v_bcnt_u32_b32 v1, v2, v1
	ds_write_b32 v25, v1 offset:8
; %bb.6:                                ;   in Loop: Header=BB105_4 Depth=2
	s_or_b64 exec, exec, s[24:25]
	; wave barrier
	s_waitcnt lgkmcnt(0)
	s_barrier
	ds_read2_b64 v[1:4], v17 offset0:1 offset1:2
	s_waitcnt lgkmcnt(0)
	v_add_u32_e32 v26, v2, v1
	v_add3_u32 v4, v26, v3, v4
	s_nop 1
	v_mov_b32_dpp v26, v4 row_shr:1 row_mask:0xf bank_mask:0xf
	v_cndmask_b32_e64 v26, v26, 0, s[10:11]
	v_add_u32_e32 v4, v26, v4
	s_nop 1
	v_mov_b32_dpp v26, v4 row_shr:2 row_mask:0xf bank_mask:0xf
	v_cndmask_b32_e64 v26, 0, v26, s[12:13]
	v_add_u32_e32 v4, v4, v26
	;; [unrolled: 4-line block ×4, first 2 shown]
	s_nop 1
	v_mov_b32_dpp v26, v4 row_bcast:15 row_mask:0xf bank_mask:0xf
	v_cndmask_b32_e64 v26, v26, 0, s[18:19]
	v_add_u32_e32 v4, v4, v26
	s_nop 1
	v_mov_b32_dpp v26, v4 row_bcast:31 row_mask:0xf bank_mask:0xf
	v_cndmask_b32_e64 v26, 0, v26, s[6:7]
	v_add_u32_e32 v4, v4, v26
	s_and_saveexec_b64 s[24:25], s[20:21]
; %bb.7:                                ;   in Loop: Header=BB105_4 Depth=2
	ds_write_b32 v18, v4
; %bb.8:                                ;   in Loop: Header=BB105_4 Depth=2
	s_or_b64 exec, exec, s[24:25]
	s_waitcnt lgkmcnt(0)
	s_barrier
	s_and_saveexec_b64 s[24:25], s[0:1]
	s_cbranch_execz .LBB105_10
; %bb.9:                                ;   in Loop: Header=BB105_4 Depth=2
	ds_read_b32 v26, v19
	s_waitcnt lgkmcnt(0)
	s_nop 0
	v_mov_b32_dpp v27, v26 row_shr:1 row_mask:0xf bank_mask:0xf
	v_cndmask_b32_e64 v27, v27, 0, s[22:23]
	v_add_u32_e32 v26, v27, v26
	ds_write_b32 v19, v26
.LBB105_10:                             ;   in Loop: Header=BB105_4 Depth=2
	s_or_b64 exec, exec, s[24:25]
	v_mov_b32_e32 v26, 0
	s_waitcnt lgkmcnt(0)
	s_barrier
	s_and_saveexec_b64 s[24:25], s[2:3]
; %bb.11:                               ;   in Loop: Header=BB105_4 Depth=2
	ds_read_b32 v26, v20
; %bb.12:                               ;   in Loop: Header=BB105_4 Depth=2
	s_or_b64 exec, exec, s[24:25]
	s_waitcnt lgkmcnt(0)
	v_add_u32_e32 v4, v26, v4
	ds_bpermute_b32 v4, v22, v4
	v_cmp_lt_u32_e32 vcc, 55, v13
	s_and_b64 vcc, exec, vcc
	s_mov_b64 s[24:25], -1
	s_waitcnt lgkmcnt(0)
	v_cndmask_b32_e64 v4, v4, v26, s[8:9]
	v_cndmask_b32_e64 v26, v4, 0, s[4:5]
	v_add_u32_e32 v27, v26, v1
	v_add_u32_e32 v1, v27, v2
	;; [unrolled: 1-line block ×3, first 2 shown]
	ds_write2_b64 v17, v[26:27], v[1:2] offset0:1 offset1:2
	s_waitcnt lgkmcnt(0)
	s_barrier
	ds_read_b32 v1, v25 offset:8
                                        ; implicit-def: $vgpr3_vgpr4
	s_waitcnt lgkmcnt(0)
	v_add_u32_e32 v6, v1, v6
                                        ; implicit-def: $vgpr1_vgpr2
	s_cbranch_vccnz .LBB105_3
; %bb.13:                               ;   in Loop: Header=BB105_4 Depth=2
	v_lshlrev_b32_e32 v1, 3, v6
	s_barrier
	ds_write_b64 v1, v[15:16]
	s_waitcnt lgkmcnt(0)
	s_barrier
	ds_read_b64 v[3:4], v21
	s_waitcnt lgkmcnt(0)
	s_barrier
	ds_write_b64 v1, v[11:12]
	s_waitcnt lgkmcnt(0)
	s_barrier
	ds_read_b64 v[1:2], v21
	v_add_co_u32_e32 v13, vcc, 8, v13
	v_addc_co_u32_e32 v14, vcc, 0, v14, vcc
	s_mov_b64 s[24:25], 0
	s_waitcnt lgkmcnt(0)
	s_barrier
	s_branch .LBB105_3
.LBB105_14:
	s_waitcnt lgkmcnt(0)
	v_add_co_u32_e32 v1, vcc, v1, v3
	v_addc_co_u32_e32 v2, vcc, v2, v4, vcc
	s_add_u32 s0, s26, s28
	v_add_u32_e32 v2, 0x80000000, v2
	s_addc_u32 s1, s27, s29
	v_lshlrev_b32_e32 v0, 3, v0
	global_store_dwordx2 v0, v[1:2], s[0:1]
	s_endpgm
	.section	.rodata,"a",@progbits
	.p2align	6, 0x0
	.amdhsa_kernel _Z17sort_pairs_kernelI22helper_blocked_blockedxLj128ELj1ELj10EEvPKT0_PS1_
		.amdhsa_group_segment_fixed_size 2064
		.amdhsa_private_segment_fixed_size 0
		.amdhsa_kernarg_size 272
		.amdhsa_user_sgpr_count 6
		.amdhsa_user_sgpr_private_segment_buffer 1
		.amdhsa_user_sgpr_dispatch_ptr 0
		.amdhsa_user_sgpr_queue_ptr 0
		.amdhsa_user_sgpr_kernarg_segment_ptr 1
		.amdhsa_user_sgpr_dispatch_id 0
		.amdhsa_user_sgpr_flat_scratch_init 0
		.amdhsa_user_sgpr_private_segment_size 0
		.amdhsa_uses_dynamic_stack 0
		.amdhsa_system_sgpr_private_segment_wavefront_offset 0
		.amdhsa_system_sgpr_workgroup_id_x 1
		.amdhsa_system_sgpr_workgroup_id_y 0
		.amdhsa_system_sgpr_workgroup_id_z 0
		.amdhsa_system_sgpr_workgroup_info 0
		.amdhsa_system_vgpr_workitem_id 2
		.amdhsa_next_free_vgpr 29
		.amdhsa_next_free_sgpr 61
		.amdhsa_reserve_vcc 1
		.amdhsa_reserve_flat_scratch 0
		.amdhsa_float_round_mode_32 0
		.amdhsa_float_round_mode_16_64 0
		.amdhsa_float_denorm_mode_32 3
		.amdhsa_float_denorm_mode_16_64 3
		.amdhsa_dx10_clamp 1
		.amdhsa_ieee_mode 1
		.amdhsa_fp16_overflow 0
		.amdhsa_exception_fp_ieee_invalid_op 0
		.amdhsa_exception_fp_denorm_src 0
		.amdhsa_exception_fp_ieee_div_zero 0
		.amdhsa_exception_fp_ieee_overflow 0
		.amdhsa_exception_fp_ieee_underflow 0
		.amdhsa_exception_fp_ieee_inexact 0
		.amdhsa_exception_int_div_zero 0
	.end_amdhsa_kernel
	.section	.text._Z17sort_pairs_kernelI22helper_blocked_blockedxLj128ELj1ELj10EEvPKT0_PS1_,"axG",@progbits,_Z17sort_pairs_kernelI22helper_blocked_blockedxLj128ELj1ELj10EEvPKT0_PS1_,comdat
.Lfunc_end105:
	.size	_Z17sort_pairs_kernelI22helper_blocked_blockedxLj128ELj1ELj10EEvPKT0_PS1_, .Lfunc_end105-_Z17sort_pairs_kernelI22helper_blocked_blockedxLj128ELj1ELj10EEvPKT0_PS1_
                                        ; -- End function
	.set _Z17sort_pairs_kernelI22helper_blocked_blockedxLj128ELj1ELj10EEvPKT0_PS1_.num_vgpr, 28
	.set _Z17sort_pairs_kernelI22helper_blocked_blockedxLj128ELj1ELj10EEvPKT0_PS1_.num_agpr, 0
	.set _Z17sort_pairs_kernelI22helper_blocked_blockedxLj128ELj1ELj10EEvPKT0_PS1_.numbered_sgpr, 36
	.set _Z17sort_pairs_kernelI22helper_blocked_blockedxLj128ELj1ELj10EEvPKT0_PS1_.num_named_barrier, 0
	.set _Z17sort_pairs_kernelI22helper_blocked_blockedxLj128ELj1ELj10EEvPKT0_PS1_.private_seg_size, 0
	.set _Z17sort_pairs_kernelI22helper_blocked_blockedxLj128ELj1ELj10EEvPKT0_PS1_.uses_vcc, 1
	.set _Z17sort_pairs_kernelI22helper_blocked_blockedxLj128ELj1ELj10EEvPKT0_PS1_.uses_flat_scratch, 0
	.set _Z17sort_pairs_kernelI22helper_blocked_blockedxLj128ELj1ELj10EEvPKT0_PS1_.has_dyn_sized_stack, 0
	.set _Z17sort_pairs_kernelI22helper_blocked_blockedxLj128ELj1ELj10EEvPKT0_PS1_.has_recursion, 0
	.set _Z17sort_pairs_kernelI22helper_blocked_blockedxLj128ELj1ELj10EEvPKT0_PS1_.has_indirect_call, 0
	.section	.AMDGPU.csdata,"",@progbits
; Kernel info:
; codeLenInByte = 1332
; TotalNumSgprs: 40
; NumVgprs: 28
; ScratchSize: 0
; MemoryBound: 0
; FloatMode: 240
; IeeeMode: 1
; LDSByteSize: 2064 bytes/workgroup (compile time only)
; SGPRBlocks: 8
; VGPRBlocks: 7
; NumSGPRsForWavesPerEU: 65
; NumVGPRsForWavesPerEU: 29
; Occupancy: 8
; WaveLimiterHint : 0
; COMPUTE_PGM_RSRC2:SCRATCH_EN: 0
; COMPUTE_PGM_RSRC2:USER_SGPR: 6
; COMPUTE_PGM_RSRC2:TRAP_HANDLER: 0
; COMPUTE_PGM_RSRC2:TGID_X_EN: 1
; COMPUTE_PGM_RSRC2:TGID_Y_EN: 0
; COMPUTE_PGM_RSRC2:TGID_Z_EN: 0
; COMPUTE_PGM_RSRC2:TIDIG_COMP_CNT: 2
	.section	.text._Z16sort_keys_kernelI22helper_blocked_blockedxLj128ELj3ELj10EEvPKT0_PS1_,"axG",@progbits,_Z16sort_keys_kernelI22helper_blocked_blockedxLj128ELj3ELj10EEvPKT0_PS1_,comdat
	.protected	_Z16sort_keys_kernelI22helper_blocked_blockedxLj128ELj3ELj10EEvPKT0_PS1_ ; -- Begin function _Z16sort_keys_kernelI22helper_blocked_blockedxLj128ELj3ELj10EEvPKT0_PS1_
	.globl	_Z16sort_keys_kernelI22helper_blocked_blockedxLj128ELj3ELj10EEvPKT0_PS1_
	.p2align	8
	.type	_Z16sort_keys_kernelI22helper_blocked_blockedxLj128ELj3ELj10EEvPKT0_PS1_,@function
_Z16sort_keys_kernelI22helper_blocked_blockedxLj128ELj3ELj10EEvPKT0_PS1_: ; @_Z16sort_keys_kernelI22helper_blocked_blockedxLj128ELj3ELj10EEvPKT0_PS1_
; %bb.0:
	s_load_dwordx4 s[24:27], s[4:5], 0x0
	s_load_dword s2, s[4:5], 0x1c
	s_mul_i32 s28, s6, 0x180
	s_mov_b32 s29, 0
	s_lshl_b64 s[30:31], s[28:29], 3
	s_waitcnt lgkmcnt(0)
	s_add_u32 s0, s24, s30
	s_addc_u32 s1, s25, s31
	v_lshlrev_b32_e32 v7, 3, v0
	global_load_dwordx2 v[3:4], v7, s[0:1]
	global_load_dwordx2 v[5:6], v7, s[0:1] offset:1024
	global_load_dwordx2 v[8:9], v7, s[0:1] offset:2048
	v_mbcnt_lo_u32_b32 v10, -1, 0
	v_mbcnt_hi_u32_b32 v10, -1, v10
	s_lshr_b32 s0, s2, 16
	v_lshrrev_b32_e32 v11, 6, v0
	s_and_b32 s1, s2, 0xffff
	v_mad_u32_u24 v1, v2, s0, v1
	v_and_b32_e32 v2, 15, v10
	v_mul_u32_u24_e32 v12, 0xc0, v11
	v_mad_u32_u24 v1, v1, s1, v0
	v_cmp_eq_u32_e64 s[0:1], 0, v2
	v_cmp_lt_u32_e64 s[2:3], 1, v2
	v_cmp_lt_u32_e64 s[4:5], 3, v2
	;; [unrolled: 1-line block ×3, first 2 shown]
	v_and_b32_e32 v2, 16, v10
	v_lshlrev_b32_e32 v12, 3, v12
	v_lshlrev_b32_e32 v13, 3, v10
	v_cmp_eq_u32_e64 s[8:9], 0, v2
	v_and_b32_e32 v2, 64, v0
	v_mad_u32_u24 v17, v10, 24, v12
	v_add_u32_e32 v18, v13, v12
	v_or_b32_e32 v12, 63, v2
	v_cmp_eq_u32_e64 s[12:13], v0, v12
	v_subrev_co_u32_e64 v12, s[18:19], 1, v10
	v_and_b32_e32 v14, 64, v10
	v_lshlrev_b32_e32 v19, 4, v0
	v_cmp_lt_i32_e32 vcc, v12, v14
	v_lshrrev_b32_e32 v1, 4, v1
	v_cmp_lt_u32_e64 s[10:11], 31, v10
	v_cndmask_b32_e32 v12, v12, v10, vcc
	v_lshlrev_b32_e32 v21, 2, v11
	v_mad_i32_i24 v22, v0, -12, v19
	v_and_b32_e32 v10, 1, v10
	v_mul_u32_u24_e32 v2, 24, v2
	v_and_b32_e32 v24, 0xffffffc, v1
	v_mul_u32_u24_e32 v1, 20, v0
	v_mov_b32_e32 v7, 0
	v_cmp_gt_u32_e64 s[14:15], 2, v0
	v_cmp_lt_u32_e64 s[16:17], 63, v0
	v_lshlrev_b32_e32 v20, 2, v12
	v_cmp_eq_u32_e64 s[20:21], 0, v0
	v_cmp_eq_u32_e64 s[22:23], 0, v10
	v_add_u32_e32 v23, -4, v21
	s_mov_b32 s28, s29
	s_mov_b32 s34, s29
	s_mov_b32 s35, s29
	v_add_u32_e32 v25, v13, v2
	v_add_u32_e32 v26, v22, v1
	s_mov_b32 s33, s29
	s_branch .LBB106_2
.LBB106_1:                              ;   in Loop: Header=BB106_2 Depth=1
	v_lshlrev_b32_e32 v1, 3, v28
	s_barrier
	ds_write_b64 v1, v[13:14]
	v_lshlrev_b32_e32 v1, 3, v27
	ds_write_b64 v1, v[11:12]
	v_lshlrev_b32_e32 v1, 3, v8
	ds_write_b64 v1, v[5:6]
	s_waitcnt lgkmcnt(0)
	s_barrier
	ds_read2_b64 v[3:6], v26 offset1:1
	ds_read_b64 v[8:9], v26 offset:16
	s_add_i32 s33, s33, 1
	s_cmp_eq_u32 s33, 10
	s_waitcnt lgkmcnt(1)
	v_xor_b32_e32 v4, 0x80000000, v4
	v_xor_b32_e32 v6, 0x80000000, v6
	s_waitcnt lgkmcnt(0)
	v_xor_b32_e32 v9, 0x80000000, v9
	s_cbranch_scc1 .LBB106_18
.LBB106_2:                              ; =>This Loop Header: Depth=1
                                        ;     Child Loop BB106_4 Depth 2
	s_waitcnt vmcnt(2)
	v_xor_b32_e32 v4, 0x80000000, v4
	s_waitcnt vmcnt(1)
	v_xor_b32_e32 v6, 0x80000000, v6
	;; [unrolled: 2-line block ×3, first 2 shown]
	ds_write2_b64 v17, v[3:4], v[5:6] offset1:1
	ds_write_b64 v17, v[8:9] offset:16
	; wave barrier
	ds_read2st64_b64 v[1:4], v18 offset1:1
	ds_read_b64 v[15:16], v18 offset:1024
	v_mov_b32_e32 v9, 0
	v_mov_b32_e32 v10, 0
	s_waitcnt lgkmcnt(0)
	s_barrier
	; wave barrier
	s_barrier
	s_branch .LBB106_4
.LBB106_3:                              ;   in Loop: Header=BB106_4 Depth=2
	s_andn2_b64 vcc, exec, s[24:25]
	s_cbranch_vccz .LBB106_1
.LBB106_4:                              ;   Parent Loop BB106_2 Depth=1
                                        ; =>  This Inner Loop Header: Depth=2
	v_mov_b32_e32 v12, v4
	v_mov_b32_e32 v14, v2
	;; [unrolled: 1-line block ×8, first 2 shown]
	ds_write2_b64 v19, v[1:2], v[3:4] offset0:1 offset1:2
	v_lshrrev_b64 v[1:2], v9, v[13:14]
	v_mov_b32_e32 v5, v15
	v_lshlrev_b32_e32 v2, 3, v1
	v_and_b32_e32 v2, 0x7f8, v2
	v_mov_b32_e32 v6, v16
	v_add_u32_e32 v15, v24, v2
	v_and_b32_e32 v2, 1, v1
	v_add_co_u32_e32 v3, vcc, -1, v2
	v_addc_co_u32_e64 v4, s[24:25], 0, -1, vcc
	v_cmp_ne_u32_e32 vcc, 0, v2
	v_lshlrev_b32_e32 v8, 30, v1
	v_xor_b32_e32 v2, vcc_hi, v4
	v_xor_b32_e32 v3, vcc_lo, v3
	v_cmp_gt_i64_e32 vcc, 0, v[7:8]
	v_not_b32_e32 v4, v8
	v_ashrrev_i32_e32 v4, 31, v4
	v_and_b32_e32 v2, exec_hi, v2
	v_xor_b32_e32 v8, vcc_hi, v4
	v_and_b32_e32 v3, exec_lo, v3
	v_xor_b32_e32 v4, vcc_lo, v4
	v_and_b32_e32 v2, v2, v8
	v_lshlrev_b32_e32 v8, 29, v1
	v_and_b32_e32 v3, v3, v4
	v_cmp_gt_i64_e32 vcc, 0, v[7:8]
	v_not_b32_e32 v4, v8
	v_ashrrev_i32_e32 v4, 31, v4
	v_xor_b32_e32 v8, vcc_hi, v4
	v_xor_b32_e32 v4, vcc_lo, v4
	v_and_b32_e32 v2, v2, v8
	v_lshlrev_b32_e32 v8, 28, v1
	v_and_b32_e32 v3, v3, v4
	v_cmp_gt_i64_e32 vcc, 0, v[7:8]
	v_not_b32_e32 v4, v8
	v_ashrrev_i32_e32 v4, 31, v4
	v_xor_b32_e32 v8, vcc_hi, v4
	;; [unrolled: 8-line block ×5, first 2 shown]
	v_and_b32_e32 v2, v2, v8
	v_lshlrev_b32_e32 v8, 24, v1
	v_xor_b32_e32 v4, vcc_lo, v4
	v_cmp_gt_i64_e32 vcc, 0, v[7:8]
	v_not_b32_e32 v1, v8
	v_ashrrev_i32_e32 v1, 31, v1
	v_and_b32_e32 v3, v3, v4
	v_xor_b32_e32 v4, vcc_hi, v1
	v_xor_b32_e32 v1, vcc_lo, v1
	v_and_b32_e32 v1, v3, v1
	v_and_b32_e32 v2, v2, v4
	v_mbcnt_lo_u32_b32 v3, v1, 0
	v_mbcnt_hi_u32_b32 v16, v2, v3
	v_cmp_ne_u64_e32 vcc, 0, v[1:2]
	v_cmp_eq_u32_e64 s[24:25], 0, v16
	s_and_b64 s[36:37], vcc, s[24:25]
	s_waitcnt lgkmcnt(0)
	s_barrier
	; wave barrier
	s_and_saveexec_b64 s[24:25], s[36:37]
; %bb.5:                                ;   in Loop: Header=BB106_4 Depth=2
	v_bcnt_u32_b32 v1, v1, 0
	v_bcnt_u32_b32 v1, v2, v1
	ds_write_b32 v15, v1 offset:8
; %bb.6:                                ;   in Loop: Header=BB106_4 Depth=2
	s_or_b64 exec, exec, s[24:25]
	v_lshrrev_b64 v[1:2], v9, v[11:12]
	v_lshlrev_b32_e32 v2, 3, v1
	v_and_b32_e32 v2, 0x7f8, v2
	v_add_u32_e32 v28, v24, v2
	v_and_b32_e32 v2, 1, v1
	v_add_co_u32_e32 v3, vcc, -1, v2
	v_addc_co_u32_e64 v4, s[24:25], 0, -1, vcc
	v_cmp_ne_u32_e32 vcc, 0, v2
	v_lshlrev_b32_e32 v8, 30, v1
	v_xor_b32_e32 v2, vcc_hi, v4
	v_xor_b32_e32 v3, vcc_lo, v3
	v_cmp_gt_i64_e32 vcc, 0, v[7:8]
	v_not_b32_e32 v4, v8
	v_ashrrev_i32_e32 v4, 31, v4
	v_and_b32_e32 v2, exec_hi, v2
	v_xor_b32_e32 v8, vcc_hi, v4
	v_and_b32_e32 v3, exec_lo, v3
	v_xor_b32_e32 v4, vcc_lo, v4
	v_and_b32_e32 v2, v2, v8
	v_lshlrev_b32_e32 v8, 29, v1
	v_and_b32_e32 v3, v3, v4
	v_cmp_gt_i64_e32 vcc, 0, v[7:8]
	v_not_b32_e32 v4, v8
	v_ashrrev_i32_e32 v4, 31, v4
	v_xor_b32_e32 v8, vcc_hi, v4
	v_xor_b32_e32 v4, vcc_lo, v4
	v_and_b32_e32 v2, v2, v8
	v_lshlrev_b32_e32 v8, 28, v1
	v_and_b32_e32 v3, v3, v4
	v_cmp_gt_i64_e32 vcc, 0, v[7:8]
	v_not_b32_e32 v4, v8
	v_ashrrev_i32_e32 v4, 31, v4
	v_xor_b32_e32 v8, vcc_hi, v4
	;; [unrolled: 8-line block ×5, first 2 shown]
	v_and_b32_e32 v2, v2, v8
	v_lshlrev_b32_e32 v8, 24, v1
	v_xor_b32_e32 v4, vcc_lo, v4
	v_cmp_gt_i64_e32 vcc, 0, v[7:8]
	v_not_b32_e32 v1, v8
	v_ashrrev_i32_e32 v1, 31, v1
	v_and_b32_e32 v3, v3, v4
	v_xor_b32_e32 v4, vcc_hi, v1
	v_xor_b32_e32 v1, vcc_lo, v1
	; wave barrier
	ds_read_b32 v27, v28 offset:8
	v_and_b32_e32 v1, v3, v1
	v_and_b32_e32 v2, v2, v4
	v_mbcnt_lo_u32_b32 v3, v1, 0
	v_mbcnt_hi_u32_b32 v29, v2, v3
	v_cmp_ne_u64_e32 vcc, 0, v[1:2]
	v_cmp_eq_u32_e64 s[24:25], 0, v29
	s_and_b64 s[36:37], vcc, s[24:25]
	; wave barrier
	s_and_saveexec_b64 s[24:25], s[36:37]
	s_cbranch_execz .LBB106_8
; %bb.7:                                ;   in Loop: Header=BB106_4 Depth=2
	v_bcnt_u32_b32 v1, v1, 0
	v_bcnt_u32_b32 v1, v2, v1
	s_waitcnt lgkmcnt(0)
	v_add_u32_e32 v1, v27, v1
	ds_write_b32 v28, v1 offset:8
.LBB106_8:                              ;   in Loop: Header=BB106_4 Depth=2
	s_or_b64 exec, exec, s[24:25]
	v_lshrrev_b64 v[1:2], v9, v[5:6]
	v_lshlrev_b32_e32 v2, 3, v1
	v_and_b32_e32 v2, 0x7f8, v2
	v_add_u32_e32 v31, v24, v2
	v_and_b32_e32 v2, 1, v1
	v_add_co_u32_e32 v3, vcc, -1, v2
	v_addc_co_u32_e64 v4, s[24:25], 0, -1, vcc
	v_cmp_ne_u32_e32 vcc, 0, v2
	v_lshlrev_b32_e32 v8, 30, v1
	v_xor_b32_e32 v2, vcc_hi, v4
	v_xor_b32_e32 v3, vcc_lo, v3
	v_cmp_gt_i64_e32 vcc, 0, v[7:8]
	v_not_b32_e32 v4, v8
	v_ashrrev_i32_e32 v4, 31, v4
	v_and_b32_e32 v2, exec_hi, v2
	v_xor_b32_e32 v8, vcc_hi, v4
	v_and_b32_e32 v3, exec_lo, v3
	v_xor_b32_e32 v4, vcc_lo, v4
	v_and_b32_e32 v2, v2, v8
	v_lshlrev_b32_e32 v8, 29, v1
	v_and_b32_e32 v3, v3, v4
	v_cmp_gt_i64_e32 vcc, 0, v[7:8]
	v_not_b32_e32 v4, v8
	v_ashrrev_i32_e32 v4, 31, v4
	v_xor_b32_e32 v8, vcc_hi, v4
	v_xor_b32_e32 v4, vcc_lo, v4
	v_and_b32_e32 v2, v2, v8
	v_lshlrev_b32_e32 v8, 28, v1
	v_and_b32_e32 v3, v3, v4
	v_cmp_gt_i64_e32 vcc, 0, v[7:8]
	v_not_b32_e32 v4, v8
	v_ashrrev_i32_e32 v4, 31, v4
	v_xor_b32_e32 v8, vcc_hi, v4
	;; [unrolled: 8-line block ×5, first 2 shown]
	v_and_b32_e32 v2, v2, v8
	v_lshlrev_b32_e32 v8, 24, v1
	v_xor_b32_e32 v4, vcc_lo, v4
	v_cmp_gt_i64_e32 vcc, 0, v[7:8]
	v_not_b32_e32 v1, v8
	v_ashrrev_i32_e32 v1, 31, v1
	v_and_b32_e32 v3, v3, v4
	v_xor_b32_e32 v4, vcc_hi, v1
	v_xor_b32_e32 v1, vcc_lo, v1
	; wave barrier
	ds_read_b32 v30, v31 offset:8
	v_and_b32_e32 v1, v3, v1
	v_and_b32_e32 v2, v2, v4
	v_mbcnt_lo_u32_b32 v3, v1, 0
	v_mbcnt_hi_u32_b32 v8, v2, v3
	v_cmp_ne_u64_e32 vcc, 0, v[1:2]
	v_cmp_eq_u32_e64 s[24:25], 0, v8
	s_and_b64 s[36:37], vcc, s[24:25]
	; wave barrier
	s_and_saveexec_b64 s[24:25], s[36:37]
	s_cbranch_execz .LBB106_10
; %bb.9:                                ;   in Loop: Header=BB106_4 Depth=2
	v_bcnt_u32_b32 v1, v1, 0
	v_bcnt_u32_b32 v1, v2, v1
	s_waitcnt lgkmcnt(0)
	v_add_u32_e32 v1, v30, v1
	ds_write_b32 v31, v1 offset:8
.LBB106_10:                             ;   in Loop: Header=BB106_4 Depth=2
	s_or_b64 exec, exec, s[24:25]
	; wave barrier
	s_waitcnt lgkmcnt(0)
	s_barrier
	ds_read2_b64 v[1:4], v19 offset0:1 offset1:2
	s_waitcnt lgkmcnt(0)
	v_add_u32_e32 v32, v2, v1
	v_add3_u32 v4, v32, v3, v4
	s_nop 1
	v_mov_b32_dpp v32, v4 row_shr:1 row_mask:0xf bank_mask:0xf
	v_cndmask_b32_e64 v32, v32, 0, s[0:1]
	v_add_u32_e32 v4, v32, v4
	s_nop 1
	v_mov_b32_dpp v32, v4 row_shr:2 row_mask:0xf bank_mask:0xf
	v_cndmask_b32_e64 v32, 0, v32, s[2:3]
	v_add_u32_e32 v4, v4, v32
	;; [unrolled: 4-line block ×4, first 2 shown]
	s_nop 1
	v_mov_b32_dpp v32, v4 row_bcast:15 row_mask:0xf bank_mask:0xf
	v_cndmask_b32_e64 v32, v32, 0, s[8:9]
	v_add_u32_e32 v4, v4, v32
	s_nop 1
	v_mov_b32_dpp v32, v4 row_bcast:31 row_mask:0xf bank_mask:0xf
	v_cndmask_b32_e64 v32, 0, v32, s[10:11]
	v_add_u32_e32 v4, v4, v32
	s_and_saveexec_b64 s[24:25], s[12:13]
; %bb.11:                               ;   in Loop: Header=BB106_4 Depth=2
	ds_write_b32 v21, v4
; %bb.12:                               ;   in Loop: Header=BB106_4 Depth=2
	s_or_b64 exec, exec, s[24:25]
	s_waitcnt lgkmcnt(0)
	s_barrier
	s_and_saveexec_b64 s[24:25], s[14:15]
	s_cbranch_execz .LBB106_14
; %bb.13:                               ;   in Loop: Header=BB106_4 Depth=2
	ds_read_b32 v32, v22
	s_waitcnt lgkmcnt(0)
	s_nop 0
	v_mov_b32_dpp v33, v32 row_shr:1 row_mask:0xf bank_mask:0xf
	v_cndmask_b32_e64 v33, v33, 0, s[22:23]
	v_add_u32_e32 v32, v33, v32
	ds_write_b32 v22, v32
.LBB106_14:                             ;   in Loop: Header=BB106_4 Depth=2
	s_or_b64 exec, exec, s[24:25]
	v_mov_b32_e32 v32, 0
	s_waitcnt lgkmcnt(0)
	s_barrier
	s_and_saveexec_b64 s[24:25], s[16:17]
; %bb.15:                               ;   in Loop: Header=BB106_4 Depth=2
	ds_read_b32 v32, v23
; %bb.16:                               ;   in Loop: Header=BB106_4 Depth=2
	s_or_b64 exec, exec, s[24:25]
	s_waitcnt lgkmcnt(0)
	v_add_u32_e32 v4, v32, v4
	ds_bpermute_b32 v4, v20, v4
	v_cmp_lt_u32_e32 vcc, 55, v9
	s_and_b64 vcc, exec, vcc
	s_mov_b64 s[24:25], -1
	s_waitcnt lgkmcnt(0)
	v_cndmask_b32_e64 v4, v4, v32, s[18:19]
	v_cndmask_b32_e64 v32, v4, 0, s[20:21]
	v_add_u32_e32 v33, v32, v1
	v_add_u32_e32 v1, v33, v2
	;; [unrolled: 1-line block ×3, first 2 shown]
	ds_write2_b64 v19, v[32:33], v[1:2] offset0:1 offset1:2
	s_waitcnt lgkmcnt(0)
	s_barrier
	ds_read_b32 v1, v15 offset:8
	ds_read_b32 v2, v28 offset:8
	;; [unrolled: 1-line block ×3, first 2 shown]
	s_waitcnt lgkmcnt(2)
	v_add_u32_e32 v28, v1, v16
	s_waitcnt lgkmcnt(1)
	v_add3_u32 v27, v29, v27, v2
	s_waitcnt lgkmcnt(0)
	v_add3_u32 v8, v8, v30, v3
                                        ; implicit-def: $vgpr15_vgpr16
                                        ; implicit-def: $vgpr3_vgpr4
	s_cbranch_vccnz .LBB106_3
; %bb.17:                               ;   in Loop: Header=BB106_4 Depth=2
	v_lshlrev_b32_e32 v1, 3, v28
	s_barrier
	ds_write_b64 v1, v[13:14]
	v_lshlrev_b32_e32 v1, 3, v27
	ds_write_b64 v1, v[11:12]
	v_lshlrev_b32_e32 v1, 3, v8
	ds_write_b64 v1, v[5:6]
	s_waitcnt lgkmcnt(0)
	s_barrier
	ds_read2st64_b64 v[1:4], v25 offset1:1
	ds_read_b64 v[15:16], v25 offset:1024
	v_add_co_u32_e32 v9, vcc, 8, v9
	v_addc_co_u32_e32 v10, vcc, 0, v10, vcc
	s_mov_b64 s[24:25], 0
	s_waitcnt lgkmcnt(0)
	s_barrier
	s_branch .LBB106_3
.LBB106_18:
	s_add_u32 s0, s26, s30
	s_addc_u32 s1, s27, s31
	v_lshlrev_b32_e32 v0, 3, v0
	global_store_dwordx2 v0, v[3:4], s[0:1]
	global_store_dwordx2 v0, v[5:6], s[0:1] offset:1024
	global_store_dwordx2 v0, v[8:9], s[0:1] offset:2048
	s_endpgm
	.section	.rodata,"a",@progbits
	.p2align	6, 0x0
	.amdhsa_kernel _Z16sort_keys_kernelI22helper_blocked_blockedxLj128ELj3ELj10EEvPKT0_PS1_
		.amdhsa_group_segment_fixed_size 3072
		.amdhsa_private_segment_fixed_size 0
		.amdhsa_kernarg_size 272
		.amdhsa_user_sgpr_count 6
		.amdhsa_user_sgpr_private_segment_buffer 1
		.amdhsa_user_sgpr_dispatch_ptr 0
		.amdhsa_user_sgpr_queue_ptr 0
		.amdhsa_user_sgpr_kernarg_segment_ptr 1
		.amdhsa_user_sgpr_dispatch_id 0
		.amdhsa_user_sgpr_flat_scratch_init 0
		.amdhsa_user_sgpr_private_segment_size 0
		.amdhsa_uses_dynamic_stack 0
		.amdhsa_system_sgpr_private_segment_wavefront_offset 0
		.amdhsa_system_sgpr_workgroup_id_x 1
		.amdhsa_system_sgpr_workgroup_id_y 0
		.amdhsa_system_sgpr_workgroup_id_z 0
		.amdhsa_system_sgpr_workgroup_info 0
		.amdhsa_system_vgpr_workitem_id 2
		.amdhsa_next_free_vgpr 34
		.amdhsa_next_free_sgpr 61
		.amdhsa_reserve_vcc 1
		.amdhsa_reserve_flat_scratch 0
		.amdhsa_float_round_mode_32 0
		.amdhsa_float_round_mode_16_64 0
		.amdhsa_float_denorm_mode_32 3
		.amdhsa_float_denorm_mode_16_64 3
		.amdhsa_dx10_clamp 1
		.amdhsa_ieee_mode 1
		.amdhsa_fp16_overflow 0
		.amdhsa_exception_fp_ieee_invalid_op 0
		.amdhsa_exception_fp_denorm_src 0
		.amdhsa_exception_fp_ieee_div_zero 0
		.amdhsa_exception_fp_ieee_overflow 0
		.amdhsa_exception_fp_ieee_underflow 0
		.amdhsa_exception_fp_ieee_inexact 0
		.amdhsa_exception_int_div_zero 0
	.end_amdhsa_kernel
	.section	.text._Z16sort_keys_kernelI22helper_blocked_blockedxLj128ELj3ELj10EEvPKT0_PS1_,"axG",@progbits,_Z16sort_keys_kernelI22helper_blocked_blockedxLj128ELj3ELj10EEvPKT0_PS1_,comdat
.Lfunc_end106:
	.size	_Z16sort_keys_kernelI22helper_blocked_blockedxLj128ELj3ELj10EEvPKT0_PS1_, .Lfunc_end106-_Z16sort_keys_kernelI22helper_blocked_blockedxLj128ELj3ELj10EEvPKT0_PS1_
                                        ; -- End function
	.set _Z16sort_keys_kernelI22helper_blocked_blockedxLj128ELj3ELj10EEvPKT0_PS1_.num_vgpr, 34
	.set _Z16sort_keys_kernelI22helper_blocked_blockedxLj128ELj3ELj10EEvPKT0_PS1_.num_agpr, 0
	.set _Z16sort_keys_kernelI22helper_blocked_blockedxLj128ELj3ELj10EEvPKT0_PS1_.numbered_sgpr, 38
	.set _Z16sort_keys_kernelI22helper_blocked_blockedxLj128ELj3ELj10EEvPKT0_PS1_.num_named_barrier, 0
	.set _Z16sort_keys_kernelI22helper_blocked_blockedxLj128ELj3ELj10EEvPKT0_PS1_.private_seg_size, 0
	.set _Z16sort_keys_kernelI22helper_blocked_blockedxLj128ELj3ELj10EEvPKT0_PS1_.uses_vcc, 1
	.set _Z16sort_keys_kernelI22helper_blocked_blockedxLj128ELj3ELj10EEvPKT0_PS1_.uses_flat_scratch, 0
	.set _Z16sort_keys_kernelI22helper_blocked_blockedxLj128ELj3ELj10EEvPKT0_PS1_.has_dyn_sized_stack, 0
	.set _Z16sort_keys_kernelI22helper_blocked_blockedxLj128ELj3ELj10EEvPKT0_PS1_.has_recursion, 0
	.set _Z16sort_keys_kernelI22helper_blocked_blockedxLj128ELj3ELj10EEvPKT0_PS1_.has_indirect_call, 0
	.section	.AMDGPU.csdata,"",@progbits
; Kernel info:
; codeLenInByte = 2248
; TotalNumSgprs: 42
; NumVgprs: 34
; ScratchSize: 0
; MemoryBound: 0
; FloatMode: 240
; IeeeMode: 1
; LDSByteSize: 3072 bytes/workgroup (compile time only)
; SGPRBlocks: 8
; VGPRBlocks: 8
; NumSGPRsForWavesPerEU: 65
; NumVGPRsForWavesPerEU: 34
; Occupancy: 7
; WaveLimiterHint : 1
; COMPUTE_PGM_RSRC2:SCRATCH_EN: 0
; COMPUTE_PGM_RSRC2:USER_SGPR: 6
; COMPUTE_PGM_RSRC2:TRAP_HANDLER: 0
; COMPUTE_PGM_RSRC2:TGID_X_EN: 1
; COMPUTE_PGM_RSRC2:TGID_Y_EN: 0
; COMPUTE_PGM_RSRC2:TGID_Z_EN: 0
; COMPUTE_PGM_RSRC2:TIDIG_COMP_CNT: 2
	.section	.text._Z17sort_pairs_kernelI22helper_blocked_blockedxLj128ELj3ELj10EEvPKT0_PS1_,"axG",@progbits,_Z17sort_pairs_kernelI22helper_blocked_blockedxLj128ELj3ELj10EEvPKT0_PS1_,comdat
	.protected	_Z17sort_pairs_kernelI22helper_blocked_blockedxLj128ELj3ELj10EEvPKT0_PS1_ ; -- Begin function _Z17sort_pairs_kernelI22helper_blocked_blockedxLj128ELj3ELj10EEvPKT0_PS1_
	.globl	_Z17sort_pairs_kernelI22helper_blocked_blockedxLj128ELj3ELj10EEvPKT0_PS1_
	.p2align	8
	.type	_Z17sort_pairs_kernelI22helper_blocked_blockedxLj128ELj3ELj10EEvPKT0_PS1_,@function
_Z17sort_pairs_kernelI22helper_blocked_blockedxLj128ELj3ELj10EEvPKT0_PS1_: ; @_Z17sort_pairs_kernelI22helper_blocked_blockedxLj128ELj3ELj10EEvPKT0_PS1_
; %bb.0:
	s_load_dwordx4 s[24:27], s[4:5], 0x0
	s_load_dword s33, s[4:5], 0x1c
	s_mul_i32 s30, s6, 0x180
	s_mov_b32 s31, 0
	s_lshl_b64 s[28:29], s[30:31], 3
	s_waitcnt lgkmcnt(0)
	s_add_u32 s0, s24, s28
	s_addc_u32 s1, s25, s29
	v_lshlrev_b32_e32 v7, 3, v0
	global_load_dwordx2 v[3:4], v7, s[0:1]
	global_load_dwordx2 v[5:6], v7, s[0:1] offset:1024
	global_load_dwordx2 v[17:18], v7, s[0:1] offset:2048
	v_mbcnt_lo_u32_b32 v7, -1, 0
	v_mbcnt_hi_u32_b32 v7, -1, v7
	v_lshrrev_b32_e32 v8, 6, v0
	v_mul_u32_u24_e32 v12, 0xc0, v8
	v_subrev_co_u32_e64 v19, s[8:9], 1, v7
	v_and_b32_e32 v20, 64, v7
	v_and_b32_e32 v14, 15, v7
	v_lshlrev_b32_e32 v12, 3, v12
	v_cmp_lt_i32_e32 vcc, v19, v20
	v_and_b32_e32 v9, 64, v0
	v_lshlrev_b32_e32 v13, 3, v7
	v_and_b32_e32 v15, 16, v7
	v_cmp_lt_u32_e64 s[6:7], 31, v7
	v_lshlrev_b32_e32 v30, 2, v8
	v_and_b32_e32 v8, 1, v7
	v_cmp_eq_u32_e64 s[10:11], 0, v14
	v_cmp_lt_u32_e64 s[12:13], 1, v14
	v_cmp_lt_u32_e64 s[14:15], 3, v14
	;; [unrolled: 1-line block ×3, first 2 shown]
	v_cndmask_b32_e32 v14, v19, v7, vcc
	v_mad_u32_u24 v35, v7, 24, v12
	v_lshlrev_b32_e32 v29, 4, v0
	v_or_b32_e32 v16, 63, v9
	v_mul_u32_u24_e32 v9, 24, v9
	v_cmp_eq_u32_e64 s[22:23], 0, v8
	s_lshr_b32 s24, s33, 16
	v_mul_u32_u24_e32 v10, 20, v0
	v_mad_i32_i24 v31, v0, -12, v29
	v_add_u32_e32 v33, v13, v9
	s_and_b32 s25, s33, 0xffff
	v_mad_u32_u24 v1, v2, s24, v1
	v_add_u32_e32 v34, v31, v10
	v_mad_u32_u24 v1, v1, s25, v0
	v_add_u32_e32 v36, v13, v12
	v_lshrrev_b32_e32 v1, 4, v1
	v_mov_b32_e32 v11, 0
	v_cmp_gt_u32_e64 s[0:1], 2, v0
	v_cmp_lt_u32_e64 s[2:3], 63, v0
	v_cmp_eq_u32_e64 s[4:5], 0, v0
	s_mov_b32 s34, s31
	s_mov_b32 s35, s31
	;; [unrolled: 1-line block ×3, first 2 shown]
	v_cmp_eq_u32_e64 s[18:19], 0, v15
	v_cmp_eq_u32_e64 s[20:21], v0, v16
	v_add_u32_e32 v32, -4, v30
	v_lshlrev_b32_e32 v37, 2, v14
	v_and_b32_e32 v38, 0xffffffc, v1
	s_mov_b32 s33, s31
	s_waitcnt vmcnt(2)
	v_add_co_u32_e32 v7, vcc, 1, v3
	v_addc_co_u32_e32 v8, vcc, 0, v4, vcc
	s_waitcnt vmcnt(1)
	v_add_co_u32_e32 v9, vcc, 1, v5
	v_addc_co_u32_e32 v10, vcc, 0, v6, vcc
	;; [unrolled: 3-line block ×3, first 2 shown]
	s_branch .LBB107_2
.LBB107_1:                              ;   in Loop: Header=BB107_2 Depth=1
	v_lshlrev_b32_e32 v1, 3, v40
	v_lshlrev_b32_e32 v2, 3, v39
	;; [unrolled: 1-line block ×3, first 2 shown]
	s_barrier
	ds_write_b64 v1, v[23:24]
	ds_write_b64 v2, v[21:22]
	;; [unrolled: 1-line block ×3, first 2 shown]
	s_waitcnt lgkmcnt(0)
	s_barrier
	ds_read2_b64 v[3:6], v34 offset1:1
	ds_read_b64 v[17:18], v34 offset:16
	s_waitcnt lgkmcnt(0)
	s_barrier
	ds_write_b64 v1, v[15:16]
	ds_write_b64 v2, v[13:14]
	;; [unrolled: 1-line block ×3, first 2 shown]
	s_waitcnt lgkmcnt(0)
	s_barrier
	ds_read2_b64 v[7:10], v34 offset1:1
	ds_read_b64 v[12:13], v34 offset:16
	s_add_i32 s33, s33, 1
	v_xor_b32_e32 v4, 0x80000000, v4
	v_xor_b32_e32 v6, 0x80000000, v6
	s_cmp_eq_u32 s33, 10
	v_xor_b32_e32 v18, 0x80000000, v18
	s_cbranch_scc1 .LBB107_18
.LBB107_2:                              ; =>This Loop Header: Depth=1
                                        ;     Child Loop BB107_4 Depth 2
	v_xor_b32_e32 v4, 0x80000000, v4
	v_xor_b32_e32 v6, 0x80000000, v6
	v_xor_b32_e32 v18, 0x80000000, v18
	ds_write2_b64 v35, v[3:4], v[5:6] offset1:1
	ds_write_b64 v35, v[17:18] offset:16
	; wave barrier
	ds_read2st64_b64 v[1:4], v36 offset1:1
	ds_read_b64 v[25:26], v36 offset:1024
	; wave barrier
	s_waitcnt lgkmcnt(5)
	ds_write2_b64 v35, v[7:8], v[9:10] offset1:1
	s_waitcnt lgkmcnt(5)
	ds_write_b64 v35, v[12:13] offset:16
	; wave barrier
	ds_read2st64_b64 v[5:8], v36 offset1:1
	ds_read_b64 v[27:28], v36 offset:1024
	v_mov_b32_e32 v17, 0
	v_mov_b32_e32 v18, 0
	s_waitcnt lgkmcnt(0)
	s_barrier
	s_branch .LBB107_4
.LBB107_3:                              ;   in Loop: Header=BB107_4 Depth=2
	s_andn2_b64 vcc, exec, s[24:25]
	s_cbranch_vccz .LBB107_1
.LBB107_4:                              ;   Parent Loop BB107_2 Depth=1
                                        ; =>  This Inner Loop Header: Depth=2
	v_mov_b32_e32 v22, v4
	v_mov_b32_e32 v24, v2
	;; [unrolled: 1-line block ×8, first 2 shown]
	ds_write2_b64 v29, v[1:2], v[3:4] offset0:1 offset1:2
	v_lshrrev_b64 v[1:2], v17, v[23:24]
	v_mov_b32_e32 v16, v6
	v_lshlrev_b32_e32 v2, 3, v1
	v_and_b32_e32 v2, 0x7f8, v2
	v_mov_b32_e32 v15, v5
	v_add_u32_e32 v5, v38, v2
	v_and_b32_e32 v2, 1, v1
	v_add_co_u32_e32 v3, vcc, -1, v2
	v_addc_co_u32_e64 v4, s[24:25], 0, -1, vcc
	v_cmp_ne_u32_e32 vcc, 0, v2
	v_lshlrev_b32_e32 v12, 30, v1
	v_xor_b32_e32 v2, vcc_hi, v4
	v_xor_b32_e32 v3, vcc_lo, v3
	v_cmp_gt_i64_e32 vcc, 0, v[11:12]
	v_not_b32_e32 v4, v12
	v_ashrrev_i32_e32 v4, 31, v4
	v_and_b32_e32 v3, exec_lo, v3
	v_xor_b32_e32 v6, vcc_hi, v4
	v_xor_b32_e32 v4, vcc_lo, v4
	v_lshlrev_b32_e32 v12, 29, v1
	v_and_b32_e32 v3, v3, v4
	v_cmp_gt_i64_e32 vcc, 0, v[11:12]
	v_not_b32_e32 v4, v12
	v_and_b32_e32 v2, exec_hi, v2
	v_ashrrev_i32_e32 v4, 31, v4
	v_and_b32_e32 v2, v2, v6
	v_xor_b32_e32 v6, vcc_hi, v4
	v_xor_b32_e32 v4, vcc_lo, v4
	v_lshlrev_b32_e32 v12, 28, v1
	v_and_b32_e32 v3, v3, v4
	v_cmp_gt_i64_e32 vcc, 0, v[11:12]
	v_not_b32_e32 v4, v12
	v_ashrrev_i32_e32 v4, 31, v4
	v_and_b32_e32 v2, v2, v6
	v_xor_b32_e32 v6, vcc_hi, v4
	v_xor_b32_e32 v4, vcc_lo, v4
	v_lshlrev_b32_e32 v12, 27, v1
	v_and_b32_e32 v3, v3, v4
	v_cmp_gt_i64_e32 vcc, 0, v[11:12]
	v_not_b32_e32 v4, v12
	;; [unrolled: 8-line block ×4, first 2 shown]
	v_ashrrev_i32_e32 v4, 31, v4
	v_lshlrev_b32_e32 v12, 24, v1
	v_and_b32_e32 v2, v2, v6
	v_xor_b32_e32 v6, vcc_hi, v4
	v_xor_b32_e32 v4, vcc_lo, v4
	v_cmp_gt_i64_e32 vcc, 0, v[11:12]
	v_not_b32_e32 v1, v12
	v_ashrrev_i32_e32 v1, 31, v1
	v_and_b32_e32 v3, v3, v4
	v_xor_b32_e32 v4, vcc_hi, v1
	v_xor_b32_e32 v1, vcc_lo, v1
	v_and_b32_e32 v2, v2, v6
	v_and_b32_e32 v1, v3, v1
	;; [unrolled: 1-line block ×3, first 2 shown]
	v_mbcnt_lo_u32_b32 v3, v1, 0
	v_mbcnt_hi_u32_b32 v6, v2, v3
	v_cmp_ne_u64_e32 vcc, 0, v[1:2]
	v_mov_b32_e32 v19, v25
	v_mov_b32_e32 v9, v27
	;; [unrolled: 1-line block ×3, first 2 shown]
	v_cmp_eq_u32_e64 s[24:25], 0, v6
	v_mov_b32_e32 v20, v26
	v_mov_b32_e32 v10, v28
	v_mov_b32_e32 v13, v7
	s_and_b64 s[36:37], vcc, s[24:25]
	s_waitcnt lgkmcnt(0)
	s_barrier
	; wave barrier
	s_and_saveexec_b64 s[24:25], s[36:37]
; %bb.5:                                ;   in Loop: Header=BB107_4 Depth=2
	v_bcnt_u32_b32 v1, v1, 0
	v_bcnt_u32_b32 v1, v2, v1
	ds_write_b32 v5, v1 offset:8
; %bb.6:                                ;   in Loop: Header=BB107_4 Depth=2
	s_or_b64 exec, exec, s[24:25]
	v_lshrrev_b64 v[1:2], v17, v[21:22]
	v_lshlrev_b32_e32 v2, 3, v1
	v_and_b32_e32 v2, 0x7f8, v2
	v_add_u32_e32 v8, v38, v2
	v_and_b32_e32 v2, 1, v1
	v_add_co_u32_e32 v3, vcc, -1, v2
	v_addc_co_u32_e64 v4, s[24:25], 0, -1, vcc
	v_cmp_ne_u32_e32 vcc, 0, v2
	v_lshlrev_b32_e32 v12, 30, v1
	v_xor_b32_e32 v2, vcc_hi, v4
	v_xor_b32_e32 v3, vcc_lo, v3
	v_cmp_gt_i64_e32 vcc, 0, v[11:12]
	v_not_b32_e32 v4, v12
	v_ashrrev_i32_e32 v4, 31, v4
	v_and_b32_e32 v2, exec_hi, v2
	v_xor_b32_e32 v12, vcc_hi, v4
	v_and_b32_e32 v3, exec_lo, v3
	v_xor_b32_e32 v4, vcc_lo, v4
	v_and_b32_e32 v2, v2, v12
	v_lshlrev_b32_e32 v12, 29, v1
	v_and_b32_e32 v3, v3, v4
	v_cmp_gt_i64_e32 vcc, 0, v[11:12]
	v_not_b32_e32 v4, v12
	v_ashrrev_i32_e32 v4, 31, v4
	v_xor_b32_e32 v12, vcc_hi, v4
	v_xor_b32_e32 v4, vcc_lo, v4
	v_and_b32_e32 v2, v2, v12
	v_lshlrev_b32_e32 v12, 28, v1
	v_and_b32_e32 v3, v3, v4
	v_cmp_gt_i64_e32 vcc, 0, v[11:12]
	v_not_b32_e32 v4, v12
	v_ashrrev_i32_e32 v4, 31, v4
	v_xor_b32_e32 v12, vcc_hi, v4
	;; [unrolled: 8-line block ×5, first 2 shown]
	v_and_b32_e32 v2, v2, v12
	v_lshlrev_b32_e32 v12, 24, v1
	v_xor_b32_e32 v4, vcc_lo, v4
	v_cmp_gt_i64_e32 vcc, 0, v[11:12]
	v_not_b32_e32 v1, v12
	v_ashrrev_i32_e32 v1, 31, v1
	v_and_b32_e32 v3, v3, v4
	v_xor_b32_e32 v4, vcc_hi, v1
	v_xor_b32_e32 v1, vcc_lo, v1
	; wave barrier
	ds_read_b32 v7, v8 offset:8
	v_and_b32_e32 v1, v3, v1
	v_and_b32_e32 v2, v2, v4
	v_mbcnt_lo_u32_b32 v3, v1, 0
	v_mbcnt_hi_u32_b32 v25, v2, v3
	v_cmp_ne_u64_e32 vcc, 0, v[1:2]
	v_cmp_eq_u32_e64 s[24:25], 0, v25
	s_and_b64 s[36:37], vcc, s[24:25]
	; wave barrier
	s_and_saveexec_b64 s[24:25], s[36:37]
	s_cbranch_execz .LBB107_8
; %bb.7:                                ;   in Loop: Header=BB107_4 Depth=2
	v_bcnt_u32_b32 v1, v1, 0
	v_bcnt_u32_b32 v1, v2, v1
	s_waitcnt lgkmcnt(0)
	v_add_u32_e32 v1, v7, v1
	ds_write_b32 v8, v1 offset:8
.LBB107_8:                              ;   in Loop: Header=BB107_4 Depth=2
	s_or_b64 exec, exec, s[24:25]
	v_lshrrev_b64 v[1:2], v17, v[19:20]
	v_lshlrev_b32_e32 v2, 3, v1
	v_and_b32_e32 v2, 0x7f8, v2
	v_add_u32_e32 v27, v38, v2
	v_and_b32_e32 v2, 1, v1
	v_add_co_u32_e32 v3, vcc, -1, v2
	v_addc_co_u32_e64 v4, s[24:25], 0, -1, vcc
	v_cmp_ne_u32_e32 vcc, 0, v2
	v_lshlrev_b32_e32 v12, 30, v1
	v_xor_b32_e32 v2, vcc_hi, v4
	v_xor_b32_e32 v3, vcc_lo, v3
	v_cmp_gt_i64_e32 vcc, 0, v[11:12]
	v_not_b32_e32 v4, v12
	v_ashrrev_i32_e32 v4, 31, v4
	v_and_b32_e32 v2, exec_hi, v2
	v_xor_b32_e32 v12, vcc_hi, v4
	v_and_b32_e32 v3, exec_lo, v3
	v_xor_b32_e32 v4, vcc_lo, v4
	v_and_b32_e32 v2, v2, v12
	v_lshlrev_b32_e32 v12, 29, v1
	v_and_b32_e32 v3, v3, v4
	v_cmp_gt_i64_e32 vcc, 0, v[11:12]
	v_not_b32_e32 v4, v12
	v_ashrrev_i32_e32 v4, 31, v4
	v_xor_b32_e32 v12, vcc_hi, v4
	v_xor_b32_e32 v4, vcc_lo, v4
	v_and_b32_e32 v2, v2, v12
	v_lshlrev_b32_e32 v12, 28, v1
	v_and_b32_e32 v3, v3, v4
	v_cmp_gt_i64_e32 vcc, 0, v[11:12]
	v_not_b32_e32 v4, v12
	v_ashrrev_i32_e32 v4, 31, v4
	v_xor_b32_e32 v12, vcc_hi, v4
	;; [unrolled: 8-line block ×5, first 2 shown]
	v_and_b32_e32 v2, v2, v12
	v_lshlrev_b32_e32 v12, 24, v1
	v_xor_b32_e32 v4, vcc_lo, v4
	v_cmp_gt_i64_e32 vcc, 0, v[11:12]
	v_not_b32_e32 v1, v12
	v_ashrrev_i32_e32 v1, 31, v1
	v_and_b32_e32 v3, v3, v4
	v_xor_b32_e32 v4, vcc_hi, v1
	v_xor_b32_e32 v1, vcc_lo, v1
	; wave barrier
	ds_read_b32 v26, v27 offset:8
	v_and_b32_e32 v1, v3, v1
	v_and_b32_e32 v2, v2, v4
	v_mbcnt_lo_u32_b32 v3, v1, 0
	v_mbcnt_hi_u32_b32 v12, v2, v3
	v_cmp_ne_u64_e32 vcc, 0, v[1:2]
	v_cmp_eq_u32_e64 s[24:25], 0, v12
	s_and_b64 s[36:37], vcc, s[24:25]
	; wave barrier
	s_and_saveexec_b64 s[24:25], s[36:37]
	s_cbranch_execz .LBB107_10
; %bb.9:                                ;   in Loop: Header=BB107_4 Depth=2
	v_bcnt_u32_b32 v1, v1, 0
	v_bcnt_u32_b32 v1, v2, v1
	s_waitcnt lgkmcnt(0)
	v_add_u32_e32 v1, v26, v1
	ds_write_b32 v27, v1 offset:8
.LBB107_10:                             ;   in Loop: Header=BB107_4 Depth=2
	s_or_b64 exec, exec, s[24:25]
	; wave barrier
	s_waitcnt lgkmcnt(0)
	s_barrier
	ds_read2_b64 v[1:4], v29 offset0:1 offset1:2
	s_waitcnt lgkmcnt(0)
	v_add_u32_e32 v28, v2, v1
	v_add3_u32 v4, v28, v3, v4
	s_nop 1
	v_mov_b32_dpp v28, v4 row_shr:1 row_mask:0xf bank_mask:0xf
	v_cndmask_b32_e64 v28, v28, 0, s[10:11]
	v_add_u32_e32 v4, v28, v4
	s_nop 1
	v_mov_b32_dpp v28, v4 row_shr:2 row_mask:0xf bank_mask:0xf
	v_cndmask_b32_e64 v28, 0, v28, s[12:13]
	v_add_u32_e32 v4, v4, v28
	;; [unrolled: 4-line block ×4, first 2 shown]
	s_nop 1
	v_mov_b32_dpp v28, v4 row_bcast:15 row_mask:0xf bank_mask:0xf
	v_cndmask_b32_e64 v28, v28, 0, s[18:19]
	v_add_u32_e32 v4, v4, v28
	s_nop 1
	v_mov_b32_dpp v28, v4 row_bcast:31 row_mask:0xf bank_mask:0xf
	v_cndmask_b32_e64 v28, 0, v28, s[6:7]
	v_add_u32_e32 v4, v4, v28
	s_and_saveexec_b64 s[24:25], s[20:21]
; %bb.11:                               ;   in Loop: Header=BB107_4 Depth=2
	ds_write_b32 v30, v4
; %bb.12:                               ;   in Loop: Header=BB107_4 Depth=2
	s_or_b64 exec, exec, s[24:25]
	s_waitcnt lgkmcnt(0)
	s_barrier
	s_and_saveexec_b64 s[24:25], s[0:1]
	s_cbranch_execz .LBB107_14
; %bb.13:                               ;   in Loop: Header=BB107_4 Depth=2
	ds_read_b32 v28, v31
	s_waitcnt lgkmcnt(0)
	s_nop 0
	v_mov_b32_dpp v39, v28 row_shr:1 row_mask:0xf bank_mask:0xf
	v_cndmask_b32_e64 v39, v39, 0, s[22:23]
	v_add_u32_e32 v28, v39, v28
	ds_write_b32 v31, v28
.LBB107_14:                             ;   in Loop: Header=BB107_4 Depth=2
	s_or_b64 exec, exec, s[24:25]
	v_mov_b32_e32 v28, 0
	s_waitcnt lgkmcnt(0)
	s_barrier
	s_and_saveexec_b64 s[24:25], s[2:3]
; %bb.15:                               ;   in Loop: Header=BB107_4 Depth=2
	ds_read_b32 v28, v32
; %bb.16:                               ;   in Loop: Header=BB107_4 Depth=2
	s_or_b64 exec, exec, s[24:25]
	s_waitcnt lgkmcnt(0)
	v_add_u32_e32 v4, v28, v4
	ds_bpermute_b32 v4, v37, v4
	v_cmp_lt_u32_e32 vcc, 55, v17
	s_and_b64 vcc, exec, vcc
	s_mov_b64 s[24:25], -1
	s_waitcnt lgkmcnt(0)
	v_cndmask_b32_e64 v4, v4, v28, s[8:9]
	v_cndmask_b32_e64 v39, v4, 0, s[4:5]
	v_add_u32_e32 v40, v39, v1
	v_add_u32_e32 v1, v40, v2
	;; [unrolled: 1-line block ×3, first 2 shown]
	ds_write2_b64 v29, v[39:40], v[1:2] offset0:1 offset1:2
	s_waitcnt lgkmcnt(0)
	s_barrier
	ds_read_b32 v1, v5 offset:8
	ds_read_b32 v2, v8 offset:8
	;; [unrolled: 1-line block ×3, first 2 shown]
                                        ; implicit-def: $vgpr27_vgpr28
	s_waitcnt lgkmcnt(2)
	v_add_u32_e32 v40, v1, v6
	s_waitcnt lgkmcnt(1)
	v_add3_u32 v39, v25, v7, v2
	s_waitcnt lgkmcnt(0)
	v_add3_u32 v12, v12, v26, v3
                                        ; implicit-def: $vgpr25_vgpr26
                                        ; implicit-def: $vgpr3_vgpr4
                                        ; implicit-def: $vgpr7_vgpr8
	s_cbranch_vccnz .LBB107_3
; %bb.17:                               ;   in Loop: Header=BB107_4 Depth=2
	v_lshlrev_b32_e32 v5, 3, v40
	v_lshlrev_b32_e32 v6, 3, v39
	v_lshlrev_b32_e32 v7, 3, v12
	s_barrier
	ds_write_b64 v5, v[23:24]
	ds_write_b64 v6, v[21:22]
	;; [unrolled: 1-line block ×3, first 2 shown]
	s_waitcnt lgkmcnt(0)
	s_barrier
	ds_read2st64_b64 v[1:4], v33 offset1:1
	ds_read_b64 v[25:26], v33 offset:1024
	s_waitcnt lgkmcnt(0)
	s_barrier
	ds_write_b64 v5, v[15:16]
	ds_write_b64 v6, v[13:14]
	;; [unrolled: 1-line block ×3, first 2 shown]
	s_waitcnt lgkmcnt(0)
	s_barrier
	ds_read2st64_b64 v[5:8], v33 offset1:1
	ds_read_b64 v[27:28], v33 offset:1024
	v_add_co_u32_e32 v17, vcc, 8, v17
	v_addc_co_u32_e32 v18, vcc, 0, v18, vcc
	s_mov_b64 s[24:25], 0
	s_waitcnt lgkmcnt(0)
	s_barrier
	s_branch .LBB107_3
.LBB107_18:
	s_waitcnt lgkmcnt(1)
	v_add_co_u32_e32 v1, vcc, v3, v7
	v_addc_co_u32_e32 v2, vcc, v4, v8, vcc
	v_add_co_u32_e32 v3, vcc, v5, v9
	v_addc_co_u32_e32 v4, vcc, v6, v10, vcc
	s_add_u32 s0, s26, s28
	s_waitcnt lgkmcnt(0)
	v_add_co_u32_e32 v5, vcc, v17, v12
	s_addc_u32 s1, s27, s29
	v_lshlrev_b32_e32 v0, 3, v0
	v_addc_co_u32_e32 v6, vcc, v18, v13, vcc
	global_store_dwordx2 v0, v[1:2], s[0:1]
	global_store_dwordx2 v0, v[3:4], s[0:1] offset:1024
	global_store_dwordx2 v0, v[5:6], s[0:1] offset:2048
	s_endpgm
	.section	.rodata,"a",@progbits
	.p2align	6, 0x0
	.amdhsa_kernel _Z17sort_pairs_kernelI22helper_blocked_blockedxLj128ELj3ELj10EEvPKT0_PS1_
		.amdhsa_group_segment_fixed_size 3072
		.amdhsa_private_segment_fixed_size 0
		.amdhsa_kernarg_size 272
		.amdhsa_user_sgpr_count 6
		.amdhsa_user_sgpr_private_segment_buffer 1
		.amdhsa_user_sgpr_dispatch_ptr 0
		.amdhsa_user_sgpr_queue_ptr 0
		.amdhsa_user_sgpr_kernarg_segment_ptr 1
		.amdhsa_user_sgpr_dispatch_id 0
		.amdhsa_user_sgpr_flat_scratch_init 0
		.amdhsa_user_sgpr_private_segment_size 0
		.amdhsa_uses_dynamic_stack 0
		.amdhsa_system_sgpr_private_segment_wavefront_offset 0
		.amdhsa_system_sgpr_workgroup_id_x 1
		.amdhsa_system_sgpr_workgroup_id_y 0
		.amdhsa_system_sgpr_workgroup_id_z 0
		.amdhsa_system_sgpr_workgroup_info 0
		.amdhsa_system_vgpr_workitem_id 2
		.amdhsa_next_free_vgpr 41
		.amdhsa_next_free_sgpr 61
		.amdhsa_reserve_vcc 1
		.amdhsa_reserve_flat_scratch 0
		.amdhsa_float_round_mode_32 0
		.amdhsa_float_round_mode_16_64 0
		.amdhsa_float_denorm_mode_32 3
		.amdhsa_float_denorm_mode_16_64 3
		.amdhsa_dx10_clamp 1
		.amdhsa_ieee_mode 1
		.amdhsa_fp16_overflow 0
		.amdhsa_exception_fp_ieee_invalid_op 0
		.amdhsa_exception_fp_denorm_src 0
		.amdhsa_exception_fp_ieee_div_zero 0
		.amdhsa_exception_fp_ieee_overflow 0
		.amdhsa_exception_fp_ieee_underflow 0
		.amdhsa_exception_fp_ieee_inexact 0
		.amdhsa_exception_int_div_zero 0
	.end_amdhsa_kernel
	.section	.text._Z17sort_pairs_kernelI22helper_blocked_blockedxLj128ELj3ELj10EEvPKT0_PS1_,"axG",@progbits,_Z17sort_pairs_kernelI22helper_blocked_blockedxLj128ELj3ELj10EEvPKT0_PS1_,comdat
.Lfunc_end107:
	.size	_Z17sort_pairs_kernelI22helper_blocked_blockedxLj128ELj3ELj10EEvPKT0_PS1_, .Lfunc_end107-_Z17sort_pairs_kernelI22helper_blocked_blockedxLj128ELj3ELj10EEvPKT0_PS1_
                                        ; -- End function
	.set _Z17sort_pairs_kernelI22helper_blocked_blockedxLj128ELj3ELj10EEvPKT0_PS1_.num_vgpr, 41
	.set _Z17sort_pairs_kernelI22helper_blocked_blockedxLj128ELj3ELj10EEvPKT0_PS1_.num_agpr, 0
	.set _Z17sort_pairs_kernelI22helper_blocked_blockedxLj128ELj3ELj10EEvPKT0_PS1_.numbered_sgpr, 38
	.set _Z17sort_pairs_kernelI22helper_blocked_blockedxLj128ELj3ELj10EEvPKT0_PS1_.num_named_barrier, 0
	.set _Z17sort_pairs_kernelI22helper_blocked_blockedxLj128ELj3ELj10EEvPKT0_PS1_.private_seg_size, 0
	.set _Z17sort_pairs_kernelI22helper_blocked_blockedxLj128ELj3ELj10EEvPKT0_PS1_.uses_vcc, 1
	.set _Z17sort_pairs_kernelI22helper_blocked_blockedxLj128ELj3ELj10EEvPKT0_PS1_.uses_flat_scratch, 0
	.set _Z17sort_pairs_kernelI22helper_blocked_blockedxLj128ELj3ELj10EEvPKT0_PS1_.has_dyn_sized_stack, 0
	.set _Z17sort_pairs_kernelI22helper_blocked_blockedxLj128ELj3ELj10EEvPKT0_PS1_.has_recursion, 0
	.set _Z17sort_pairs_kernelI22helper_blocked_blockedxLj128ELj3ELj10EEvPKT0_PS1_.has_indirect_call, 0
	.section	.AMDGPU.csdata,"",@progbits
; Kernel info:
; codeLenInByte = 2468
; TotalNumSgprs: 42
; NumVgprs: 41
; ScratchSize: 0
; MemoryBound: 0
; FloatMode: 240
; IeeeMode: 1
; LDSByteSize: 3072 bytes/workgroup (compile time only)
; SGPRBlocks: 8
; VGPRBlocks: 10
; NumSGPRsForWavesPerEU: 65
; NumVGPRsForWavesPerEU: 41
; Occupancy: 5
; WaveLimiterHint : 1
; COMPUTE_PGM_RSRC2:SCRATCH_EN: 0
; COMPUTE_PGM_RSRC2:USER_SGPR: 6
; COMPUTE_PGM_RSRC2:TRAP_HANDLER: 0
; COMPUTE_PGM_RSRC2:TGID_X_EN: 1
; COMPUTE_PGM_RSRC2:TGID_Y_EN: 0
; COMPUTE_PGM_RSRC2:TGID_Z_EN: 0
; COMPUTE_PGM_RSRC2:TIDIG_COMP_CNT: 2
	.section	.text._Z16sort_keys_kernelI22helper_blocked_blockedxLj128ELj4ELj10EEvPKT0_PS1_,"axG",@progbits,_Z16sort_keys_kernelI22helper_blocked_blockedxLj128ELj4ELj10EEvPKT0_PS1_,comdat
	.protected	_Z16sort_keys_kernelI22helper_blocked_blockedxLj128ELj4ELj10EEvPKT0_PS1_ ; -- Begin function _Z16sort_keys_kernelI22helper_blocked_blockedxLj128ELj4ELj10EEvPKT0_PS1_
	.globl	_Z16sort_keys_kernelI22helper_blocked_blockedxLj128ELj4ELj10EEvPKT0_PS1_
	.p2align	8
	.type	_Z16sort_keys_kernelI22helper_blocked_blockedxLj128ELj4ELj10EEvPKT0_PS1_,@function
_Z16sort_keys_kernelI22helper_blocked_blockedxLj128ELj4ELj10EEvPKT0_PS1_: ; @_Z16sort_keys_kernelI22helper_blocked_blockedxLj128ELj4ELj10EEvPKT0_PS1_
; %bb.0:
	s_load_dwordx4 s[36:39], s[4:5], 0x0
	s_load_dword s8, s[4:5], 0x1c
	s_lshl_b32 s40, s6, 9
	s_mov_b32 s41, 0
	s_lshl_b64 s[42:43], s[40:41], 3
	s_waitcnt lgkmcnt(0)
	s_add_u32 s0, s36, s42
	s_addc_u32 s1, s37, s43
	v_lshlrev_b32_e32 v11, 3, v0
	global_load_dwordx2 v[7:8], v11, s[0:1]
	global_load_dwordx2 v[9:10], v11, s[0:1] offset:1024
	global_load_dwordx2 v[3:4], v11, s[0:1] offset:2048
	;; [unrolled: 1-line block ×3, first 2 shown]
	v_mbcnt_lo_u32_b32 v11, -1, 0
	v_mbcnt_hi_u32_b32 v11, -1, v11
	s_lshr_b32 s9, s8, 16
	s_and_b32 s8, s8, 0xffff
	v_mad_u32_u24 v1, v2, s9, v1
	v_and_b32_e32 v2, 15, v11
	v_mad_u32_u24 v1, v1, s8, v0
	v_cmp_eq_u32_e64 s[8:9], 0, v2
	v_cmp_lt_u32_e64 s[10:11], 1, v2
	v_cmp_lt_u32_e64 s[12:13], 3, v2
	;; [unrolled: 1-line block ×3, first 2 shown]
	v_and_b32_e32 v2, 16, v11
	v_and_b32_e32 v13, 3, v11
	v_cmp_eq_u32_e64 s[16:17], 0, v2
	v_or_b32_e32 v2, 63, v0
	v_cmp_eq_u32_e64 s[0:1], 3, v13
	v_cmp_eq_u32_e64 s[2:3], 2, v13
	;; [unrolled: 1-line block ×4, first 2 shown]
	v_and_b32_e32 v13, 64, v11
	v_cmp_eq_u32_e64 s[20:21], v0, v2
	v_subrev_co_u32_e64 v2, s[26:27], 1, v11
	v_cmp_lt_i32_e32 vcc, v2, v13
	v_cndmask_b32_e32 v2, v2, v11, vcc
	v_lshlrev_b32_e32 v31, 2, v2
	v_lshrrev_b32_e32 v2, 4, v0
	v_lshrrev_b32_e32 v12, 2, v11
	v_and_b32_e32 v32, 4, v2
	v_and_b32_e32 v2, 1, v11
	v_or_b32_e32 v15, v12, v13
	v_add_u32_e32 v12, 48, v12
	v_lshlrev_b32_e32 v30, 4, v0
	v_cmp_eq_u32_e64 s[30:31], 0, v2
	v_lshlrev_b32_e32 v2, 5, v0
	v_lshrrev_b32_e32 v1, 4, v1
	s_mov_b32 s40, s41
	s_mov_b32 s34, s41
	v_lshlrev_b32_e32 v26, 2, v15
	v_and_or_b32 v12, v12, 63, v13
	v_mad_i32_i24 v33, v0, -12, v30
	v_and_b32_e32 v2, 0x800, v2
	v_and_b32_e32 v36, 0xffffffc, v1
	v_mul_u32_u24_e32 v1, 28, v0
	s_mov_b32 s35, s41
	v_mov_b32_e32 v16, s40
	v_mov_b32_e32 v18, s34
	;; [unrolled: 1-line block ×3, first 2 shown]
	v_add_u32_e32 v27, 64, v26
	v_or_b32_e32 v28, 0x80, v26
	v_lshlrev_b32_e32 v29, 2, v12
	v_cmp_lt_u32_e64 s[18:19], 31, v11
	v_cmp_gt_u32_e64 s[22:23], 2, v0
	v_cmp_lt_u32_e64 s[24:25], 63, v0
	v_cmp_eq_u32_e64 s[28:29], 0, v0
	v_add_u32_e32 v34, -4, v32
	v_lshl_or_b32 v35, v11, 3, v2
	v_mov_b32_e32 v17, s41
	v_add_u32_e32 v37, v33, v1
	v_mov_b32_e32 v19, s35
	s_branch .LBB108_2
.LBB108_1:                              ;   in Loop: Header=BB108_2 Depth=1
	v_lshlrev_b32_e32 v1, 3, v42
	s_barrier
	ds_write_b64 v1, v[24:25]
	v_lshlrev_b32_e32 v1, 3, v39
	ds_write_b64 v1, v[22:23]
	v_lshlrev_b32_e32 v1, 3, v38
	;; [unrolled: 2-line block ×3, first 2 shown]
	ds_write_b64 v1, v[5:6]
	s_waitcnt lgkmcnt(0)
	s_barrier
	ds_read2_b64 v[7:10], v37 offset1:1
	ds_read2_b64 v[3:6], v37 offset0:2 offset1:3
	s_add_i32 s41, s41, 1
	s_cmp_eq_u32 s41, 10
	s_waitcnt lgkmcnt(1)
	v_xor_b32_e32 v8, 0x80000000, v8
	v_xor_b32_e32 v10, 0x80000000, v10
	s_waitcnt lgkmcnt(0)
	v_xor_b32_e32 v4, 0x80000000, v4
	v_xor_b32_e32 v6, 0x80000000, v6
	s_cbranch_scc1 .LBB108_20
.LBB108_2:                              ; =>This Loop Header: Depth=1
                                        ;     Child Loop BB108_4 Depth 2
	s_waitcnt vmcnt(3)
	v_xor_b32_e32 v1, 0x80000000, v8
	ds_bpermute_b32 v2, v26, v7
	ds_bpermute_b32 v8, v26, v1
	s_waitcnt vmcnt(2)
	v_xor_b32_e32 v15, 0x80000000, v10
	ds_bpermute_b32 v10, v26, v9
	ds_bpermute_b32 v11, v26, v15
	s_waitcnt vmcnt(1)
	v_xor_b32_e32 v4, 0x80000000, v4
	s_waitcnt lgkmcnt(3)
	v_cndmask_b32_e64 v2, 0, v2, s[6:7]
	ds_bpermute_b32 v12, v26, v4
	ds_bpermute_b32 v13, v26, v3
	s_waitcnt lgkmcnt(4)
	v_cndmask_b32_e64 v8, 0, v8, s[6:7]
	s_waitcnt lgkmcnt(3)
	v_cndmask_b32_e64 v2, v2, v10, s[4:5]
	s_waitcnt vmcnt(0)
	ds_bpermute_b32 v10, v26, v5
	v_xor_b32_e32 v6, 0x80000000, v6
	s_waitcnt lgkmcnt(3)
	v_cndmask_b32_e64 v8, v8, v11, s[4:5]
	ds_bpermute_b32 v11, v26, v6
	s_waitcnt lgkmcnt(3)
	v_cndmask_b32_e64 v8, v8, v12, s[2:3]
	s_waitcnt lgkmcnt(2)
	v_cndmask_b32_e64 v2, v2, v13, s[2:3]
	ds_bpermute_b32 v12, v27, v7
	s_waitcnt lgkmcnt(2)
	v_cndmask_b32_e64 v10, v2, v10, s[0:1]
	ds_bpermute_b32 v2, v27, v1
	ds_bpermute_b32 v13, v27, v9
	s_waitcnt lgkmcnt(3)
	v_cndmask_b32_e64 v11, v8, v11, s[0:1]
	ds_bpermute_b32 v8, v27, v15
	s_waitcnt lgkmcnt(3)
	v_cndmask_b32_e64 v12, 0, v12, s[6:7]
	s_waitcnt lgkmcnt(2)
	v_cndmask_b32_e64 v2, 0, v2, s[6:7]
	;; [unrolled: 2-line block ×3, first 2 shown]
	ds_bpermute_b32 v13, v27, v4
	s_waitcnt lgkmcnt(1)
	v_cndmask_b32_e64 v2, v2, v8, s[4:5]
	ds_bpermute_b32 v8, v27, v3
	ds_bpermute_b32 v21, v27, v6
	;; [unrolled: 1-line block ×4, first 2 shown]
	s_waitcnt lgkmcnt(4)
	v_cndmask_b32_e64 v2, v2, v13, s[2:3]
	s_waitcnt lgkmcnt(3)
	v_cndmask_b32_e64 v8, v12, v8, s[2:3]
	;; [unrolled: 2-line block ×3, first 2 shown]
	ds_bpermute_b32 v2, v28, v7
	ds_bpermute_b32 v21, v28, v15
	s_waitcnt lgkmcnt(3)
	v_cndmask_b32_e64 v12, v8, v20, s[0:1]
	s_waitcnt lgkmcnt(2)
	v_cndmask_b32_e64 v8, 0, v22, s[6:7]
	ds_bpermute_b32 v20, v28, v9
	ds_bpermute_b32 v22, v28, v4
	s_waitcnt lgkmcnt(3)
	v_cndmask_b32_e64 v2, 0, v2, s[6:7]
	ds_bpermute_b32 v23, v28, v3
	s_waitcnt lgkmcnt(3)
	v_cndmask_b32_e64 v8, v8, v21, s[4:5]
	s_waitcnt lgkmcnt(2)
	v_cndmask_b32_e64 v2, v2, v20, s[4:5]
	;; [unrolled: 2-line block ×3, first 2 shown]
	ds_bpermute_b32 v20, v28, v5
	ds_bpermute_b32 v21, v28, v6
	;; [unrolled: 1-line block ×10, first 2 shown]
	s_waitcnt lgkmcnt(10)
	v_cndmask_b32_e64 v2, v2, v23, s[2:3]
	s_waitcnt lgkmcnt(9)
	v_cndmask_b32_e64 v1, v2, v20, s[0:1]
	;; [unrolled: 2-line block ×9, first 2 shown]
	v_mov_b32_e32 v20, 0
	s_waitcnt lgkmcnt(1)
	v_cndmask_b32_e64 v3, v3, v5, s[0:1]
	s_waitcnt lgkmcnt(0)
	v_cndmask_b32_e64 v4, v4, v6, s[0:1]
	v_mov_b32_e32 v21, 0
	s_barrier
	s_branch .LBB108_4
.LBB108_3:                              ;   in Loop: Header=BB108_4 Depth=2
	s_andn2_b64 vcc, exec, s[34:35]
	s_cbranch_vccz .LBB108_1
.LBB108_4:                              ;   Parent Loop BB108_2 Depth=1
                                        ; =>  This Inner Loop Header: Depth=2
	v_mov_b32_e32 v25, v11
	v_mov_b32_e32 v8, v2
	;; [unrolled: 1-line block ×4, first 2 shown]
	v_lshrrev_b64 v[1:2], v20, v[24:25]
	v_mov_b32_e32 v6, v4
	v_lshlrev_b32_e32 v2, 3, v1
	v_and_b32_e32 v2, 0x7f8, v2
	v_add_u32_e32 v9, v36, v2
	v_and_b32_e32 v2, 1, v1
	v_mov_b32_e32 v5, v3
	v_add_co_u32_e32 v3, vcc, -1, v2
	v_addc_co_u32_e64 v4, s[34:35], 0, -1, vcc
	v_cmp_ne_u32_e32 vcc, 0, v2
	v_lshlrev_b32_e32 v15, 30, v1
	v_xor_b32_e32 v2, vcc_hi, v4
	v_xor_b32_e32 v3, vcc_lo, v3
	v_cmp_gt_i64_e32 vcc, 0, v[14:15]
	v_not_b32_e32 v4, v15
	v_ashrrev_i32_e32 v4, 31, v4
	v_and_b32_e32 v3, exec_lo, v3
	v_xor_b32_e32 v10, vcc_hi, v4
	v_xor_b32_e32 v4, vcc_lo, v4
	v_lshlrev_b32_e32 v15, 29, v1
	v_and_b32_e32 v3, v3, v4
	v_cmp_gt_i64_e32 vcc, 0, v[14:15]
	v_not_b32_e32 v4, v15
	v_and_b32_e32 v2, exec_hi, v2
	v_ashrrev_i32_e32 v4, 31, v4
	v_and_b32_e32 v2, v2, v10
	v_xor_b32_e32 v10, vcc_hi, v4
	v_xor_b32_e32 v4, vcc_lo, v4
	v_lshlrev_b32_e32 v15, 28, v1
	v_and_b32_e32 v3, v3, v4
	v_cmp_gt_i64_e32 vcc, 0, v[14:15]
	v_not_b32_e32 v4, v15
	v_ashrrev_i32_e32 v4, 31, v4
	v_and_b32_e32 v2, v2, v10
	v_xor_b32_e32 v10, vcc_hi, v4
	v_xor_b32_e32 v4, vcc_lo, v4
	v_lshlrev_b32_e32 v15, 27, v1
	v_and_b32_e32 v3, v3, v4
	v_cmp_gt_i64_e32 vcc, 0, v[14:15]
	v_not_b32_e32 v4, v15
	;; [unrolled: 8-line block ×4, first 2 shown]
	v_ashrrev_i32_e32 v4, 31, v4
	v_lshlrev_b32_e32 v15, 24, v1
	v_and_b32_e32 v2, v2, v10
	v_xor_b32_e32 v10, vcc_hi, v4
	v_xor_b32_e32 v4, vcc_lo, v4
	v_cmp_gt_i64_e32 vcc, 0, v[14:15]
	v_not_b32_e32 v1, v15
	v_ashrrev_i32_e32 v1, 31, v1
	v_and_b32_e32 v3, v3, v4
	v_xor_b32_e32 v4, vcc_hi, v1
	v_xor_b32_e32 v1, vcc_lo, v1
	v_and_b32_e32 v2, v2, v10
	v_and_b32_e32 v1, v3, v1
	;; [unrolled: 1-line block ×3, first 2 shown]
	v_mbcnt_lo_u32_b32 v3, v1, 0
	v_mbcnt_hi_u32_b32 v10, v2, v3
	v_cmp_ne_u64_e32 vcc, 0, v[1:2]
	v_mov_b32_e32 v23, v13
	v_cmp_eq_u32_e64 s[34:35], 0, v10
	v_mov_b32_e32 v22, v12
	s_and_b64 s[36:37], vcc, s[34:35]
	ds_write2_b64 v30, v[16:17], v[18:19] offset0:1 offset1:2
	s_waitcnt lgkmcnt(0)
	s_barrier
	; wave barrier
	s_and_saveexec_b64 s[34:35], s[36:37]
; %bb.5:                                ;   in Loop: Header=BB108_4 Depth=2
	v_bcnt_u32_b32 v1, v1, 0
	v_bcnt_u32_b32 v1, v2, v1
	ds_write_b32 v9, v1 offset:8
; %bb.6:                                ;   in Loop: Header=BB108_4 Depth=2
	s_or_b64 exec, exec, s[34:35]
	v_lshrrev_b64 v[1:2], v20, v[22:23]
	v_lshlrev_b32_e32 v2, 3, v1
	v_and_b32_e32 v2, 0x7f8, v2
	v_add_u32_e32 v12, v36, v2
	v_and_b32_e32 v2, 1, v1
	v_add_co_u32_e32 v3, vcc, -1, v2
	v_addc_co_u32_e64 v4, s[34:35], 0, -1, vcc
	v_cmp_ne_u32_e32 vcc, 0, v2
	v_lshlrev_b32_e32 v15, 30, v1
	v_xor_b32_e32 v2, vcc_hi, v4
	v_xor_b32_e32 v3, vcc_lo, v3
	v_cmp_gt_i64_e32 vcc, 0, v[14:15]
	v_not_b32_e32 v4, v15
	v_ashrrev_i32_e32 v4, 31, v4
	v_and_b32_e32 v3, exec_lo, v3
	v_xor_b32_e32 v13, vcc_hi, v4
	v_xor_b32_e32 v4, vcc_lo, v4
	v_lshlrev_b32_e32 v15, 29, v1
	v_and_b32_e32 v3, v3, v4
	v_cmp_gt_i64_e32 vcc, 0, v[14:15]
	v_not_b32_e32 v4, v15
	v_and_b32_e32 v2, exec_hi, v2
	v_ashrrev_i32_e32 v4, 31, v4
	v_and_b32_e32 v2, v2, v13
	v_xor_b32_e32 v13, vcc_hi, v4
	v_xor_b32_e32 v4, vcc_lo, v4
	v_lshlrev_b32_e32 v15, 28, v1
	v_and_b32_e32 v3, v3, v4
	v_cmp_gt_i64_e32 vcc, 0, v[14:15]
	v_not_b32_e32 v4, v15
	v_ashrrev_i32_e32 v4, 31, v4
	v_and_b32_e32 v2, v2, v13
	v_xor_b32_e32 v13, vcc_hi, v4
	v_xor_b32_e32 v4, vcc_lo, v4
	v_lshlrev_b32_e32 v15, 27, v1
	v_and_b32_e32 v3, v3, v4
	v_cmp_gt_i64_e32 vcc, 0, v[14:15]
	v_not_b32_e32 v4, v15
	;; [unrolled: 8-line block ×4, first 2 shown]
	v_ashrrev_i32_e32 v4, 31, v4
	v_lshlrev_b32_e32 v15, 24, v1
	v_and_b32_e32 v2, v2, v13
	v_xor_b32_e32 v13, vcc_hi, v4
	v_xor_b32_e32 v4, vcc_lo, v4
	v_cmp_gt_i64_e32 vcc, 0, v[14:15]
	v_not_b32_e32 v1, v15
	v_ashrrev_i32_e32 v1, 31, v1
	v_and_b32_e32 v3, v3, v4
	v_xor_b32_e32 v4, vcc_hi, v1
	v_xor_b32_e32 v1, vcc_lo, v1
	; wave barrier
	ds_read_b32 v11, v12 offset:8
	v_and_b32_e32 v2, v2, v13
	v_and_b32_e32 v1, v3, v1
	;; [unrolled: 1-line block ×3, first 2 shown]
	v_mbcnt_lo_u32_b32 v3, v1, 0
	v_mbcnt_hi_u32_b32 v13, v2, v3
	v_cmp_ne_u64_e32 vcc, 0, v[1:2]
	v_cmp_eq_u32_e64 s[34:35], 0, v13
	s_and_b64 s[36:37], vcc, s[34:35]
	; wave barrier
	s_and_saveexec_b64 s[34:35], s[36:37]
	s_cbranch_execz .LBB108_8
; %bb.7:                                ;   in Loop: Header=BB108_4 Depth=2
	v_bcnt_u32_b32 v1, v1, 0
	v_bcnt_u32_b32 v1, v2, v1
	s_waitcnt lgkmcnt(0)
	v_add_u32_e32 v1, v11, v1
	ds_write_b32 v12, v1 offset:8
.LBB108_8:                              ;   in Loop: Header=BB108_4 Depth=2
	s_or_b64 exec, exec, s[34:35]
	v_lshrrev_b64 v[1:2], v20, v[7:8]
	v_lshlrev_b32_e32 v2, 3, v1
	v_and_b32_e32 v2, 0x7f8, v2
	v_add_u32_e32 v39, v36, v2
	v_and_b32_e32 v2, 1, v1
	v_add_co_u32_e32 v3, vcc, -1, v2
	v_addc_co_u32_e64 v4, s[34:35], 0, -1, vcc
	v_cmp_ne_u32_e32 vcc, 0, v2
	v_lshlrev_b32_e32 v15, 30, v1
	v_xor_b32_e32 v2, vcc_hi, v4
	v_xor_b32_e32 v3, vcc_lo, v3
	v_cmp_gt_i64_e32 vcc, 0, v[14:15]
	v_not_b32_e32 v4, v15
	v_ashrrev_i32_e32 v4, 31, v4
	v_and_b32_e32 v2, exec_hi, v2
	v_xor_b32_e32 v15, vcc_hi, v4
	v_and_b32_e32 v3, exec_lo, v3
	v_xor_b32_e32 v4, vcc_lo, v4
	v_and_b32_e32 v2, v2, v15
	v_lshlrev_b32_e32 v15, 29, v1
	v_and_b32_e32 v3, v3, v4
	v_cmp_gt_i64_e32 vcc, 0, v[14:15]
	v_not_b32_e32 v4, v15
	v_ashrrev_i32_e32 v4, 31, v4
	v_xor_b32_e32 v15, vcc_hi, v4
	v_xor_b32_e32 v4, vcc_lo, v4
	v_and_b32_e32 v2, v2, v15
	v_lshlrev_b32_e32 v15, 28, v1
	v_and_b32_e32 v3, v3, v4
	v_cmp_gt_i64_e32 vcc, 0, v[14:15]
	v_not_b32_e32 v4, v15
	v_ashrrev_i32_e32 v4, 31, v4
	v_xor_b32_e32 v15, vcc_hi, v4
	;; [unrolled: 8-line block ×5, first 2 shown]
	v_and_b32_e32 v2, v2, v15
	v_lshlrev_b32_e32 v15, 24, v1
	v_xor_b32_e32 v4, vcc_lo, v4
	v_cmp_gt_i64_e32 vcc, 0, v[14:15]
	v_not_b32_e32 v1, v15
	v_ashrrev_i32_e32 v1, 31, v1
	v_and_b32_e32 v3, v3, v4
	v_xor_b32_e32 v4, vcc_hi, v1
	v_xor_b32_e32 v1, vcc_lo, v1
	; wave barrier
	ds_read_b32 v38, v39 offset:8
	v_and_b32_e32 v1, v3, v1
	v_and_b32_e32 v2, v2, v4
	v_mbcnt_lo_u32_b32 v3, v1, 0
	v_mbcnt_hi_u32_b32 v40, v2, v3
	v_cmp_ne_u64_e32 vcc, 0, v[1:2]
	v_cmp_eq_u32_e64 s[34:35], 0, v40
	s_and_b64 s[36:37], vcc, s[34:35]
	; wave barrier
	s_and_saveexec_b64 s[34:35], s[36:37]
	s_cbranch_execz .LBB108_10
; %bb.9:                                ;   in Loop: Header=BB108_4 Depth=2
	v_bcnt_u32_b32 v1, v1, 0
	v_bcnt_u32_b32 v1, v2, v1
	s_waitcnt lgkmcnt(0)
	v_add_u32_e32 v1, v38, v1
	ds_write_b32 v39, v1 offset:8
.LBB108_10:                             ;   in Loop: Header=BB108_4 Depth=2
	s_or_b64 exec, exec, s[34:35]
	v_lshrrev_b64 v[1:2], v20, v[5:6]
	v_lshlrev_b32_e32 v2, 3, v1
	v_and_b32_e32 v2, 0x7f8, v2
	v_add_u32_e32 v42, v36, v2
	v_and_b32_e32 v2, 1, v1
	v_add_co_u32_e32 v3, vcc, -1, v2
	v_addc_co_u32_e64 v4, s[34:35], 0, -1, vcc
	v_cmp_ne_u32_e32 vcc, 0, v2
	v_lshlrev_b32_e32 v15, 30, v1
	v_xor_b32_e32 v2, vcc_hi, v4
	v_xor_b32_e32 v3, vcc_lo, v3
	v_cmp_gt_i64_e32 vcc, 0, v[14:15]
	v_not_b32_e32 v4, v15
	v_ashrrev_i32_e32 v4, 31, v4
	v_and_b32_e32 v2, exec_hi, v2
	v_xor_b32_e32 v15, vcc_hi, v4
	v_and_b32_e32 v3, exec_lo, v3
	v_xor_b32_e32 v4, vcc_lo, v4
	v_and_b32_e32 v2, v2, v15
	v_lshlrev_b32_e32 v15, 29, v1
	v_and_b32_e32 v3, v3, v4
	v_cmp_gt_i64_e32 vcc, 0, v[14:15]
	v_not_b32_e32 v4, v15
	v_ashrrev_i32_e32 v4, 31, v4
	v_xor_b32_e32 v15, vcc_hi, v4
	v_xor_b32_e32 v4, vcc_lo, v4
	v_and_b32_e32 v2, v2, v15
	v_lshlrev_b32_e32 v15, 28, v1
	v_and_b32_e32 v3, v3, v4
	v_cmp_gt_i64_e32 vcc, 0, v[14:15]
	v_not_b32_e32 v4, v15
	v_ashrrev_i32_e32 v4, 31, v4
	v_xor_b32_e32 v15, vcc_hi, v4
	;; [unrolled: 8-line block ×5, first 2 shown]
	v_and_b32_e32 v2, v2, v15
	v_lshlrev_b32_e32 v15, 24, v1
	v_xor_b32_e32 v4, vcc_lo, v4
	v_cmp_gt_i64_e32 vcc, 0, v[14:15]
	v_not_b32_e32 v1, v15
	v_ashrrev_i32_e32 v1, 31, v1
	v_and_b32_e32 v3, v3, v4
	v_xor_b32_e32 v4, vcc_hi, v1
	v_xor_b32_e32 v1, vcc_lo, v1
	; wave barrier
	ds_read_b32 v41, v42 offset:8
	v_and_b32_e32 v1, v3, v1
	v_and_b32_e32 v2, v2, v4
	v_mbcnt_lo_u32_b32 v3, v1, 0
	v_mbcnt_hi_u32_b32 v15, v2, v3
	v_cmp_ne_u64_e32 vcc, 0, v[1:2]
	v_cmp_eq_u32_e64 s[34:35], 0, v15
	s_and_b64 s[36:37], vcc, s[34:35]
	; wave barrier
	s_and_saveexec_b64 s[34:35], s[36:37]
	s_cbranch_execz .LBB108_12
; %bb.11:                               ;   in Loop: Header=BB108_4 Depth=2
	v_bcnt_u32_b32 v1, v1, 0
	v_bcnt_u32_b32 v1, v2, v1
	s_waitcnt lgkmcnt(0)
	v_add_u32_e32 v1, v41, v1
	ds_write_b32 v42, v1 offset:8
.LBB108_12:                             ;   in Loop: Header=BB108_4 Depth=2
	s_or_b64 exec, exec, s[34:35]
	; wave barrier
	s_waitcnt lgkmcnt(0)
	s_barrier
	ds_read2_b64 v[1:4], v30 offset0:1 offset1:2
	s_waitcnt lgkmcnt(0)
	v_add_u32_e32 v43, v2, v1
	v_add3_u32 v4, v43, v3, v4
	s_nop 1
	v_mov_b32_dpp v43, v4 row_shr:1 row_mask:0xf bank_mask:0xf
	v_cndmask_b32_e64 v43, v43, 0, s[8:9]
	v_add_u32_e32 v4, v43, v4
	s_nop 1
	v_mov_b32_dpp v43, v4 row_shr:2 row_mask:0xf bank_mask:0xf
	v_cndmask_b32_e64 v43, 0, v43, s[10:11]
	v_add_u32_e32 v4, v4, v43
	;; [unrolled: 4-line block ×4, first 2 shown]
	s_nop 1
	v_mov_b32_dpp v43, v4 row_bcast:15 row_mask:0xf bank_mask:0xf
	v_cndmask_b32_e64 v43, v43, 0, s[16:17]
	v_add_u32_e32 v4, v4, v43
	s_nop 1
	v_mov_b32_dpp v43, v4 row_bcast:31 row_mask:0xf bank_mask:0xf
	v_cndmask_b32_e64 v43, 0, v43, s[18:19]
	v_add_u32_e32 v4, v4, v43
	s_and_saveexec_b64 s[34:35], s[20:21]
; %bb.13:                               ;   in Loop: Header=BB108_4 Depth=2
	ds_write_b32 v32, v4
; %bb.14:                               ;   in Loop: Header=BB108_4 Depth=2
	s_or_b64 exec, exec, s[34:35]
	s_waitcnt lgkmcnt(0)
	s_barrier
	s_and_saveexec_b64 s[34:35], s[22:23]
	s_cbranch_execz .LBB108_16
; %bb.15:                               ;   in Loop: Header=BB108_4 Depth=2
	ds_read_b32 v43, v33
	s_waitcnt lgkmcnt(0)
	s_nop 0
	v_mov_b32_dpp v44, v43 row_shr:1 row_mask:0xf bank_mask:0xf
	v_cndmask_b32_e64 v44, v44, 0, s[30:31]
	v_add_u32_e32 v43, v44, v43
	ds_write_b32 v33, v43
.LBB108_16:                             ;   in Loop: Header=BB108_4 Depth=2
	s_or_b64 exec, exec, s[34:35]
	v_mov_b32_e32 v43, 0
	s_waitcnt lgkmcnt(0)
	s_barrier
	s_and_saveexec_b64 s[34:35], s[24:25]
; %bb.17:                               ;   in Loop: Header=BB108_4 Depth=2
	ds_read_b32 v43, v34
; %bb.18:                               ;   in Loop: Header=BB108_4 Depth=2
	s_or_b64 exec, exec, s[34:35]
	s_waitcnt lgkmcnt(0)
	v_add_u32_e32 v4, v43, v4
	ds_bpermute_b32 v4, v31, v4
	v_cmp_lt_u32_e32 vcc, 55, v20
	s_and_b64 vcc, exec, vcc
	s_mov_b64 s[34:35], -1
	s_waitcnt lgkmcnt(0)
	v_cndmask_b32_e64 v4, v4, v43, s[26:27]
	v_cndmask_b32_e64 v43, v4, 0, s[28:29]
	v_add_u32_e32 v44, v43, v1
	v_add_u32_e32 v1, v44, v2
	;; [unrolled: 1-line block ×3, first 2 shown]
	ds_write2_b64 v30, v[43:44], v[1:2] offset0:1 offset1:2
	s_waitcnt lgkmcnt(0)
	s_barrier
	ds_read_b32 v1, v9 offset:8
	ds_read_b32 v2, v12 offset:8
	;; [unrolled: 1-line block ×4, first 2 shown]
	s_waitcnt lgkmcnt(3)
	v_add_u32_e32 v42, v1, v10
	s_waitcnt lgkmcnt(2)
	v_add3_u32 v39, v13, v11, v2
	s_waitcnt lgkmcnt(1)
	v_add3_u32 v38, v40, v38, v3
	s_waitcnt lgkmcnt(0)
	v_add3_u32 v9, v15, v41, v4
                                        ; implicit-def: $vgpr3_vgpr4
                                        ; implicit-def: $vgpr12_vgpr13
	s_cbranch_vccnz .LBB108_3
; %bb.19:                               ;   in Loop: Header=BB108_4 Depth=2
	v_lshlrev_b32_e32 v1, 3, v42
	s_barrier
	ds_write_b64 v1, v[24:25]
	v_lshlrev_b32_e32 v1, 3, v39
	ds_write_b64 v1, v[22:23]
	v_lshlrev_b32_e32 v1, 3, v38
	ds_write_b64 v1, v[7:8]
	v_lshlrev_b32_e32 v1, 3, v9
	ds_write_b64 v1, v[5:6]
	s_waitcnt lgkmcnt(0)
	s_barrier
	ds_read2st64_b64 v[10:13], v35 offset1:1
	ds_read2st64_b64 v[1:4], v35 offset0:2 offset1:3
	v_add_co_u32_e32 v20, vcc, 8, v20
	v_addc_co_u32_e32 v21, vcc, 0, v21, vcc
	s_mov_b64 s[34:35], 0
	s_waitcnt lgkmcnt(0)
	s_barrier
	s_branch .LBB108_3
.LBB108_20:
	s_add_u32 s0, s38, s42
	s_addc_u32 s1, s39, s43
	v_lshlrev_b32_e32 v0, 3, v0
	global_store_dwordx2 v0, v[7:8], s[0:1]
	global_store_dwordx2 v0, v[9:10], s[0:1] offset:1024
	global_store_dwordx2 v0, v[3:4], s[0:1] offset:2048
	;; [unrolled: 1-line block ×3, first 2 shown]
	s_endpgm
	.section	.rodata,"a",@progbits
	.p2align	6, 0x0
	.amdhsa_kernel _Z16sort_keys_kernelI22helper_blocked_blockedxLj128ELj4ELj10EEvPKT0_PS1_
		.amdhsa_group_segment_fixed_size 4096
		.amdhsa_private_segment_fixed_size 0
		.amdhsa_kernarg_size 272
		.amdhsa_user_sgpr_count 6
		.amdhsa_user_sgpr_private_segment_buffer 1
		.amdhsa_user_sgpr_dispatch_ptr 0
		.amdhsa_user_sgpr_queue_ptr 0
		.amdhsa_user_sgpr_kernarg_segment_ptr 1
		.amdhsa_user_sgpr_dispatch_id 0
		.amdhsa_user_sgpr_flat_scratch_init 0
		.amdhsa_user_sgpr_private_segment_size 0
		.amdhsa_uses_dynamic_stack 0
		.amdhsa_system_sgpr_private_segment_wavefront_offset 0
		.amdhsa_system_sgpr_workgroup_id_x 1
		.amdhsa_system_sgpr_workgroup_id_y 0
		.amdhsa_system_sgpr_workgroup_id_z 0
		.amdhsa_system_sgpr_workgroup_info 0
		.amdhsa_system_vgpr_workitem_id 2
		.amdhsa_next_free_vgpr 45
		.amdhsa_next_free_sgpr 61
		.amdhsa_reserve_vcc 1
		.amdhsa_reserve_flat_scratch 0
		.amdhsa_float_round_mode_32 0
		.amdhsa_float_round_mode_16_64 0
		.amdhsa_float_denorm_mode_32 3
		.amdhsa_float_denorm_mode_16_64 3
		.amdhsa_dx10_clamp 1
		.amdhsa_ieee_mode 1
		.amdhsa_fp16_overflow 0
		.amdhsa_exception_fp_ieee_invalid_op 0
		.amdhsa_exception_fp_denorm_src 0
		.amdhsa_exception_fp_ieee_div_zero 0
		.amdhsa_exception_fp_ieee_overflow 0
		.amdhsa_exception_fp_ieee_underflow 0
		.amdhsa_exception_fp_ieee_inexact 0
		.amdhsa_exception_int_div_zero 0
	.end_amdhsa_kernel
	.section	.text._Z16sort_keys_kernelI22helper_blocked_blockedxLj128ELj4ELj10EEvPKT0_PS1_,"axG",@progbits,_Z16sort_keys_kernelI22helper_blocked_blockedxLj128ELj4ELj10EEvPKT0_PS1_,comdat
.Lfunc_end108:
	.size	_Z16sort_keys_kernelI22helper_blocked_blockedxLj128ELj4ELj10EEvPKT0_PS1_, .Lfunc_end108-_Z16sort_keys_kernelI22helper_blocked_blockedxLj128ELj4ELj10EEvPKT0_PS1_
                                        ; -- End function
	.set _Z16sort_keys_kernelI22helper_blocked_blockedxLj128ELj4ELj10EEvPKT0_PS1_.num_vgpr, 45
	.set _Z16sort_keys_kernelI22helper_blocked_blockedxLj128ELj4ELj10EEvPKT0_PS1_.num_agpr, 0
	.set _Z16sort_keys_kernelI22helper_blocked_blockedxLj128ELj4ELj10EEvPKT0_PS1_.numbered_sgpr, 44
	.set _Z16sort_keys_kernelI22helper_blocked_blockedxLj128ELj4ELj10EEvPKT0_PS1_.num_named_barrier, 0
	.set _Z16sort_keys_kernelI22helper_blocked_blockedxLj128ELj4ELj10EEvPKT0_PS1_.private_seg_size, 0
	.set _Z16sort_keys_kernelI22helper_blocked_blockedxLj128ELj4ELj10EEvPKT0_PS1_.uses_vcc, 1
	.set _Z16sort_keys_kernelI22helper_blocked_blockedxLj128ELj4ELj10EEvPKT0_PS1_.uses_flat_scratch, 0
	.set _Z16sort_keys_kernelI22helper_blocked_blockedxLj128ELj4ELj10EEvPKT0_PS1_.has_dyn_sized_stack, 0
	.set _Z16sort_keys_kernelI22helper_blocked_blockedxLj128ELj4ELj10EEvPKT0_PS1_.has_recursion, 0
	.set _Z16sort_keys_kernelI22helper_blocked_blockedxLj128ELj4ELj10EEvPKT0_PS1_.has_indirect_call, 0
	.section	.AMDGPU.csdata,"",@progbits
; Kernel info:
; codeLenInByte = 3352
; TotalNumSgprs: 48
; NumVgprs: 45
; ScratchSize: 0
; MemoryBound: 0
; FloatMode: 240
; IeeeMode: 1
; LDSByteSize: 4096 bytes/workgroup (compile time only)
; SGPRBlocks: 8
; VGPRBlocks: 11
; NumSGPRsForWavesPerEU: 65
; NumVGPRsForWavesPerEU: 45
; Occupancy: 5
; WaveLimiterHint : 1
; COMPUTE_PGM_RSRC2:SCRATCH_EN: 0
; COMPUTE_PGM_RSRC2:USER_SGPR: 6
; COMPUTE_PGM_RSRC2:TRAP_HANDLER: 0
; COMPUTE_PGM_RSRC2:TGID_X_EN: 1
; COMPUTE_PGM_RSRC2:TGID_Y_EN: 0
; COMPUTE_PGM_RSRC2:TGID_Z_EN: 0
; COMPUTE_PGM_RSRC2:TIDIG_COMP_CNT: 2
	.section	.text._Z17sort_pairs_kernelI22helper_blocked_blockedxLj128ELj4ELj10EEvPKT0_PS1_,"axG",@progbits,_Z17sort_pairs_kernelI22helper_blocked_blockedxLj128ELj4ELj10EEvPKT0_PS1_,comdat
	.protected	_Z17sort_pairs_kernelI22helper_blocked_blockedxLj128ELj4ELj10EEvPKT0_PS1_ ; -- Begin function _Z17sort_pairs_kernelI22helper_blocked_blockedxLj128ELj4ELj10EEvPKT0_PS1_
	.globl	_Z17sort_pairs_kernelI22helper_blocked_blockedxLj128ELj4ELj10EEvPKT0_PS1_
	.p2align	8
	.type	_Z17sort_pairs_kernelI22helper_blocked_blockedxLj128ELj4ELj10EEvPKT0_PS1_,@function
_Z17sort_pairs_kernelI22helper_blocked_blockedxLj128ELj4ELj10EEvPKT0_PS1_: ; @_Z17sort_pairs_kernelI22helper_blocked_blockedxLj128ELj4ELj10EEvPKT0_PS1_
; %bb.0:
	s_load_dwordx4 s[36:39], s[4:5], 0x0
	s_load_dword s34, s[4:5], 0x1c
	s_lshl_b32 s42, s6, 9
	s_mov_b32 s43, 0
	s_lshl_b64 s[40:41], s[42:43], 3
	s_waitcnt lgkmcnt(0)
	s_add_u32 s0, s36, s40
	s_addc_u32 s1, s37, s41
	v_lshlrev_b32_e32 v3, 3, v0
	global_load_dwordx2 v[21:22], v3, s[0:1]
	global_load_dwordx2 v[23:24], v3, s[0:1] offset:1024
	global_load_dwordx2 v[13:14], v3, s[0:1] offset:2048
	;; [unrolled: 1-line block ×3, first 2 shown]
	v_mbcnt_lo_u32_b32 v3, -1, 0
	v_mbcnt_hi_u32_b32 v3, -1, v3
	v_or_b32_e32 v4, 63, v0
	v_and_b32_e32 v10, 64, v3
	v_cmp_eq_u32_e64 s[8:9], v0, v4
	v_subrev_co_u32_e64 v4, s[10:11], 1, v3
	v_cmp_lt_i32_e32 vcc, v4, v10
	v_cndmask_b32_e32 v4, v4, v3, vcc
	v_lshrrev_b32_e32 v8, 2, v3
	v_and_b32_e32 v9, 3, v3
	v_lshlrev_b32_e32 v6, 5, v0
	v_cmp_eq_u32_e64 s[12:13], 3, v9
	v_cmp_eq_u32_e64 s[14:15], 2, v9
	;; [unrolled: 1-line block ×4, first 2 shown]
	v_or_b32_e32 v9, v8, v10
	s_lshr_b32 s35, s34, 16
	v_lshrrev_b32_e32 v5, 4, v0
	v_and_b32_e32 v6, 0x800, v6
	v_add_u32_e32 v8, 48, v8
	v_lshlrev_b32_e32 v43, 2, v9
	s_and_b32 s34, s34, 0xffff
	v_mad_u32_u24 v1, v2, s35, v1
	v_lshlrev_b32_e32 v37, 4, v0
	v_and_b32_e32 v11, 15, v3
	v_and_b32_e32 v12, 16, v3
	v_cmp_lt_u32_e64 s[6:7], 31, v3
	v_and_b32_e32 v38, 4, v5
	v_and_b32_e32 v5, 1, v3
	v_lshl_or_b32 v41, v3, 3, v6
	v_and_or_b32 v3, v8, 63, v10
	v_mad_u32_u24 v1, v1, s34, v0
	v_mul_u32_u24_e32 v7, 28, v0
	v_mad_i32_i24 v39, v0, -12, v37
	v_cmp_eq_u32_e64 s[20:21], 0, v11
	v_cmp_lt_u32_e64 s[22:23], 1, v11
	v_cmp_lt_u32_e64 s[24:25], 3, v11
	;; [unrolled: 1-line block ×3, first 2 shown]
	v_lshrrev_b32_e32 v1, 4, v1
	v_cmp_gt_u32_e64 s[0:1], 2, v0
	v_cmp_lt_u32_e64 s[2:3], 63, v0
	v_cmp_eq_u32_e64 s[4:5], 0, v0
	s_mov_b32 s36, s43
	s_mov_b32 s37, s43
	;; [unrolled: 1-line block ×4, first 2 shown]
	v_cmp_eq_u32_e64 s[28:29], 0, v12
	v_cmp_eq_u32_e64 s[30:31], 0, v5
	v_add_u32_e32 v40, -4, v38
	v_add_u32_e32 v42, v39, v7
	v_lshlrev_b32_e32 v44, 2, v4
	v_add_u32_e32 v45, 64, v43
	v_lshlrev_b32_e32 v46, 2, v3
	v_or_b32_e32 v47, 0x80, v43
	v_and_b32_e32 v48, 0xffffffc, v1
	v_mov_b32_e32 v25, 0
	s_waitcnt vmcnt(3)
	v_add_co_u32_e32 v17, vcc, 1, v21
	v_addc_co_u32_e32 v18, vcc, 0, v22, vcc
	s_waitcnt vmcnt(2)
	v_add_co_u32_e32 v19, vcc, 1, v23
	v_addc_co_u32_e32 v20, vcc, 0, v24, vcc
	;; [unrolled: 3-line block ×4, first 2 shown]
	s_branch .LBB109_2
.LBB109_1:                              ;   in Loop: Header=BB109_2 Depth=1
	v_lshlrev_b32_e32 v1, 3, v51
	v_lshlrev_b32_e32 v2, 3, v50
	;; [unrolled: 1-line block ×4, first 2 shown]
	s_barrier
	ds_write_b64 v1, v[35:36]
	ds_write_b64 v2, v[33:34]
	;; [unrolled: 1-line block ×4, first 2 shown]
	s_waitcnt lgkmcnt(0)
	s_barrier
	ds_read2_b64 v[21:24], v42 offset1:1
	ds_read2_b64 v[13:16], v42 offset0:2 offset1:3
	s_waitcnt lgkmcnt(0)
	s_barrier
	ds_write_b64 v1, v[29:30]
	ds_write_b64 v2, v[27:28]
	;; [unrolled: 1-line block ×4, first 2 shown]
	s_waitcnt lgkmcnt(0)
	s_barrier
	ds_read2_b64 v[17:20], v42 offset1:1
	ds_read2_b64 v[9:12], v42 offset0:2 offset1:3
	s_add_i32 s33, s33, 1
	v_xor_b32_e32 v22, 0x80000000, v22
	v_xor_b32_e32 v24, 0x80000000, v24
	;; [unrolled: 1-line block ×3, first 2 shown]
	s_cmp_lg_u32 s33, 10
	v_xor_b32_e32 v16, 0x80000000, v16
	s_cbranch_scc0 .LBB109_20
.LBB109_2:                              ; =>This Loop Header: Depth=1
                                        ;     Child Loop BB109_4 Depth 2
	v_xor_b32_e32 v6, 0x80000000, v22
	ds_bpermute_b32 v1, v43, v21
	ds_bpermute_b32 v2, v43, v6
	v_xor_b32_e32 v7, 0x80000000, v24
	ds_bpermute_b32 v3, v43, v23
	ds_bpermute_b32 v4, v43, v7
	s_waitcnt lgkmcnt(3)
	v_cndmask_b32_e64 v1, 0, v1, s[18:19]
	s_waitcnt lgkmcnt(2)
	v_cndmask_b32_e64 v2, 0, v2, s[18:19]
	v_xor_b32_e32 v8, 0x80000000, v14
	s_waitcnt lgkmcnt(1)
	v_cndmask_b32_e64 v1, v1, v3, s[16:17]
	s_waitcnt lgkmcnt(0)
	v_cndmask_b32_e64 v2, v2, v4, s[16:17]
	ds_bpermute_b32 v3, v43, v8
	ds_bpermute_b32 v4, v43, v13
	v_xor_b32_e32 v14, 0x80000000, v16
	ds_bpermute_b32 v5, v43, v15
	ds_bpermute_b32 v16, v43, v14
	s_waitcnt lgkmcnt(3)
	v_cndmask_b32_e64 v2, v2, v3, s[14:15]
	ds_bpermute_b32 v3, v45, v6
	s_waitcnt lgkmcnt(3)
	v_cndmask_b32_e64 v1, v1, v4, s[14:15]
	;; [unrolled: 3-line block ×3, first 2 shown]
	s_waitcnt lgkmcnt(2)
	v_cndmask_b32_e64 v2, v2, v16, s[12:13]
	ds_bpermute_b32 v5, v45, v23
	ds_bpermute_b32 v16, v45, v7
	;; [unrolled: 1-line block ×4, first 2 shown]
	s_waitcnt lgkmcnt(5)
	v_cndmask_b32_e64 v3, 0, v3, s[18:19]
	s_waitcnt lgkmcnt(4)
	v_cndmask_b32_e64 v4, 0, v4, s[18:19]
	;; [unrolled: 2-line block ×5, first 2 shown]
	ds_bpermute_b32 v3, v45, v15
	s_waitcnt lgkmcnt(1)
	v_cndmask_b32_e64 v4, v4, v24, s[14:15]
	ds_bpermute_b32 v16, v45, v14
	ds_bpermute_b32 v22, v47, v6
	;; [unrolled: 1-line block ×4, first 2 shown]
	s_waitcnt lgkmcnt(4)
	v_cndmask_b32_e64 v3, v4, v3, s[12:13]
	s_waitcnt lgkmcnt(3)
	v_cndmask_b32_e64 v4, v5, v16, s[12:13]
	s_waitcnt lgkmcnt(2)
	v_cndmask_b32_e64 v5, 0, v22, s[18:19]
	s_waitcnt lgkmcnt(1)
	v_cndmask_b32_e64 v16, 0, v24, s[18:19]
	ds_bpermute_b32 v22, v47, v7
	s_waitcnt lgkmcnt(1)
	v_cndmask_b32_e64 v16, v16, v26, s[16:17]
	ds_bpermute_b32 v24, v47, v8
	ds_bpermute_b32 v26, v47, v13
	;; [unrolled: 1-line block ×3, first 2 shown]
	s_waitcnt lgkmcnt(3)
	v_cndmask_b32_e64 v5, v5, v22, s[16:17]
	ds_bpermute_b32 v22, v47, v14
	s_waitcnt lgkmcnt(3)
	v_cndmask_b32_e64 v24, v5, v24, s[14:15]
	s_waitcnt lgkmcnt(2)
	v_cndmask_b32_e64 v5, v16, v26, s[14:15]
	ds_bpermute_b32 v16, v46, v6
	ds_bpermute_b32 v8, v46, v8
	;; [unrolled: 1-line block ×3, first 2 shown]
	s_waitcnt lgkmcnt(3)
	v_cndmask_b32_e64 v6, v24, v22, s[12:13]
	ds_bpermute_b32 v22, v46, v23
	s_waitcnt lgkmcnt(3)
	v_cndmask_b32_e64 v16, 0, v16, s[18:19]
	v_cndmask_b32_e64 v7, v16, v7, s[16:17]
	ds_bpermute_b32 v13, v46, v13
	ds_bpermute_b32 v14, v46, v14
	ds_bpermute_b32 v27, v47, v15
	s_waitcnt lgkmcnt(5)
	v_cndmask_b32_e64 v8, v7, v8, s[14:15]
	ds_bpermute_b32 v7, v46, v15
	ds_bpermute_b32 v15, v43, v17
	;; [unrolled: 1-line block ×3, first 2 shown]
	s_waitcnt lgkmcnt(7)
	v_cndmask_b32_e64 v21, 0, v21, s[18:19]
	s_waitcnt lgkmcnt(6)
	v_cndmask_b32_e64 v21, v21, v22, s[16:17]
	;; [unrolled: 2-line block ×4, first 2 shown]
	ds_bpermute_b32 v14, v43, v20
	s_waitcnt lgkmcnt(3)
	v_cndmask_b32_e64 v7, v13, v7, s[12:13]
	s_waitcnt lgkmcnt(2)
	v_cndmask_b32_e64 v13, 0, v15, s[18:19]
	;; [unrolled: 2-line block ×3, first 2 shown]
	ds_bpermute_b32 v16, v43, v19
	ds_bpermute_b32 v22, v43, v10
	;; [unrolled: 1-line block ×3, first 2 shown]
	s_waitcnt lgkmcnt(3)
	v_cndmask_b32_e64 v14, v15, v14, s[16:17]
	ds_bpermute_b32 v15, v43, v12
	s_waitcnt lgkmcnt(3)
	v_cndmask_b32_e64 v13, v13, v16, s[16:17]
	ds_bpermute_b32 v16, v43, v11
	s_waitcnt lgkmcnt(3)
	v_cndmask_b32_e64 v14, v14, v22, s[14:15]
	s_waitcnt lgkmcnt(2)
	v_cndmask_b32_e64 v13, v13, v21, s[14:15]
	;; [unrolled: 2-line block ×3, first 2 shown]
	ds_bpermute_b32 v15, v45, v17
	ds_bpermute_b32 v21, v45, v18
	;; [unrolled: 1-line block ×3, first 2 shown]
	s_waitcnt lgkmcnt(3)
	v_cndmask_b32_e64 v13, v13, v16, s[12:13]
	ds_bpermute_b32 v16, v45, v19
	s_waitcnt lgkmcnt(3)
	v_cndmask_b32_e64 v15, 0, v15, s[18:19]
	s_waitcnt lgkmcnt(2)
	v_cndmask_b32_e64 v21, 0, v21, s[18:19]
	;; [unrolled: 2-line block ×3, first 2 shown]
	ds_bpermute_b32 v22, v45, v9
	s_waitcnt lgkmcnt(1)
	v_cndmask_b32_e64 v15, v15, v16, s[16:17]
	ds_bpermute_b32 v16, v45, v10
	ds_bpermute_b32 v23, v45, v12
	;; [unrolled: 1-line block ×3, first 2 shown]
	s_waitcnt lgkmcnt(3)
	v_cndmask_b32_e64 v15, v15, v22, s[14:15]
	ds_bpermute_b32 v22, v47, v17
	s_waitcnt lgkmcnt(3)
	v_cndmask_b32_e64 v16, v21, v16, s[14:15]
	ds_bpermute_b32 v21, v47, v18
	s_waitcnt lgkmcnt(3)
	v_cndmask_b32_e64 v16, v16, v23, s[12:13]
	s_waitcnt lgkmcnt(2)
	v_cndmask_b32_e64 v15, v15, v24, s[12:13]
	ds_bpermute_b32 v23, v47, v20
	ds_bpermute_b32 v24, v47, v19
	v_cndmask_b32_e64 v5, v5, v27, s[12:13]
	ds_bpermute_b32 v26, v47, v9
	ds_bpermute_b32 v27, v47, v10
	s_waitcnt lgkmcnt(5)
	v_cndmask_b32_e64 v22, 0, v22, s[18:19]
	s_waitcnt lgkmcnt(4)
	v_cndmask_b32_e64 v21, 0, v21, s[18:19]
	;; [unrolled: 2-line block ×5, first 2 shown]
	ds_bpermute_b32 v23, v47, v12
	s_waitcnt lgkmcnt(1)
	v_cndmask_b32_e64 v21, v21, v27, s[14:15]
	ds_bpermute_b32 v24, v47, v11
	ds_bpermute_b32 v26, v46, v17
	;; [unrolled: 1-line block ×9, first 2 shown]
	s_waitcnt lgkmcnt(9)
	v_cndmask_b32_e64 v18, v21, v23, s[12:13]
	s_waitcnt lgkmcnt(8)
	v_cndmask_b32_e64 v17, v22, v24, s[12:13]
	;; [unrolled: 2-line block ×8, first 2 shown]
	v_mov_b32_e32 v21, 0
	s_waitcnt lgkmcnt(1)
	v_cndmask_b32_e64 v20, v10, v12, s[12:13]
	s_waitcnt lgkmcnt(0)
	v_cndmask_b32_e64 v19, v9, v11, s[12:13]
	v_mov_b32_e32 v22, 0
	s_barrier
	s_branch .LBB109_4
.LBB109_3:                              ;   in Loop: Header=BB109_4 Depth=2
	s_andn2_b64 vcc, exec, s[34:35]
	s_cbranch_vccz .LBB109_1
.LBB109_4:                              ;   Parent Loop BB109_2 Depth=1
                                        ; =>  This Inner Loop Header: Depth=2
	v_mov_b32_e32 v34, v4
	v_mov_b32_e32 v36, v2
	;; [unrolled: 1-line block ×8, first 2 shown]
	ds_write2_b64 v37, v[1:2], v[3:4] offset0:1 offset1:2
	v_lshrrev_b64 v[1:2], v21, v[35:36]
	v_mov_b32_e32 v32, v6
	v_lshlrev_b32_e32 v2, 3, v1
	v_and_b32_e32 v2, 0x7f8, v2
	v_mov_b32_e32 v31, v5
	v_add_u32_e32 v5, v48, v2
	v_and_b32_e32 v2, 1, v1
	v_add_co_u32_e32 v3, vcc, -1, v2
	v_addc_co_u32_e64 v4, s[34:35], 0, -1, vcc
	v_cmp_ne_u32_e32 vcc, 0, v2
	v_lshlrev_b32_e32 v26, 30, v1
	v_xor_b32_e32 v2, vcc_hi, v4
	v_xor_b32_e32 v3, vcc_lo, v3
	v_cmp_gt_i64_e32 vcc, 0, v[25:26]
	v_not_b32_e32 v4, v26
	v_ashrrev_i32_e32 v4, 31, v4
	v_and_b32_e32 v3, exec_lo, v3
	v_xor_b32_e32 v6, vcc_hi, v4
	v_xor_b32_e32 v4, vcc_lo, v4
	v_lshlrev_b32_e32 v26, 29, v1
	v_and_b32_e32 v3, v3, v4
	v_cmp_gt_i64_e32 vcc, 0, v[25:26]
	v_not_b32_e32 v4, v26
	v_and_b32_e32 v2, exec_hi, v2
	v_ashrrev_i32_e32 v4, 31, v4
	v_and_b32_e32 v2, v2, v6
	v_xor_b32_e32 v6, vcc_hi, v4
	v_xor_b32_e32 v4, vcc_lo, v4
	v_lshlrev_b32_e32 v26, 28, v1
	v_and_b32_e32 v3, v3, v4
	v_cmp_gt_i64_e32 vcc, 0, v[25:26]
	v_not_b32_e32 v4, v26
	v_ashrrev_i32_e32 v4, 31, v4
	v_and_b32_e32 v2, v2, v6
	v_xor_b32_e32 v6, vcc_hi, v4
	v_xor_b32_e32 v4, vcc_lo, v4
	v_lshlrev_b32_e32 v26, 27, v1
	v_and_b32_e32 v3, v3, v4
	v_cmp_gt_i64_e32 vcc, 0, v[25:26]
	v_not_b32_e32 v4, v26
	;; [unrolled: 8-line block ×4, first 2 shown]
	v_ashrrev_i32_e32 v4, 31, v4
	v_lshlrev_b32_e32 v26, 24, v1
	v_and_b32_e32 v2, v2, v6
	v_xor_b32_e32 v6, vcc_hi, v4
	v_xor_b32_e32 v4, vcc_lo, v4
	v_cmp_gt_i64_e32 vcc, 0, v[25:26]
	v_not_b32_e32 v1, v26
	v_ashrrev_i32_e32 v1, 31, v1
	v_and_b32_e32 v3, v3, v4
	v_xor_b32_e32 v4, vcc_hi, v1
	v_xor_b32_e32 v1, vcc_lo, v1
	v_and_b32_e32 v2, v2, v6
	v_and_b32_e32 v1, v3, v1
	;; [unrolled: 1-line block ×3, first 2 shown]
	v_mbcnt_lo_u32_b32 v3, v1, 0
	v_mbcnt_hi_u32_b32 v6, v2, v3
	v_cmp_ne_u64_e32 vcc, 0, v[1:2]
	v_mov_b32_e32 v24, v8
	v_mov_b32_e32 v30, v14
	;; [unrolled: 1-line block ×5, first 2 shown]
	v_cmp_eq_u32_e64 s[34:35], 0, v6
	v_mov_b32_e32 v23, v7
	v_mov_b32_e32 v29, v13
	;; [unrolled: 1-line block ×5, first 2 shown]
	s_and_b64 s[44:45], vcc, s[34:35]
	s_waitcnt lgkmcnt(0)
	s_barrier
	; wave barrier
	s_and_saveexec_b64 s[34:35], s[44:45]
; %bb.5:                                ;   in Loop: Header=BB109_4 Depth=2
	v_bcnt_u32_b32 v1, v1, 0
	v_bcnt_u32_b32 v1, v2, v1
	ds_write_b32 v5, v1 offset:8
; %bb.6:                                ;   in Loop: Header=BB109_4 Depth=2
	s_or_b64 exec, exec, s[34:35]
	v_lshrrev_b64 v[1:2], v21, v[33:34]
	v_lshlrev_b32_e32 v2, 3, v1
	v_and_b32_e32 v2, 0x7f8, v2
	v_add_u32_e32 v8, v48, v2
	v_and_b32_e32 v2, 1, v1
	v_add_co_u32_e32 v3, vcc, -1, v2
	v_addc_co_u32_e64 v4, s[34:35], 0, -1, vcc
	v_cmp_ne_u32_e32 vcc, 0, v2
	v_lshlrev_b32_e32 v26, 30, v1
	v_xor_b32_e32 v2, vcc_hi, v4
	v_xor_b32_e32 v3, vcc_lo, v3
	v_cmp_gt_i64_e32 vcc, 0, v[25:26]
	v_not_b32_e32 v4, v26
	v_ashrrev_i32_e32 v4, 31, v4
	v_and_b32_e32 v3, exec_lo, v3
	v_xor_b32_e32 v13, vcc_hi, v4
	v_xor_b32_e32 v4, vcc_lo, v4
	v_lshlrev_b32_e32 v26, 29, v1
	v_and_b32_e32 v3, v3, v4
	v_cmp_gt_i64_e32 vcc, 0, v[25:26]
	v_not_b32_e32 v4, v26
	v_and_b32_e32 v2, exec_hi, v2
	v_ashrrev_i32_e32 v4, 31, v4
	v_and_b32_e32 v2, v2, v13
	v_xor_b32_e32 v13, vcc_hi, v4
	v_xor_b32_e32 v4, vcc_lo, v4
	v_lshlrev_b32_e32 v26, 28, v1
	v_and_b32_e32 v3, v3, v4
	v_cmp_gt_i64_e32 vcc, 0, v[25:26]
	v_not_b32_e32 v4, v26
	v_ashrrev_i32_e32 v4, 31, v4
	v_and_b32_e32 v2, v2, v13
	v_xor_b32_e32 v13, vcc_hi, v4
	v_xor_b32_e32 v4, vcc_lo, v4
	v_lshlrev_b32_e32 v26, 27, v1
	v_and_b32_e32 v3, v3, v4
	v_cmp_gt_i64_e32 vcc, 0, v[25:26]
	v_not_b32_e32 v4, v26
	;; [unrolled: 8-line block ×4, first 2 shown]
	v_ashrrev_i32_e32 v4, 31, v4
	v_lshlrev_b32_e32 v26, 24, v1
	v_and_b32_e32 v2, v2, v13
	v_xor_b32_e32 v13, vcc_hi, v4
	v_xor_b32_e32 v4, vcc_lo, v4
	v_cmp_gt_i64_e32 vcc, 0, v[25:26]
	v_not_b32_e32 v1, v26
	v_ashrrev_i32_e32 v1, 31, v1
	v_and_b32_e32 v3, v3, v4
	v_xor_b32_e32 v4, vcc_hi, v1
	v_xor_b32_e32 v1, vcc_lo, v1
	; wave barrier
	ds_read_b32 v7, v8 offset:8
	v_and_b32_e32 v2, v2, v13
	v_and_b32_e32 v1, v3, v1
	;; [unrolled: 1-line block ×3, first 2 shown]
	v_mbcnt_lo_u32_b32 v3, v1, 0
	v_mbcnt_hi_u32_b32 v13, v2, v3
	v_cmp_ne_u64_e32 vcc, 0, v[1:2]
	v_cmp_eq_u32_e64 s[34:35], 0, v13
	s_and_b64 s[44:45], vcc, s[34:35]
	; wave barrier
	s_and_saveexec_b64 s[34:35], s[44:45]
	s_cbranch_execz .LBB109_8
; %bb.7:                                ;   in Loop: Header=BB109_4 Depth=2
	v_bcnt_u32_b32 v1, v1, 0
	v_bcnt_u32_b32 v1, v2, v1
	s_waitcnt lgkmcnt(0)
	v_add_u32_e32 v1, v7, v1
	ds_write_b32 v8, v1 offset:8
.LBB109_8:                              ;   in Loop: Header=BB109_4 Depth=2
	s_or_b64 exec, exec, s[34:35]
	v_lshrrev_b64 v[1:2], v21, v[31:32]
	v_lshlrev_b32_e32 v2, 3, v1
	v_and_b32_e32 v2, 0x7f8, v2
	v_add_u32_e32 v15, v48, v2
	v_and_b32_e32 v2, 1, v1
	v_add_co_u32_e32 v3, vcc, -1, v2
	v_addc_co_u32_e64 v4, s[34:35], 0, -1, vcc
	v_cmp_ne_u32_e32 vcc, 0, v2
	v_lshlrev_b32_e32 v26, 30, v1
	v_xor_b32_e32 v2, vcc_hi, v4
	v_xor_b32_e32 v3, vcc_lo, v3
	v_cmp_gt_i64_e32 vcc, 0, v[25:26]
	v_not_b32_e32 v4, v26
	v_ashrrev_i32_e32 v4, 31, v4
	v_and_b32_e32 v3, exec_lo, v3
	v_xor_b32_e32 v16, vcc_hi, v4
	v_xor_b32_e32 v4, vcc_lo, v4
	v_lshlrev_b32_e32 v26, 29, v1
	v_and_b32_e32 v3, v3, v4
	v_cmp_gt_i64_e32 vcc, 0, v[25:26]
	v_not_b32_e32 v4, v26
	v_and_b32_e32 v2, exec_hi, v2
	v_ashrrev_i32_e32 v4, 31, v4
	v_and_b32_e32 v2, v2, v16
	v_xor_b32_e32 v16, vcc_hi, v4
	v_xor_b32_e32 v4, vcc_lo, v4
	v_lshlrev_b32_e32 v26, 28, v1
	v_and_b32_e32 v3, v3, v4
	v_cmp_gt_i64_e32 vcc, 0, v[25:26]
	v_not_b32_e32 v4, v26
	v_ashrrev_i32_e32 v4, 31, v4
	v_and_b32_e32 v2, v2, v16
	v_xor_b32_e32 v16, vcc_hi, v4
	v_xor_b32_e32 v4, vcc_lo, v4
	v_lshlrev_b32_e32 v26, 27, v1
	v_and_b32_e32 v3, v3, v4
	v_cmp_gt_i64_e32 vcc, 0, v[25:26]
	v_not_b32_e32 v4, v26
	;; [unrolled: 8-line block ×4, first 2 shown]
	v_ashrrev_i32_e32 v4, 31, v4
	v_lshlrev_b32_e32 v26, 24, v1
	v_and_b32_e32 v2, v2, v16
	v_xor_b32_e32 v16, vcc_hi, v4
	v_xor_b32_e32 v4, vcc_lo, v4
	v_cmp_gt_i64_e32 vcc, 0, v[25:26]
	v_not_b32_e32 v1, v26
	v_ashrrev_i32_e32 v1, 31, v1
	v_and_b32_e32 v3, v3, v4
	v_xor_b32_e32 v4, vcc_hi, v1
	v_xor_b32_e32 v1, vcc_lo, v1
	; wave barrier
	ds_read_b32 v14, v15 offset:8
	v_and_b32_e32 v2, v2, v16
	v_and_b32_e32 v1, v3, v1
	v_and_b32_e32 v2, v2, v4
	v_mbcnt_lo_u32_b32 v3, v1, 0
	v_mbcnt_hi_u32_b32 v16, v2, v3
	v_cmp_ne_u64_e32 vcc, 0, v[1:2]
	v_cmp_eq_u32_e64 s[34:35], 0, v16
	s_and_b64 s[44:45], vcc, s[34:35]
	; wave barrier
	s_and_saveexec_b64 s[34:35], s[44:45]
	s_cbranch_execz .LBB109_10
; %bb.9:                                ;   in Loop: Header=BB109_4 Depth=2
	v_bcnt_u32_b32 v1, v1, 0
	v_bcnt_u32_b32 v1, v2, v1
	s_waitcnt lgkmcnt(0)
	v_add_u32_e32 v1, v14, v1
	ds_write_b32 v15, v1 offset:8
.LBB109_10:                             ;   in Loop: Header=BB109_4 Depth=2
	s_or_b64 exec, exec, s[34:35]
	v_lshrrev_b64 v[1:2], v21, v[23:24]
	v_lshlrev_b32_e32 v2, 3, v1
	v_and_b32_e32 v2, 0x7f8, v2
	v_add_u32_e32 v18, v48, v2
	v_and_b32_e32 v2, 1, v1
	v_add_co_u32_e32 v3, vcc, -1, v2
	v_addc_co_u32_e64 v4, s[34:35], 0, -1, vcc
	v_cmp_ne_u32_e32 vcc, 0, v2
	v_lshlrev_b32_e32 v26, 30, v1
	v_xor_b32_e32 v2, vcc_hi, v4
	v_xor_b32_e32 v3, vcc_lo, v3
	v_cmp_gt_i64_e32 vcc, 0, v[25:26]
	v_not_b32_e32 v4, v26
	v_ashrrev_i32_e32 v4, 31, v4
	v_and_b32_e32 v3, exec_lo, v3
	v_xor_b32_e32 v19, vcc_hi, v4
	v_xor_b32_e32 v4, vcc_lo, v4
	v_lshlrev_b32_e32 v26, 29, v1
	v_and_b32_e32 v3, v3, v4
	v_cmp_gt_i64_e32 vcc, 0, v[25:26]
	v_not_b32_e32 v4, v26
	v_and_b32_e32 v2, exec_hi, v2
	v_ashrrev_i32_e32 v4, 31, v4
	v_and_b32_e32 v2, v2, v19
	v_xor_b32_e32 v19, vcc_hi, v4
	v_xor_b32_e32 v4, vcc_lo, v4
	v_lshlrev_b32_e32 v26, 28, v1
	v_and_b32_e32 v3, v3, v4
	v_cmp_gt_i64_e32 vcc, 0, v[25:26]
	v_not_b32_e32 v4, v26
	v_ashrrev_i32_e32 v4, 31, v4
	v_and_b32_e32 v2, v2, v19
	v_xor_b32_e32 v19, vcc_hi, v4
	v_xor_b32_e32 v4, vcc_lo, v4
	v_lshlrev_b32_e32 v26, 27, v1
	v_and_b32_e32 v3, v3, v4
	v_cmp_gt_i64_e32 vcc, 0, v[25:26]
	v_not_b32_e32 v4, v26
	;; [unrolled: 8-line block ×4, first 2 shown]
	v_ashrrev_i32_e32 v4, 31, v4
	v_lshlrev_b32_e32 v26, 24, v1
	v_and_b32_e32 v2, v2, v19
	v_xor_b32_e32 v19, vcc_hi, v4
	v_xor_b32_e32 v4, vcc_lo, v4
	v_cmp_gt_i64_e32 vcc, 0, v[25:26]
	v_not_b32_e32 v1, v26
	v_ashrrev_i32_e32 v1, 31, v1
	v_and_b32_e32 v3, v3, v4
	v_xor_b32_e32 v4, vcc_hi, v1
	v_xor_b32_e32 v1, vcc_lo, v1
	; wave barrier
	ds_read_b32 v17, v18 offset:8
	v_and_b32_e32 v2, v2, v19
	v_and_b32_e32 v1, v3, v1
	v_and_b32_e32 v2, v2, v4
	v_mbcnt_lo_u32_b32 v3, v1, 0
	v_mbcnt_hi_u32_b32 v19, v2, v3
	v_cmp_ne_u64_e32 vcc, 0, v[1:2]
	v_cmp_eq_u32_e64 s[34:35], 0, v19
	s_and_b64 s[44:45], vcc, s[34:35]
	; wave barrier
	s_and_saveexec_b64 s[34:35], s[44:45]
	s_cbranch_execz .LBB109_12
; %bb.11:                               ;   in Loop: Header=BB109_4 Depth=2
	v_bcnt_u32_b32 v1, v1, 0
	v_bcnt_u32_b32 v1, v2, v1
	s_waitcnt lgkmcnt(0)
	v_add_u32_e32 v1, v17, v1
	ds_write_b32 v18, v1 offset:8
.LBB109_12:                             ;   in Loop: Header=BB109_4 Depth=2
	s_or_b64 exec, exec, s[34:35]
	; wave barrier
	s_waitcnt lgkmcnt(0)
	s_barrier
	ds_read2_b64 v[1:4], v37 offset0:1 offset1:2
	s_waitcnt lgkmcnt(0)
	v_add_u32_e32 v20, v2, v1
	v_add3_u32 v4, v20, v3, v4
	s_nop 1
	v_mov_b32_dpp v20, v4 row_shr:1 row_mask:0xf bank_mask:0xf
	v_cndmask_b32_e64 v20, v20, 0, s[20:21]
	v_add_u32_e32 v4, v20, v4
	s_nop 1
	v_mov_b32_dpp v20, v4 row_shr:2 row_mask:0xf bank_mask:0xf
	v_cndmask_b32_e64 v20, 0, v20, s[22:23]
	v_add_u32_e32 v4, v4, v20
	;; [unrolled: 4-line block ×4, first 2 shown]
	s_nop 1
	v_mov_b32_dpp v20, v4 row_bcast:15 row_mask:0xf bank_mask:0xf
	v_cndmask_b32_e64 v20, v20, 0, s[28:29]
	v_add_u32_e32 v4, v4, v20
	s_nop 1
	v_mov_b32_dpp v20, v4 row_bcast:31 row_mask:0xf bank_mask:0xf
	v_cndmask_b32_e64 v20, 0, v20, s[6:7]
	v_add_u32_e32 v4, v4, v20
	s_and_saveexec_b64 s[34:35], s[8:9]
; %bb.13:                               ;   in Loop: Header=BB109_4 Depth=2
	ds_write_b32 v38, v4
; %bb.14:                               ;   in Loop: Header=BB109_4 Depth=2
	s_or_b64 exec, exec, s[34:35]
	s_waitcnt lgkmcnt(0)
	s_barrier
	s_and_saveexec_b64 s[34:35], s[0:1]
	s_cbranch_execz .LBB109_16
; %bb.15:                               ;   in Loop: Header=BB109_4 Depth=2
	ds_read_b32 v20, v39
	s_waitcnt lgkmcnt(0)
	s_nop 0
	v_mov_b32_dpp v26, v20 row_shr:1 row_mask:0xf bank_mask:0xf
	v_cndmask_b32_e64 v26, v26, 0, s[30:31]
	v_add_u32_e32 v20, v26, v20
	ds_write_b32 v39, v20
.LBB109_16:                             ;   in Loop: Header=BB109_4 Depth=2
	s_or_b64 exec, exec, s[34:35]
	v_mov_b32_e32 v20, 0
	s_waitcnt lgkmcnt(0)
	s_barrier
	s_and_saveexec_b64 s[34:35], s[2:3]
; %bb.17:                               ;   in Loop: Header=BB109_4 Depth=2
	ds_read_b32 v20, v40
; %bb.18:                               ;   in Loop: Header=BB109_4 Depth=2
	s_or_b64 exec, exec, s[34:35]
	s_waitcnt lgkmcnt(0)
	v_add_u32_e32 v4, v20, v4
	ds_bpermute_b32 v4, v44, v4
	v_cmp_lt_u32_e32 vcc, 55, v21
	s_and_b64 vcc, exec, vcc
	s_mov_b64 s[34:35], -1
	s_waitcnt lgkmcnt(0)
	v_cndmask_b32_e64 v4, v4, v20, s[10:11]
	v_cndmask_b32_e64 v49, v4, 0, s[4:5]
	v_add_u32_e32 v50, v49, v1
	v_add_u32_e32 v1, v50, v2
	;; [unrolled: 1-line block ×3, first 2 shown]
	ds_write2_b64 v37, v[49:50], v[1:2] offset0:1 offset1:2
	s_waitcnt lgkmcnt(0)
	s_barrier
	ds_read_b32 v1, v5 offset:8
	ds_read_b32 v2, v8 offset:8
	;; [unrolled: 1-line block ×4, first 2 shown]
	s_waitcnt lgkmcnt(3)
	v_add_u32_e32 v51, v1, v6
	s_waitcnt lgkmcnt(2)
	v_add3_u32 v50, v13, v7, v2
	s_waitcnt lgkmcnt(1)
	v_add3_u32 v49, v16, v14, v3
	;; [unrolled: 2-line block ×3, first 2 shown]
                                        ; implicit-def: $vgpr7_vgpr8
                                        ; implicit-def: $vgpr3_vgpr4
                                        ; implicit-def: $vgpr13_vgpr14
                                        ; implicit-def: $vgpr17_vgpr18
	s_cbranch_vccnz .LBB109_3
; %bb.19:                               ;   in Loop: Header=BB109_4 Depth=2
	v_lshlrev_b32_e32 v13, 3, v51
	v_lshlrev_b32_e32 v14, 3, v50
	;; [unrolled: 1-line block ×4, first 2 shown]
	s_barrier
	ds_write_b64 v13, v[35:36]
	ds_write_b64 v14, v[33:34]
	ds_write_b64 v15, v[31:32]
	ds_write_b64 v16, v[23:24]
	s_waitcnt lgkmcnt(0)
	s_barrier
	ds_read2st64_b64 v[1:4], v41 offset1:1
	ds_read2st64_b64 v[5:8], v41 offset0:2 offset1:3
	s_waitcnt lgkmcnt(0)
	s_barrier
	ds_write_b64 v13, v[29:30]
	ds_write_b64 v14, v[27:28]
	;; [unrolled: 1-line block ×4, first 2 shown]
	s_waitcnt lgkmcnt(0)
	s_barrier
	ds_read2st64_b64 v[13:16], v41 offset1:1
	ds_read2st64_b64 v[17:20], v41 offset0:2 offset1:3
	v_add_co_u32_e32 v21, vcc, 8, v21
	v_addc_co_u32_e32 v22, vcc, 0, v22, vcc
	s_mov_b64 s[34:35], 0
	s_waitcnt lgkmcnt(0)
	s_barrier
	s_branch .LBB109_3
.LBB109_20:
	s_waitcnt lgkmcnt(1)
	v_add_co_u32_e32 v1, vcc, v17, v21
	v_addc_co_u32_e32 v2, vcc, v18, v22, vcc
	v_add_co_u32_e32 v3, vcc, v19, v23
	v_addc_co_u32_e32 v4, vcc, v20, v24, vcc
	s_waitcnt lgkmcnt(0)
	v_add_co_u32_e32 v5, vcc, v9, v13
	v_addc_co_u32_e32 v6, vcc, v10, v14, vcc
	s_add_u32 s0, s38, s40
	v_add_co_u32_e32 v7, vcc, v11, v15
	s_addc_u32 s1, s39, s41
	v_lshlrev_b32_e32 v0, 3, v0
	v_addc_co_u32_e32 v8, vcc, v12, v16, vcc
	global_store_dwordx2 v0, v[1:2], s[0:1]
	global_store_dwordx2 v0, v[3:4], s[0:1] offset:1024
	global_store_dwordx2 v0, v[5:6], s[0:1] offset:2048
	;; [unrolled: 1-line block ×3, first 2 shown]
	s_endpgm
	.section	.rodata,"a",@progbits
	.p2align	6, 0x0
	.amdhsa_kernel _Z17sort_pairs_kernelI22helper_blocked_blockedxLj128ELj4ELj10EEvPKT0_PS1_
		.amdhsa_group_segment_fixed_size 4096
		.amdhsa_private_segment_fixed_size 0
		.amdhsa_kernarg_size 272
		.amdhsa_user_sgpr_count 6
		.amdhsa_user_sgpr_private_segment_buffer 1
		.amdhsa_user_sgpr_dispatch_ptr 0
		.amdhsa_user_sgpr_queue_ptr 0
		.amdhsa_user_sgpr_kernarg_segment_ptr 1
		.amdhsa_user_sgpr_dispatch_id 0
		.amdhsa_user_sgpr_flat_scratch_init 0
		.amdhsa_user_sgpr_private_segment_size 0
		.amdhsa_uses_dynamic_stack 0
		.amdhsa_system_sgpr_private_segment_wavefront_offset 0
		.amdhsa_system_sgpr_workgroup_id_x 1
		.amdhsa_system_sgpr_workgroup_id_y 0
		.amdhsa_system_sgpr_workgroup_id_z 0
		.amdhsa_system_sgpr_workgroup_info 0
		.amdhsa_system_vgpr_workitem_id 2
		.amdhsa_next_free_vgpr 52
		.amdhsa_next_free_sgpr 61
		.amdhsa_reserve_vcc 1
		.amdhsa_reserve_flat_scratch 0
		.amdhsa_float_round_mode_32 0
		.amdhsa_float_round_mode_16_64 0
		.amdhsa_float_denorm_mode_32 3
		.amdhsa_float_denorm_mode_16_64 3
		.amdhsa_dx10_clamp 1
		.amdhsa_ieee_mode 1
		.amdhsa_fp16_overflow 0
		.amdhsa_exception_fp_ieee_invalid_op 0
		.amdhsa_exception_fp_denorm_src 0
		.amdhsa_exception_fp_ieee_div_zero 0
		.amdhsa_exception_fp_ieee_overflow 0
		.amdhsa_exception_fp_ieee_underflow 0
		.amdhsa_exception_fp_ieee_inexact 0
		.amdhsa_exception_int_div_zero 0
	.end_amdhsa_kernel
	.section	.text._Z17sort_pairs_kernelI22helper_blocked_blockedxLj128ELj4ELj10EEvPKT0_PS1_,"axG",@progbits,_Z17sort_pairs_kernelI22helper_blocked_blockedxLj128ELj4ELj10EEvPKT0_PS1_,comdat
.Lfunc_end109:
	.size	_Z17sort_pairs_kernelI22helper_blocked_blockedxLj128ELj4ELj10EEvPKT0_PS1_, .Lfunc_end109-_Z17sort_pairs_kernelI22helper_blocked_blockedxLj128ELj4ELj10EEvPKT0_PS1_
                                        ; -- End function
	.set _Z17sort_pairs_kernelI22helper_blocked_blockedxLj128ELj4ELj10EEvPKT0_PS1_.num_vgpr, 52
	.set _Z17sort_pairs_kernelI22helper_blocked_blockedxLj128ELj4ELj10EEvPKT0_PS1_.num_agpr, 0
	.set _Z17sort_pairs_kernelI22helper_blocked_blockedxLj128ELj4ELj10EEvPKT0_PS1_.numbered_sgpr, 46
	.set _Z17sort_pairs_kernelI22helper_blocked_blockedxLj128ELj4ELj10EEvPKT0_PS1_.num_named_barrier, 0
	.set _Z17sort_pairs_kernelI22helper_blocked_blockedxLj128ELj4ELj10EEvPKT0_PS1_.private_seg_size, 0
	.set _Z17sort_pairs_kernelI22helper_blocked_blockedxLj128ELj4ELj10EEvPKT0_PS1_.uses_vcc, 1
	.set _Z17sort_pairs_kernelI22helper_blocked_blockedxLj128ELj4ELj10EEvPKT0_PS1_.uses_flat_scratch, 0
	.set _Z17sort_pairs_kernelI22helper_blocked_blockedxLj128ELj4ELj10EEvPKT0_PS1_.has_dyn_sized_stack, 0
	.set _Z17sort_pairs_kernelI22helper_blocked_blockedxLj128ELj4ELj10EEvPKT0_PS1_.has_recursion, 0
	.set _Z17sort_pairs_kernelI22helper_blocked_blockedxLj128ELj4ELj10EEvPKT0_PS1_.has_indirect_call, 0
	.section	.AMDGPU.csdata,"",@progbits
; Kernel info:
; codeLenInByte = 4212
; TotalNumSgprs: 50
; NumVgprs: 52
; ScratchSize: 0
; MemoryBound: 0
; FloatMode: 240
; IeeeMode: 1
; LDSByteSize: 4096 bytes/workgroup (compile time only)
; SGPRBlocks: 8
; VGPRBlocks: 12
; NumSGPRsForWavesPerEU: 65
; NumVGPRsForWavesPerEU: 52
; Occupancy: 4
; WaveLimiterHint : 1
; COMPUTE_PGM_RSRC2:SCRATCH_EN: 0
; COMPUTE_PGM_RSRC2:USER_SGPR: 6
; COMPUTE_PGM_RSRC2:TRAP_HANDLER: 0
; COMPUTE_PGM_RSRC2:TGID_X_EN: 1
; COMPUTE_PGM_RSRC2:TGID_Y_EN: 0
; COMPUTE_PGM_RSRC2:TGID_Z_EN: 0
; COMPUTE_PGM_RSRC2:TIDIG_COMP_CNT: 2
	.section	.text._Z16sort_keys_kernelI22helper_blocked_blockedxLj128ELj8ELj10EEvPKT0_PS1_,"axG",@progbits,_Z16sort_keys_kernelI22helper_blocked_blockedxLj128ELj8ELj10EEvPKT0_PS1_,comdat
	.protected	_Z16sort_keys_kernelI22helper_blocked_blockedxLj128ELj8ELj10EEvPKT0_PS1_ ; -- Begin function _Z16sort_keys_kernelI22helper_blocked_blockedxLj128ELj8ELj10EEvPKT0_PS1_
	.globl	_Z16sort_keys_kernelI22helper_blocked_blockedxLj128ELj8ELj10EEvPKT0_PS1_
	.p2align	8
	.type	_Z16sort_keys_kernelI22helper_blocked_blockedxLj128ELj8ELj10EEvPKT0_PS1_,@function
_Z16sort_keys_kernelI22helper_blocked_blockedxLj128ELj8ELj10EEvPKT0_PS1_: ; @_Z16sort_keys_kernelI22helper_blocked_blockedxLj128ELj8ELj10EEvPKT0_PS1_
; %bb.0:
	s_load_dwordx4 s[24:27], s[4:5], 0x0
	s_load_dword s2, s[4:5], 0x1c
	s_lshl_b32 s28, s6, 10
	s_mov_b32 s29, 0
	s_lshl_b64 s[30:31], s[28:29], 3
	s_waitcnt lgkmcnt(0)
	s_add_u32 s0, s24, s30
	s_addc_u32 s1, s25, s31
	v_lshlrev_b32_e32 v3, 3, v0
	v_mov_b32_e32 v4, s1
	v_add_co_u32_e32 v5, vcc, s0, v3
	v_addc_co_u32_e32 v4, vcc, 0, v4, vcc
	global_load_dwordx2 v[15:16], v3, s[0:1]
	global_load_dwordx2 v[17:18], v3, s[0:1] offset:1024
	global_load_dwordx2 v[11:12], v3, s[0:1] offset:2048
	;; [unrolled: 1-line block ×3, first 2 shown]
	s_movk_i32 s0, 0x1000
	v_add_co_u32_e32 v19, vcc, s0, v5
	v_addc_co_u32_e32 v20, vcc, 0, v4, vcc
	global_load_dwordx2 v[7:8], v[19:20], off
	global_load_dwordx2 v[9:10], v[19:20], off offset:1024
	global_load_dwordx2 v[3:4], v[19:20], off offset:2048
	;; [unrolled: 1-line block ×3, first 2 shown]
	v_mbcnt_lo_u32_b32 v20, -1, 0
	v_mbcnt_hi_u32_b32 v20, -1, v20
	s_lshr_b32 s0, s2, 16
	s_and_b32 s1, s2, 0xffff
	v_mad_u32_u24 v1, v2, s0, v1
	v_and_b32_e32 v2, 15, v20
	v_and_b32_e32 v21, 64, v0
	v_mad_u32_u24 v1, v1, s1, v0
	v_cmp_eq_u32_e64 s[0:1], 0, v2
	v_cmp_lt_u32_e64 s[2:3], 1, v2
	v_cmp_lt_u32_e64 s[4:5], 3, v2
	;; [unrolled: 1-line block ×3, first 2 shown]
	v_and_b32_e32 v2, 16, v20
	v_cmp_eq_u32_e64 s[8:9], 0, v2
	v_or_b32_e32 v2, 63, v21
	v_add_lshl_u32 v41, v20, v21, 6
	v_cmp_eq_u32_e64 s[12:13], v0, v2
	v_subrev_co_u32_e64 v2, s[18:19], 1, v20
	v_and_b32_e32 v21, 64, v20
	v_cmp_lt_i32_e32 vcc, v2, v21
	v_lshlrev_b32_e32 v22, 6, v0
	v_cndmask_b32_e32 v2, v2, v20, vcc
	v_and_b32_e32 v22, 0x1000, v22
	v_lshlrev_b32_e32 v43, 4, v0
	v_lshlrev_b32_e32 v44, 2, v2
	v_lshrrev_b32_e32 v2, 4, v0
	v_lshrrev_b32_e32 v1, 4, v1
	s_mov_b32 s28, s29
	s_mov_b32 s24, s29
	v_lshl_or_b32 v42, v20, 3, v22
	v_and_b32_e32 v45, 4, v2
	v_mad_i32_i24 v46, v0, -12, v43
	v_and_b32_e32 v2, 1, v20
	v_and_b32_e32 v48, 0xffffffc, v1
	v_mul_u32_u24_e32 v1, 60, v0
	s_mov_b32 s25, s29
	v_mov_b32_e32 v21, s28
	v_mov_b32_e32 v23, s24
	;; [unrolled: 1-line block ×3, first 2 shown]
	v_cmp_lt_u32_e64 s[10:11], 31, v20
	v_cmp_gt_u32_e64 s[14:15], 2, v0
	v_cmp_lt_u32_e64 s[16:17], 63, v0
	v_cmp_eq_u32_e64 s[20:21], 0, v0
	v_cmp_eq_u32_e64 s[22:23], 0, v2
	v_add_u32_e32 v47, -4, v45
	v_mov_b32_e32 v22, s29
	v_mov_b32_e32 v24, s25
	v_add_u32_e32 v49, v46, v1
	s_branch .LBB110_2
.LBB110_1:                              ;   in Loop: Header=BB110_2 Depth=1
	v_lshlrev_b32_e32 v1, 3, v61
	s_barrier
	ds_write_b64 v1, v[39:40]
	v_lshlrev_b32_e32 v1, 3, v60
	ds_write_b64 v1, v[37:38]
	v_lshlrev_b32_e32 v1, 3, v59
	;; [unrolled: 2-line block ×7, first 2 shown]
	ds_write_b64 v1, v[17:18]
	s_waitcnt lgkmcnt(0)
	s_barrier
	ds_read2_b64 v[15:18], v49 offset1:1
	ds_read2_b64 v[11:14], v49 offset0:2 offset1:3
	ds_read2_b64 v[7:10], v49 offset0:4 offset1:5
	;; [unrolled: 1-line block ×3, first 2 shown]
	s_add_i32 s29, s29, 1
	s_waitcnt lgkmcnt(3)
	v_xor_b32_e32 v16, 0x80000000, v16
	v_xor_b32_e32 v18, 0x80000000, v18
	s_waitcnt lgkmcnt(2)
	v_xor_b32_e32 v12, 0x80000000, v12
	v_xor_b32_e32 v14, 0x80000000, v14
	;; [unrolled: 3-line block ×3, first 2 shown]
	s_waitcnt lgkmcnt(0)
	v_xor_b32_e32 v4, 0x80000000, v4
	s_cmp_eq_u32 s29, 10
	v_xor_b32_e32 v6, 0x80000000, v6
	s_cbranch_scc1 .LBB110_28
.LBB110_2:                              ; =>This Loop Header: Depth=1
                                        ;     Child Loop BB110_4 Depth 2
	s_waitcnt vmcnt(7)
	v_xor_b32_e32 v16, 0x80000000, v16
	s_waitcnt vmcnt(6)
	v_xor_b32_e32 v18, 0x80000000, v18
	s_waitcnt vmcnt(5)
	v_xor_b32_e32 v12, 0x80000000, v12
	s_waitcnt vmcnt(4)
	v_xor_b32_e32 v14, 0x80000000, v14
	s_waitcnt vmcnt(3)
	v_xor_b32_e32 v8, 0x80000000, v8
	s_waitcnt vmcnt(2)
	v_xor_b32_e32 v10, 0x80000000, v10
	s_waitcnt vmcnt(1)
	v_xor_b32_e32 v4, 0x80000000, v4
	s_waitcnt vmcnt(0)
	v_xor_b32_e32 v6, 0x80000000, v6
	ds_write2_b64 v41, v[15:16], v[17:18] offset1:1
	ds_write2_b64 v41, v[11:12], v[13:14] offset0:2 offset1:3
	ds_write2_b64 v41, v[7:8], v[9:10] offset0:4 offset1:5
	;; [unrolled: 1-line block ×3, first 2 shown]
	; wave barrier
	ds_read2st64_b64 v[1:4], v42 offset1:1
	ds_read2st64_b64 v[5:8], v42 offset0:2 offset1:3
	ds_read2st64_b64 v[9:12], v42 offset0:4 offset1:5
	;; [unrolled: 1-line block ×3, first 2 shown]
	v_mov_b32_e32 v29, 0
	v_mov_b32_e32 v30, 0
	s_waitcnt lgkmcnt(0)
	s_barrier
	; wave barrier
	s_barrier
	s_branch .LBB110_4
.LBB110_3:                              ;   in Loop: Header=BB110_4 Depth=2
	s_andn2_b64 vcc, exec, s[24:25]
	s_cbranch_vccz .LBB110_1
.LBB110_4:                              ;   Parent Loop BB110_2 Depth=1
                                        ; =>  This Inner Loop Header: Depth=2
	v_mov_b32_e32 v40, v2
	v_mov_b32_e32 v39, v1
	v_lshrrev_b64 v[1:2], v29, v[39:40]
	v_mov_b32_e32 v36, v6
	v_lshlrev_b32_e32 v2, 3, v1
	v_and_b32_e32 v2, 0x7f8, v2
	v_mov_b32_e32 v35, v5
	v_mov_b32_e32 v38, v4
	v_add_u32_e32 v5, v48, v2
	v_and_b32_e32 v2, 1, v1
	v_mov_b32_e32 v37, v3
	v_add_co_u32_e32 v3, vcc, -1, v2
	v_addc_co_u32_e64 v4, s[24:25], 0, -1, vcc
	v_cmp_ne_u32_e32 vcc, 0, v2
	v_lshlrev_b32_e32 v20, 30, v1
	v_xor_b32_e32 v2, vcc_hi, v4
	v_xor_b32_e32 v3, vcc_lo, v3
	v_cmp_gt_i64_e32 vcc, 0, v[19:20]
	v_not_b32_e32 v4, v20
	v_ashrrev_i32_e32 v4, 31, v4
	v_and_b32_e32 v3, exec_lo, v3
	v_xor_b32_e32 v6, vcc_hi, v4
	v_xor_b32_e32 v4, vcc_lo, v4
	v_lshlrev_b32_e32 v20, 29, v1
	v_and_b32_e32 v3, v3, v4
	v_cmp_gt_i64_e32 vcc, 0, v[19:20]
	v_not_b32_e32 v4, v20
	v_and_b32_e32 v2, exec_hi, v2
	v_ashrrev_i32_e32 v4, 31, v4
	v_and_b32_e32 v2, v2, v6
	v_xor_b32_e32 v6, vcc_hi, v4
	v_xor_b32_e32 v4, vcc_lo, v4
	v_lshlrev_b32_e32 v20, 28, v1
	v_and_b32_e32 v3, v3, v4
	v_cmp_gt_i64_e32 vcc, 0, v[19:20]
	v_not_b32_e32 v4, v20
	v_ashrrev_i32_e32 v4, 31, v4
	v_and_b32_e32 v2, v2, v6
	v_xor_b32_e32 v6, vcc_hi, v4
	v_xor_b32_e32 v4, vcc_lo, v4
	v_lshlrev_b32_e32 v20, 27, v1
	v_and_b32_e32 v3, v3, v4
	v_cmp_gt_i64_e32 vcc, 0, v[19:20]
	v_not_b32_e32 v4, v20
	;; [unrolled: 8-line block ×4, first 2 shown]
	v_ashrrev_i32_e32 v4, 31, v4
	v_lshlrev_b32_e32 v20, 24, v1
	v_and_b32_e32 v2, v2, v6
	v_xor_b32_e32 v6, vcc_hi, v4
	v_xor_b32_e32 v4, vcc_lo, v4
	v_cmp_gt_i64_e32 vcc, 0, v[19:20]
	v_not_b32_e32 v1, v20
	v_ashrrev_i32_e32 v1, 31, v1
	v_and_b32_e32 v3, v3, v4
	v_xor_b32_e32 v4, vcc_hi, v1
	v_xor_b32_e32 v1, vcc_lo, v1
	v_and_b32_e32 v2, v2, v6
	v_and_b32_e32 v1, v3, v1
	;; [unrolled: 1-line block ×3, first 2 shown]
	v_mbcnt_lo_u32_b32 v3, v1, 0
	v_mbcnt_hi_u32_b32 v6, v2, v3
	v_cmp_ne_u64_e32 vcc, 0, v[1:2]
	v_mov_b32_e32 v18, v16
	v_mov_b32_e32 v26, v14
	;; [unrolled: 1-line block ×5, first 2 shown]
	v_cmp_eq_u32_e64 s[24:25], 0, v6
	v_mov_b32_e32 v17, v15
	v_mov_b32_e32 v25, v13
	;; [unrolled: 1-line block ×5, first 2 shown]
	s_and_b64 s[34:35], vcc, s[24:25]
	ds_write2_b64 v43, v[21:22], v[23:24] offset0:1 offset1:2
	s_waitcnt lgkmcnt(0)
	s_barrier
	; wave barrier
	s_and_saveexec_b64 s[24:25], s[34:35]
; %bb.5:                                ;   in Loop: Header=BB110_4 Depth=2
	v_bcnt_u32_b32 v1, v1, 0
	v_bcnt_u32_b32 v1, v2, v1
	ds_write_b32 v5, v1 offset:8
; %bb.6:                                ;   in Loop: Header=BB110_4 Depth=2
	s_or_b64 exec, exec, s[24:25]
	v_lshrrev_b64 v[1:2], v29, v[37:38]
	v_lshlrev_b32_e32 v2, 3, v1
	v_and_b32_e32 v2, 0x7f8, v2
	v_add_u32_e32 v8, v48, v2
	v_and_b32_e32 v2, 1, v1
	v_add_co_u32_e32 v3, vcc, -1, v2
	v_addc_co_u32_e64 v4, s[24:25], 0, -1, vcc
	v_cmp_ne_u32_e32 vcc, 0, v2
	v_lshlrev_b32_e32 v20, 30, v1
	v_xor_b32_e32 v2, vcc_hi, v4
	v_xor_b32_e32 v3, vcc_lo, v3
	v_cmp_gt_i64_e32 vcc, 0, v[19:20]
	v_not_b32_e32 v4, v20
	v_ashrrev_i32_e32 v4, 31, v4
	v_and_b32_e32 v3, exec_lo, v3
	v_xor_b32_e32 v9, vcc_hi, v4
	v_xor_b32_e32 v4, vcc_lo, v4
	v_lshlrev_b32_e32 v20, 29, v1
	v_and_b32_e32 v3, v3, v4
	v_cmp_gt_i64_e32 vcc, 0, v[19:20]
	v_not_b32_e32 v4, v20
	v_and_b32_e32 v2, exec_hi, v2
	v_ashrrev_i32_e32 v4, 31, v4
	v_and_b32_e32 v2, v2, v9
	v_xor_b32_e32 v9, vcc_hi, v4
	v_xor_b32_e32 v4, vcc_lo, v4
	v_lshlrev_b32_e32 v20, 28, v1
	v_and_b32_e32 v3, v3, v4
	v_cmp_gt_i64_e32 vcc, 0, v[19:20]
	v_not_b32_e32 v4, v20
	v_ashrrev_i32_e32 v4, 31, v4
	v_and_b32_e32 v2, v2, v9
	v_xor_b32_e32 v9, vcc_hi, v4
	v_xor_b32_e32 v4, vcc_lo, v4
	v_lshlrev_b32_e32 v20, 27, v1
	v_and_b32_e32 v3, v3, v4
	v_cmp_gt_i64_e32 vcc, 0, v[19:20]
	v_not_b32_e32 v4, v20
	;; [unrolled: 8-line block ×4, first 2 shown]
	v_ashrrev_i32_e32 v4, 31, v4
	v_lshlrev_b32_e32 v20, 24, v1
	v_and_b32_e32 v2, v2, v9
	v_xor_b32_e32 v9, vcc_hi, v4
	v_xor_b32_e32 v4, vcc_lo, v4
	v_cmp_gt_i64_e32 vcc, 0, v[19:20]
	v_not_b32_e32 v1, v20
	v_ashrrev_i32_e32 v1, 31, v1
	v_and_b32_e32 v3, v3, v4
	v_xor_b32_e32 v4, vcc_hi, v1
	v_xor_b32_e32 v1, vcc_lo, v1
	; wave barrier
	ds_read_b32 v7, v8 offset:8
	v_and_b32_e32 v2, v2, v9
	v_and_b32_e32 v1, v3, v1
	;; [unrolled: 1-line block ×3, first 2 shown]
	v_mbcnt_lo_u32_b32 v3, v1, 0
	v_mbcnt_hi_u32_b32 v9, v2, v3
	v_cmp_ne_u64_e32 vcc, 0, v[1:2]
	v_cmp_eq_u32_e64 s[24:25], 0, v9
	s_and_b64 s[34:35], vcc, s[24:25]
	; wave barrier
	s_and_saveexec_b64 s[24:25], s[34:35]
	s_cbranch_execz .LBB110_8
; %bb.7:                                ;   in Loop: Header=BB110_4 Depth=2
	v_bcnt_u32_b32 v1, v1, 0
	v_bcnt_u32_b32 v1, v2, v1
	s_waitcnt lgkmcnt(0)
	v_add_u32_e32 v1, v7, v1
	ds_write_b32 v8, v1 offset:8
.LBB110_8:                              ;   in Loop: Header=BB110_4 Depth=2
	s_or_b64 exec, exec, s[24:25]
	v_lshrrev_b64 v[1:2], v29, v[35:36]
	v_lshlrev_b32_e32 v2, 3, v1
	v_and_b32_e32 v2, 0x7f8, v2
	v_add_u32_e32 v11, v48, v2
	v_and_b32_e32 v2, 1, v1
	v_add_co_u32_e32 v3, vcc, -1, v2
	v_addc_co_u32_e64 v4, s[24:25], 0, -1, vcc
	v_cmp_ne_u32_e32 vcc, 0, v2
	v_lshlrev_b32_e32 v20, 30, v1
	v_xor_b32_e32 v2, vcc_hi, v4
	v_xor_b32_e32 v3, vcc_lo, v3
	v_cmp_gt_i64_e32 vcc, 0, v[19:20]
	v_not_b32_e32 v4, v20
	v_ashrrev_i32_e32 v4, 31, v4
	v_and_b32_e32 v3, exec_lo, v3
	v_xor_b32_e32 v12, vcc_hi, v4
	v_xor_b32_e32 v4, vcc_lo, v4
	v_lshlrev_b32_e32 v20, 29, v1
	v_and_b32_e32 v3, v3, v4
	v_cmp_gt_i64_e32 vcc, 0, v[19:20]
	v_not_b32_e32 v4, v20
	v_and_b32_e32 v2, exec_hi, v2
	v_ashrrev_i32_e32 v4, 31, v4
	v_and_b32_e32 v2, v2, v12
	v_xor_b32_e32 v12, vcc_hi, v4
	v_xor_b32_e32 v4, vcc_lo, v4
	v_lshlrev_b32_e32 v20, 28, v1
	v_and_b32_e32 v3, v3, v4
	v_cmp_gt_i64_e32 vcc, 0, v[19:20]
	v_not_b32_e32 v4, v20
	v_ashrrev_i32_e32 v4, 31, v4
	v_and_b32_e32 v2, v2, v12
	v_xor_b32_e32 v12, vcc_hi, v4
	v_xor_b32_e32 v4, vcc_lo, v4
	v_lshlrev_b32_e32 v20, 27, v1
	v_and_b32_e32 v3, v3, v4
	v_cmp_gt_i64_e32 vcc, 0, v[19:20]
	v_not_b32_e32 v4, v20
	;; [unrolled: 8-line block ×4, first 2 shown]
	v_ashrrev_i32_e32 v4, 31, v4
	v_lshlrev_b32_e32 v20, 24, v1
	v_and_b32_e32 v2, v2, v12
	v_xor_b32_e32 v12, vcc_hi, v4
	v_xor_b32_e32 v4, vcc_lo, v4
	v_cmp_gt_i64_e32 vcc, 0, v[19:20]
	v_not_b32_e32 v1, v20
	v_ashrrev_i32_e32 v1, 31, v1
	v_and_b32_e32 v3, v3, v4
	v_xor_b32_e32 v4, vcc_hi, v1
	v_xor_b32_e32 v1, vcc_lo, v1
	; wave barrier
	ds_read_b32 v10, v11 offset:8
	v_and_b32_e32 v2, v2, v12
	v_and_b32_e32 v1, v3, v1
	;; [unrolled: 1-line block ×3, first 2 shown]
	v_mbcnt_lo_u32_b32 v3, v1, 0
	v_mbcnt_hi_u32_b32 v12, v2, v3
	v_cmp_ne_u64_e32 vcc, 0, v[1:2]
	v_cmp_eq_u32_e64 s[24:25], 0, v12
	s_and_b64 s[34:35], vcc, s[24:25]
	; wave barrier
	s_and_saveexec_b64 s[24:25], s[34:35]
	s_cbranch_execz .LBB110_10
; %bb.9:                                ;   in Loop: Header=BB110_4 Depth=2
	v_bcnt_u32_b32 v1, v1, 0
	v_bcnt_u32_b32 v1, v2, v1
	s_waitcnt lgkmcnt(0)
	v_add_u32_e32 v1, v10, v1
	ds_write_b32 v11, v1 offset:8
.LBB110_10:                             ;   in Loop: Header=BB110_4 Depth=2
	s_or_b64 exec, exec, s[24:25]
	v_lshrrev_b64 v[1:2], v29, v[33:34]
	v_lshlrev_b32_e32 v2, 3, v1
	v_and_b32_e32 v2, 0x7f8, v2
	v_add_u32_e32 v14, v48, v2
	v_and_b32_e32 v2, 1, v1
	v_add_co_u32_e32 v3, vcc, -1, v2
	v_addc_co_u32_e64 v4, s[24:25], 0, -1, vcc
	v_cmp_ne_u32_e32 vcc, 0, v2
	v_lshlrev_b32_e32 v20, 30, v1
	v_xor_b32_e32 v2, vcc_hi, v4
	v_xor_b32_e32 v3, vcc_lo, v3
	v_cmp_gt_i64_e32 vcc, 0, v[19:20]
	v_not_b32_e32 v4, v20
	v_ashrrev_i32_e32 v4, 31, v4
	v_and_b32_e32 v3, exec_lo, v3
	v_xor_b32_e32 v15, vcc_hi, v4
	v_xor_b32_e32 v4, vcc_lo, v4
	v_lshlrev_b32_e32 v20, 29, v1
	v_and_b32_e32 v3, v3, v4
	v_cmp_gt_i64_e32 vcc, 0, v[19:20]
	v_not_b32_e32 v4, v20
	v_and_b32_e32 v2, exec_hi, v2
	v_ashrrev_i32_e32 v4, 31, v4
	v_and_b32_e32 v2, v2, v15
	v_xor_b32_e32 v15, vcc_hi, v4
	v_xor_b32_e32 v4, vcc_lo, v4
	v_lshlrev_b32_e32 v20, 28, v1
	v_and_b32_e32 v3, v3, v4
	v_cmp_gt_i64_e32 vcc, 0, v[19:20]
	v_not_b32_e32 v4, v20
	v_ashrrev_i32_e32 v4, 31, v4
	v_and_b32_e32 v2, v2, v15
	v_xor_b32_e32 v15, vcc_hi, v4
	v_xor_b32_e32 v4, vcc_lo, v4
	v_lshlrev_b32_e32 v20, 27, v1
	v_and_b32_e32 v3, v3, v4
	v_cmp_gt_i64_e32 vcc, 0, v[19:20]
	v_not_b32_e32 v4, v20
	;; [unrolled: 8-line block ×4, first 2 shown]
	v_ashrrev_i32_e32 v4, 31, v4
	v_lshlrev_b32_e32 v20, 24, v1
	v_and_b32_e32 v2, v2, v15
	v_xor_b32_e32 v15, vcc_hi, v4
	v_xor_b32_e32 v4, vcc_lo, v4
	v_cmp_gt_i64_e32 vcc, 0, v[19:20]
	v_not_b32_e32 v1, v20
	v_ashrrev_i32_e32 v1, 31, v1
	v_and_b32_e32 v3, v3, v4
	v_xor_b32_e32 v4, vcc_hi, v1
	v_xor_b32_e32 v1, vcc_lo, v1
	; wave barrier
	ds_read_b32 v13, v14 offset:8
	v_and_b32_e32 v2, v2, v15
	v_and_b32_e32 v1, v3, v1
	v_and_b32_e32 v2, v2, v4
	v_mbcnt_lo_u32_b32 v3, v1, 0
	v_mbcnt_hi_u32_b32 v15, v2, v3
	v_cmp_ne_u64_e32 vcc, 0, v[1:2]
	v_cmp_eq_u32_e64 s[24:25], 0, v15
	s_and_b64 s[34:35], vcc, s[24:25]
	; wave barrier
	s_and_saveexec_b64 s[24:25], s[34:35]
	s_cbranch_execz .LBB110_12
; %bb.11:                               ;   in Loop: Header=BB110_4 Depth=2
	v_bcnt_u32_b32 v1, v1, 0
	v_bcnt_u32_b32 v1, v2, v1
	s_waitcnt lgkmcnt(0)
	v_add_u32_e32 v1, v13, v1
	ds_write_b32 v14, v1 offset:8
.LBB110_12:                             ;   in Loop: Header=BB110_4 Depth=2
	s_or_b64 exec, exec, s[24:25]
	v_lshrrev_b64 v[1:2], v29, v[31:32]
	v_lshlrev_b32_e32 v2, 3, v1
	v_and_b32_e32 v2, 0x7f8, v2
	v_add_u32_e32 v50, v48, v2
	v_and_b32_e32 v2, 1, v1
	v_add_co_u32_e32 v3, vcc, -1, v2
	v_addc_co_u32_e64 v4, s[24:25], 0, -1, vcc
	v_cmp_ne_u32_e32 vcc, 0, v2
	v_lshlrev_b32_e32 v20, 30, v1
	v_xor_b32_e32 v2, vcc_hi, v4
	v_xor_b32_e32 v3, vcc_lo, v3
	v_cmp_gt_i64_e32 vcc, 0, v[19:20]
	v_not_b32_e32 v4, v20
	v_ashrrev_i32_e32 v4, 31, v4
	v_and_b32_e32 v2, exec_hi, v2
	v_xor_b32_e32 v20, vcc_hi, v4
	v_and_b32_e32 v3, exec_lo, v3
	v_xor_b32_e32 v4, vcc_lo, v4
	v_and_b32_e32 v2, v2, v20
	v_lshlrev_b32_e32 v20, 29, v1
	v_and_b32_e32 v3, v3, v4
	v_cmp_gt_i64_e32 vcc, 0, v[19:20]
	v_not_b32_e32 v4, v20
	v_ashrrev_i32_e32 v4, 31, v4
	v_xor_b32_e32 v20, vcc_hi, v4
	v_xor_b32_e32 v4, vcc_lo, v4
	v_and_b32_e32 v2, v2, v20
	v_lshlrev_b32_e32 v20, 28, v1
	v_and_b32_e32 v3, v3, v4
	v_cmp_gt_i64_e32 vcc, 0, v[19:20]
	v_not_b32_e32 v4, v20
	v_ashrrev_i32_e32 v4, 31, v4
	v_xor_b32_e32 v20, vcc_hi, v4
	;; [unrolled: 8-line block ×5, first 2 shown]
	v_and_b32_e32 v2, v2, v20
	v_lshlrev_b32_e32 v20, 24, v1
	v_xor_b32_e32 v4, vcc_lo, v4
	v_cmp_gt_i64_e32 vcc, 0, v[19:20]
	v_not_b32_e32 v1, v20
	v_ashrrev_i32_e32 v1, 31, v1
	v_and_b32_e32 v3, v3, v4
	v_xor_b32_e32 v4, vcc_hi, v1
	v_xor_b32_e32 v1, vcc_lo, v1
	; wave barrier
	ds_read_b32 v16, v50 offset:8
	v_and_b32_e32 v1, v3, v1
	v_and_b32_e32 v2, v2, v4
	v_mbcnt_lo_u32_b32 v3, v1, 0
	v_mbcnt_hi_u32_b32 v51, v2, v3
	v_cmp_ne_u64_e32 vcc, 0, v[1:2]
	v_cmp_eq_u32_e64 s[24:25], 0, v51
	s_and_b64 s[34:35], vcc, s[24:25]
	; wave barrier
	s_and_saveexec_b64 s[24:25], s[34:35]
	s_cbranch_execz .LBB110_14
; %bb.13:                               ;   in Loop: Header=BB110_4 Depth=2
	v_bcnt_u32_b32 v1, v1, 0
	v_bcnt_u32_b32 v1, v2, v1
	s_waitcnt lgkmcnt(0)
	v_add_u32_e32 v1, v16, v1
	ds_write_b32 v50, v1 offset:8
.LBB110_14:                             ;   in Loop: Header=BB110_4 Depth=2
	s_or_b64 exec, exec, s[24:25]
	v_lshrrev_b64 v[1:2], v29, v[27:28]
	v_lshlrev_b32_e32 v2, 3, v1
	v_and_b32_e32 v2, 0x7f8, v2
	v_add_u32_e32 v53, v48, v2
	v_and_b32_e32 v2, 1, v1
	v_add_co_u32_e32 v3, vcc, -1, v2
	v_addc_co_u32_e64 v4, s[24:25], 0, -1, vcc
	v_cmp_ne_u32_e32 vcc, 0, v2
	v_lshlrev_b32_e32 v20, 30, v1
	v_xor_b32_e32 v2, vcc_hi, v4
	v_xor_b32_e32 v3, vcc_lo, v3
	v_cmp_gt_i64_e32 vcc, 0, v[19:20]
	v_not_b32_e32 v4, v20
	v_ashrrev_i32_e32 v4, 31, v4
	v_and_b32_e32 v2, exec_hi, v2
	v_xor_b32_e32 v20, vcc_hi, v4
	v_and_b32_e32 v3, exec_lo, v3
	v_xor_b32_e32 v4, vcc_lo, v4
	v_and_b32_e32 v2, v2, v20
	v_lshlrev_b32_e32 v20, 29, v1
	v_and_b32_e32 v3, v3, v4
	v_cmp_gt_i64_e32 vcc, 0, v[19:20]
	v_not_b32_e32 v4, v20
	v_ashrrev_i32_e32 v4, 31, v4
	v_xor_b32_e32 v20, vcc_hi, v4
	v_xor_b32_e32 v4, vcc_lo, v4
	v_and_b32_e32 v2, v2, v20
	v_lshlrev_b32_e32 v20, 28, v1
	v_and_b32_e32 v3, v3, v4
	v_cmp_gt_i64_e32 vcc, 0, v[19:20]
	v_not_b32_e32 v4, v20
	v_ashrrev_i32_e32 v4, 31, v4
	v_xor_b32_e32 v20, vcc_hi, v4
	;; [unrolled: 8-line block ×5, first 2 shown]
	v_and_b32_e32 v2, v2, v20
	v_lshlrev_b32_e32 v20, 24, v1
	v_xor_b32_e32 v4, vcc_lo, v4
	v_cmp_gt_i64_e32 vcc, 0, v[19:20]
	v_not_b32_e32 v1, v20
	v_ashrrev_i32_e32 v1, 31, v1
	v_and_b32_e32 v3, v3, v4
	v_xor_b32_e32 v4, vcc_hi, v1
	v_xor_b32_e32 v1, vcc_lo, v1
	; wave barrier
	ds_read_b32 v52, v53 offset:8
	v_and_b32_e32 v1, v3, v1
	v_and_b32_e32 v2, v2, v4
	v_mbcnt_lo_u32_b32 v3, v1, 0
	v_mbcnt_hi_u32_b32 v54, v2, v3
	v_cmp_ne_u64_e32 vcc, 0, v[1:2]
	v_cmp_eq_u32_e64 s[24:25], 0, v54
	s_and_b64 s[34:35], vcc, s[24:25]
	; wave barrier
	s_and_saveexec_b64 s[24:25], s[34:35]
	s_cbranch_execz .LBB110_16
; %bb.15:                               ;   in Loop: Header=BB110_4 Depth=2
	v_bcnt_u32_b32 v1, v1, 0
	v_bcnt_u32_b32 v1, v2, v1
	s_waitcnt lgkmcnt(0)
	v_add_u32_e32 v1, v52, v1
	ds_write_b32 v53, v1 offset:8
.LBB110_16:                             ;   in Loop: Header=BB110_4 Depth=2
	s_or_b64 exec, exec, s[24:25]
	v_lshrrev_b64 v[1:2], v29, v[25:26]
	v_lshlrev_b32_e32 v2, 3, v1
	v_and_b32_e32 v2, 0x7f8, v2
	v_add_u32_e32 v56, v48, v2
	v_and_b32_e32 v2, 1, v1
	v_add_co_u32_e32 v3, vcc, -1, v2
	v_addc_co_u32_e64 v4, s[24:25], 0, -1, vcc
	v_cmp_ne_u32_e32 vcc, 0, v2
	v_lshlrev_b32_e32 v20, 30, v1
	v_xor_b32_e32 v2, vcc_hi, v4
	v_xor_b32_e32 v3, vcc_lo, v3
	v_cmp_gt_i64_e32 vcc, 0, v[19:20]
	v_not_b32_e32 v4, v20
	v_ashrrev_i32_e32 v4, 31, v4
	v_and_b32_e32 v2, exec_hi, v2
	v_xor_b32_e32 v20, vcc_hi, v4
	v_and_b32_e32 v3, exec_lo, v3
	v_xor_b32_e32 v4, vcc_lo, v4
	v_and_b32_e32 v2, v2, v20
	v_lshlrev_b32_e32 v20, 29, v1
	v_and_b32_e32 v3, v3, v4
	v_cmp_gt_i64_e32 vcc, 0, v[19:20]
	v_not_b32_e32 v4, v20
	v_ashrrev_i32_e32 v4, 31, v4
	v_xor_b32_e32 v20, vcc_hi, v4
	v_xor_b32_e32 v4, vcc_lo, v4
	v_and_b32_e32 v2, v2, v20
	v_lshlrev_b32_e32 v20, 28, v1
	v_and_b32_e32 v3, v3, v4
	v_cmp_gt_i64_e32 vcc, 0, v[19:20]
	v_not_b32_e32 v4, v20
	v_ashrrev_i32_e32 v4, 31, v4
	v_xor_b32_e32 v20, vcc_hi, v4
	;; [unrolled: 8-line block ×5, first 2 shown]
	v_and_b32_e32 v2, v2, v20
	v_lshlrev_b32_e32 v20, 24, v1
	v_xor_b32_e32 v4, vcc_lo, v4
	v_cmp_gt_i64_e32 vcc, 0, v[19:20]
	v_not_b32_e32 v1, v20
	v_ashrrev_i32_e32 v1, 31, v1
	v_and_b32_e32 v3, v3, v4
	v_xor_b32_e32 v4, vcc_hi, v1
	v_xor_b32_e32 v1, vcc_lo, v1
	; wave barrier
	ds_read_b32 v55, v56 offset:8
	v_and_b32_e32 v1, v3, v1
	v_and_b32_e32 v2, v2, v4
	v_mbcnt_lo_u32_b32 v3, v1, 0
	v_mbcnt_hi_u32_b32 v57, v2, v3
	v_cmp_ne_u64_e32 vcc, 0, v[1:2]
	v_cmp_eq_u32_e64 s[24:25], 0, v57
	s_and_b64 s[34:35], vcc, s[24:25]
	; wave barrier
	s_and_saveexec_b64 s[24:25], s[34:35]
	s_cbranch_execz .LBB110_18
; %bb.17:                               ;   in Loop: Header=BB110_4 Depth=2
	v_bcnt_u32_b32 v1, v1, 0
	v_bcnt_u32_b32 v1, v2, v1
	s_waitcnt lgkmcnt(0)
	v_add_u32_e32 v1, v55, v1
	ds_write_b32 v56, v1 offset:8
.LBB110_18:                             ;   in Loop: Header=BB110_4 Depth=2
	s_or_b64 exec, exec, s[24:25]
	v_lshrrev_b64 v[1:2], v29, v[17:18]
	v_lshlrev_b32_e32 v2, 3, v1
	v_and_b32_e32 v2, 0x7f8, v2
	v_add_u32_e32 v59, v48, v2
	v_and_b32_e32 v2, 1, v1
	v_add_co_u32_e32 v3, vcc, -1, v2
	v_addc_co_u32_e64 v4, s[24:25], 0, -1, vcc
	v_cmp_ne_u32_e32 vcc, 0, v2
	v_lshlrev_b32_e32 v20, 30, v1
	v_xor_b32_e32 v2, vcc_hi, v4
	v_xor_b32_e32 v3, vcc_lo, v3
	v_cmp_gt_i64_e32 vcc, 0, v[19:20]
	v_not_b32_e32 v4, v20
	v_ashrrev_i32_e32 v4, 31, v4
	v_and_b32_e32 v2, exec_hi, v2
	v_xor_b32_e32 v20, vcc_hi, v4
	v_and_b32_e32 v3, exec_lo, v3
	v_xor_b32_e32 v4, vcc_lo, v4
	v_and_b32_e32 v2, v2, v20
	v_lshlrev_b32_e32 v20, 29, v1
	v_and_b32_e32 v3, v3, v4
	v_cmp_gt_i64_e32 vcc, 0, v[19:20]
	v_not_b32_e32 v4, v20
	v_ashrrev_i32_e32 v4, 31, v4
	v_xor_b32_e32 v20, vcc_hi, v4
	v_xor_b32_e32 v4, vcc_lo, v4
	v_and_b32_e32 v2, v2, v20
	v_lshlrev_b32_e32 v20, 28, v1
	v_and_b32_e32 v3, v3, v4
	v_cmp_gt_i64_e32 vcc, 0, v[19:20]
	v_not_b32_e32 v4, v20
	v_ashrrev_i32_e32 v4, 31, v4
	v_xor_b32_e32 v20, vcc_hi, v4
	;; [unrolled: 8-line block ×5, first 2 shown]
	v_and_b32_e32 v2, v2, v20
	v_lshlrev_b32_e32 v20, 24, v1
	v_xor_b32_e32 v4, vcc_lo, v4
	v_cmp_gt_i64_e32 vcc, 0, v[19:20]
	v_not_b32_e32 v1, v20
	v_ashrrev_i32_e32 v1, 31, v1
	v_and_b32_e32 v3, v3, v4
	v_xor_b32_e32 v4, vcc_hi, v1
	v_xor_b32_e32 v1, vcc_lo, v1
	; wave barrier
	ds_read_b32 v58, v59 offset:8
	v_and_b32_e32 v1, v3, v1
	v_and_b32_e32 v2, v2, v4
	v_mbcnt_lo_u32_b32 v3, v1, 0
	v_mbcnt_hi_u32_b32 v20, v2, v3
	v_cmp_ne_u64_e32 vcc, 0, v[1:2]
	v_cmp_eq_u32_e64 s[24:25], 0, v20
	s_and_b64 s[34:35], vcc, s[24:25]
	; wave barrier
	s_and_saveexec_b64 s[24:25], s[34:35]
	s_cbranch_execz .LBB110_20
; %bb.19:                               ;   in Loop: Header=BB110_4 Depth=2
	v_bcnt_u32_b32 v1, v1, 0
	v_bcnt_u32_b32 v1, v2, v1
	s_waitcnt lgkmcnt(0)
	v_add_u32_e32 v1, v58, v1
	ds_write_b32 v59, v1 offset:8
.LBB110_20:                             ;   in Loop: Header=BB110_4 Depth=2
	s_or_b64 exec, exec, s[24:25]
	; wave barrier
	s_waitcnt lgkmcnt(0)
	s_barrier
	ds_read2_b64 v[1:4], v43 offset0:1 offset1:2
	s_waitcnt lgkmcnt(0)
	v_add_u32_e32 v60, v2, v1
	v_add3_u32 v4, v60, v3, v4
	s_nop 1
	v_mov_b32_dpp v60, v4 row_shr:1 row_mask:0xf bank_mask:0xf
	v_cndmask_b32_e64 v60, v60, 0, s[0:1]
	v_add_u32_e32 v4, v60, v4
	s_nop 1
	v_mov_b32_dpp v60, v4 row_shr:2 row_mask:0xf bank_mask:0xf
	v_cndmask_b32_e64 v60, 0, v60, s[2:3]
	v_add_u32_e32 v4, v4, v60
	;; [unrolled: 4-line block ×4, first 2 shown]
	s_nop 1
	v_mov_b32_dpp v60, v4 row_bcast:15 row_mask:0xf bank_mask:0xf
	v_cndmask_b32_e64 v60, v60, 0, s[8:9]
	v_add_u32_e32 v4, v4, v60
	s_nop 1
	v_mov_b32_dpp v60, v4 row_bcast:31 row_mask:0xf bank_mask:0xf
	v_cndmask_b32_e64 v60, 0, v60, s[10:11]
	v_add_u32_e32 v4, v4, v60
	s_and_saveexec_b64 s[24:25], s[12:13]
; %bb.21:                               ;   in Loop: Header=BB110_4 Depth=2
	ds_write_b32 v45, v4
; %bb.22:                               ;   in Loop: Header=BB110_4 Depth=2
	s_or_b64 exec, exec, s[24:25]
	s_waitcnt lgkmcnt(0)
	s_barrier
	s_and_saveexec_b64 s[24:25], s[14:15]
	s_cbranch_execz .LBB110_24
; %bb.23:                               ;   in Loop: Header=BB110_4 Depth=2
	ds_read_b32 v60, v46
	s_waitcnt lgkmcnt(0)
	s_nop 0
	v_mov_b32_dpp v61, v60 row_shr:1 row_mask:0xf bank_mask:0xf
	v_cndmask_b32_e64 v61, v61, 0, s[22:23]
	v_add_u32_e32 v60, v61, v60
	ds_write_b32 v46, v60
.LBB110_24:                             ;   in Loop: Header=BB110_4 Depth=2
	s_or_b64 exec, exec, s[24:25]
	v_mov_b32_e32 v60, 0
	s_waitcnt lgkmcnt(0)
	s_barrier
	s_and_saveexec_b64 s[24:25], s[16:17]
; %bb.25:                               ;   in Loop: Header=BB110_4 Depth=2
	ds_read_b32 v60, v47
; %bb.26:                               ;   in Loop: Header=BB110_4 Depth=2
	s_or_b64 exec, exec, s[24:25]
	s_waitcnt lgkmcnt(0)
	v_add_u32_e32 v4, v60, v4
	ds_bpermute_b32 v4, v44, v4
	v_cmp_lt_u32_e32 vcc, 55, v29
	s_and_b64 vcc, exec, vcc
	s_mov_b64 s[24:25], -1
	s_waitcnt lgkmcnt(0)
	v_cndmask_b32_e64 v4, v4, v60, s[18:19]
	v_cndmask_b32_e64 v60, v4, 0, s[20:21]
	v_add_u32_e32 v61, v60, v1
	v_add_u32_e32 v1, v61, v2
	v_add_u32_e32 v2, v1, v3
	ds_write2_b64 v43, v[60:61], v[1:2] offset0:1 offset1:2
	s_waitcnt lgkmcnt(0)
	s_barrier
	ds_read_b32 v1, v5 offset:8
	ds_read_b32 v2, v8 offset:8
	ds_read_b32 v3, v11 offset:8
	ds_read_b32 v4, v14 offset:8
	ds_read_b32 v5, v50 offset:8
	ds_read_b32 v8, v53 offset:8
	ds_read_b32 v11, v56 offset:8
	ds_read_b32 v14, v59 offset:8
	s_waitcnt lgkmcnt(7)
	v_add_u32_e32 v61, v1, v6
	s_waitcnt lgkmcnt(6)
	v_add3_u32 v60, v9, v7, v2
	s_waitcnt lgkmcnt(5)
	v_add3_u32 v59, v12, v10, v3
	;; [unrolled: 2-line block ×7, first 2 shown]
                                        ; implicit-def: $vgpr15_vgpr16
                                        ; implicit-def: $vgpr11_vgpr12
                                        ; implicit-def: $vgpr7_vgpr8
                                        ; implicit-def: $vgpr3_vgpr4
	s_cbranch_vccnz .LBB110_3
; %bb.27:                               ;   in Loop: Header=BB110_4 Depth=2
	v_lshlrev_b32_e32 v1, 3, v61
	s_barrier
	ds_write_b64 v1, v[39:40]
	v_lshlrev_b32_e32 v1, 3, v60
	ds_write_b64 v1, v[37:38]
	v_lshlrev_b32_e32 v1, 3, v59
	;; [unrolled: 2-line block ×7, first 2 shown]
	ds_write_b64 v1, v[17:18]
	s_waitcnt lgkmcnt(0)
	s_barrier
	ds_read2st64_b64 v[1:4], v42 offset1:1
	ds_read2st64_b64 v[5:8], v42 offset0:2 offset1:3
	ds_read2st64_b64 v[9:12], v42 offset0:4 offset1:5
	;; [unrolled: 1-line block ×3, first 2 shown]
	v_add_co_u32_e32 v29, vcc, 8, v29
	v_addc_co_u32_e32 v30, vcc, 0, v30, vcc
	s_mov_b64 s[24:25], 0
	s_waitcnt lgkmcnt(0)
	s_barrier
	s_branch .LBB110_3
.LBB110_28:
	s_add_u32 s0, s26, s30
	s_addc_u32 s1, s27, s31
	v_lshlrev_b32_e32 v0, 3, v0
	v_mov_b32_e32 v1, s1
	v_add_co_u32_e32 v2, vcc, s0, v0
	v_addc_co_u32_e32 v1, vcc, 0, v1, vcc
	global_store_dwordx2 v0, v[15:16], s[0:1]
	global_store_dwordx2 v0, v[17:18], s[0:1] offset:1024
	global_store_dwordx2 v0, v[11:12], s[0:1] offset:2048
	;; [unrolled: 1-line block ×3, first 2 shown]
	v_add_co_u32_e32 v0, vcc, 0x1000, v2
	v_addc_co_u32_e32 v1, vcc, 0, v1, vcc
	global_store_dwordx2 v[0:1], v[7:8], off
	global_store_dwordx2 v[0:1], v[9:10], off offset:1024
	global_store_dwordx2 v[0:1], v[3:4], off offset:2048
	;; [unrolled: 1-line block ×3, first 2 shown]
	s_endpgm
	.section	.rodata,"a",@progbits
	.p2align	6, 0x0
	.amdhsa_kernel _Z16sort_keys_kernelI22helper_blocked_blockedxLj128ELj8ELj10EEvPKT0_PS1_
		.amdhsa_group_segment_fixed_size 8192
		.amdhsa_private_segment_fixed_size 0
		.amdhsa_kernarg_size 272
		.amdhsa_user_sgpr_count 6
		.amdhsa_user_sgpr_private_segment_buffer 1
		.amdhsa_user_sgpr_dispatch_ptr 0
		.amdhsa_user_sgpr_queue_ptr 0
		.amdhsa_user_sgpr_kernarg_segment_ptr 1
		.amdhsa_user_sgpr_dispatch_id 0
		.amdhsa_user_sgpr_flat_scratch_init 0
		.amdhsa_user_sgpr_private_segment_size 0
		.amdhsa_uses_dynamic_stack 0
		.amdhsa_system_sgpr_private_segment_wavefront_offset 0
		.amdhsa_system_sgpr_workgroup_id_x 1
		.amdhsa_system_sgpr_workgroup_id_y 0
		.amdhsa_system_sgpr_workgroup_id_z 0
		.amdhsa_system_sgpr_workgroup_info 0
		.amdhsa_system_vgpr_workitem_id 2
		.amdhsa_next_free_vgpr 62
		.amdhsa_next_free_sgpr 98
		.amdhsa_reserve_vcc 1
		.amdhsa_reserve_flat_scratch 0
		.amdhsa_float_round_mode_32 0
		.amdhsa_float_round_mode_16_64 0
		.amdhsa_float_denorm_mode_32 3
		.amdhsa_float_denorm_mode_16_64 3
		.amdhsa_dx10_clamp 1
		.amdhsa_ieee_mode 1
		.amdhsa_fp16_overflow 0
		.amdhsa_exception_fp_ieee_invalid_op 0
		.amdhsa_exception_fp_denorm_src 0
		.amdhsa_exception_fp_ieee_div_zero 0
		.amdhsa_exception_fp_ieee_overflow 0
		.amdhsa_exception_fp_ieee_underflow 0
		.amdhsa_exception_fp_ieee_inexact 0
		.amdhsa_exception_int_div_zero 0
	.end_amdhsa_kernel
	.section	.text._Z16sort_keys_kernelI22helper_blocked_blockedxLj128ELj8ELj10EEvPKT0_PS1_,"axG",@progbits,_Z16sort_keys_kernelI22helper_blocked_blockedxLj128ELj8ELj10EEvPKT0_PS1_,comdat
.Lfunc_end110:
	.size	_Z16sort_keys_kernelI22helper_blocked_blockedxLj128ELj8ELj10EEvPKT0_PS1_, .Lfunc_end110-_Z16sort_keys_kernelI22helper_blocked_blockedxLj128ELj8ELj10EEvPKT0_PS1_
                                        ; -- End function
	.set _Z16sort_keys_kernelI22helper_blocked_blockedxLj128ELj8ELj10EEvPKT0_PS1_.num_vgpr, 62
	.set _Z16sort_keys_kernelI22helper_blocked_blockedxLj128ELj8ELj10EEvPKT0_PS1_.num_agpr, 0
	.set _Z16sort_keys_kernelI22helper_blocked_blockedxLj128ELj8ELj10EEvPKT0_PS1_.numbered_sgpr, 36
	.set _Z16sort_keys_kernelI22helper_blocked_blockedxLj128ELj8ELj10EEvPKT0_PS1_.num_named_barrier, 0
	.set _Z16sort_keys_kernelI22helper_blocked_blockedxLj128ELj8ELj10EEvPKT0_PS1_.private_seg_size, 0
	.set _Z16sort_keys_kernelI22helper_blocked_blockedxLj128ELj8ELj10EEvPKT0_PS1_.uses_vcc, 1
	.set _Z16sort_keys_kernelI22helper_blocked_blockedxLj128ELj8ELj10EEvPKT0_PS1_.uses_flat_scratch, 0
	.set _Z16sort_keys_kernelI22helper_blocked_blockedxLj128ELj8ELj10EEvPKT0_PS1_.has_dyn_sized_stack, 0
	.set _Z16sort_keys_kernelI22helper_blocked_blockedxLj128ELj8ELj10EEvPKT0_PS1_.has_recursion, 0
	.set _Z16sort_keys_kernelI22helper_blocked_blockedxLj128ELj8ELj10EEvPKT0_PS1_.has_indirect_call, 0
	.section	.AMDGPU.csdata,"",@progbits
; Kernel info:
; codeLenInByte = 4632
; TotalNumSgprs: 40
; NumVgprs: 62
; ScratchSize: 0
; MemoryBound: 0
; FloatMode: 240
; IeeeMode: 1
; LDSByteSize: 8192 bytes/workgroup (compile time only)
; SGPRBlocks: 12
; VGPRBlocks: 15
; NumSGPRsForWavesPerEU: 102
; NumVGPRsForWavesPerEU: 62
; Occupancy: 4
; WaveLimiterHint : 1
; COMPUTE_PGM_RSRC2:SCRATCH_EN: 0
; COMPUTE_PGM_RSRC2:USER_SGPR: 6
; COMPUTE_PGM_RSRC2:TRAP_HANDLER: 0
; COMPUTE_PGM_RSRC2:TGID_X_EN: 1
; COMPUTE_PGM_RSRC2:TGID_Y_EN: 0
; COMPUTE_PGM_RSRC2:TGID_Z_EN: 0
; COMPUTE_PGM_RSRC2:TIDIG_COMP_CNT: 2
	.section	.text._Z17sort_pairs_kernelI22helper_blocked_blockedxLj128ELj8ELj10EEvPKT0_PS1_,"axG",@progbits,_Z17sort_pairs_kernelI22helper_blocked_blockedxLj128ELj8ELj10EEvPKT0_PS1_,comdat
	.protected	_Z17sort_pairs_kernelI22helper_blocked_blockedxLj128ELj8ELj10EEvPKT0_PS1_ ; -- Begin function _Z17sort_pairs_kernelI22helper_blocked_blockedxLj128ELj8ELj10EEvPKT0_PS1_
	.globl	_Z17sort_pairs_kernelI22helper_blocked_blockedxLj128ELj8ELj10EEvPKT0_PS1_
	.p2align	8
	.type	_Z17sort_pairs_kernelI22helper_blocked_blockedxLj128ELj8ELj10EEvPKT0_PS1_,@function
_Z17sort_pairs_kernelI22helper_blocked_blockedxLj128ELj8ELj10EEvPKT0_PS1_: ; @_Z17sort_pairs_kernelI22helper_blocked_blockedxLj128ELj8ELj10EEvPKT0_PS1_
; %bb.0:
	s_load_dwordx4 s[24:27], s[4:5], 0x0
	s_load_dword s20, s[4:5], 0x1c
	s_lshl_b32 s30, s6, 10
	s_mov_b32 s31, 0
	s_lshl_b64 s[28:29], s[30:31], 3
	s_waitcnt lgkmcnt(0)
	s_add_u32 s0, s24, s28
	s_addc_u32 s1, s25, s29
	v_lshlrev_b32_e32 v3, 3, v0
	global_load_dwordx2 v[15:16], v3, s[0:1]
	global_load_dwordx2 v[17:18], v3, s[0:1] offset:1024
	global_load_dwordx2 v[11:12], v3, s[0:1] offset:2048
	;; [unrolled: 1-line block ×3, first 2 shown]
	v_mov_b32_e32 v4, s1
	v_add_co_u32_e32 v5, vcc, s0, v3
	v_addc_co_u32_e32 v4, vcc, 0, v4, vcc
	s_movk_i32 s0, 0x1000
	v_add_co_u32_e32 v19, vcc, s0, v5
	v_addc_co_u32_e32 v20, vcc, 0, v4, vcc
	global_load_dwordx2 v[7:8], v[19:20], off
	global_load_dwordx2 v[9:10], v[19:20], off offset:1024
	global_load_dwordx2 v[3:4], v[19:20], off offset:2048
	;; [unrolled: 1-line block ×3, first 2 shown]
	v_mbcnt_lo_u32_b32 v19, -1, 0
	v_mbcnt_hi_u32_b32 v36, -1, v19
	v_and_b32_e32 v19, 64, v0
	v_lshlrev_b32_e32 v20, 6, v0
	v_add_lshl_u32 v70, v36, v19, 6
	v_or_b32_e32 v19, 63, v19
	v_and_b32_e32 v20, 0x1000, v20
	v_cmp_eq_u32_e64 s[18:19], v0, v19
	v_and_b32_e32 v21, 15, v36
	v_lshl_or_b32 v71, v36, 3, v20
	v_and_b32_e32 v22, 16, v36
	v_cmp_eq_u32_e64 s[8:9], 0, v21
	v_cmp_lt_u32_e64 s[10:11], 1, v21
	v_cmp_lt_u32_e64 s[12:13], 3, v21
	;; [unrolled: 1-line block ×3, first 2 shown]
	v_subrev_co_u32_e64 v37, s[6:7], 1, v36
	v_and_b32_e32 v38, 64, v36
	v_cmp_eq_u32_e64 s[16:17], 0, v22
	s_lshr_b32 s21, s20, 16
	s_and_b32 s20, s20, 0xffff
	v_mad_u32_u24 v1, v2, s21, v1
	v_mad_u32_u24 v1, v1, s20, v0
	v_lshlrev_b32_e32 v69, 4, v0
	v_lshrrev_b32_e32 v1, 4, v1
	v_mad_i32_i24 v74, v0, -12, v69
	v_and_b32_e32 v76, 0xffffffc, v1
	v_mul_u32_u24_e32 v1, 60, v0
	v_mov_b32_e32 v35, 0
	v_cmp_gt_u32_e64 s[0:1], 2, v0
	v_cmp_lt_u32_e64 s[2:3], 63, v0
	v_cmp_lt_u32_e64 s[4:5], 31, v36
	v_cmp_eq_u32_e64 s[20:21], 0, v0
	s_mov_b32 s30, s31
	s_mov_b32 s34, s31
	;; [unrolled: 1-line block ×3, first 2 shown]
	v_add_u32_e32 v77, v74, v1
	s_mov_b32 s33, s31
	s_waitcnt vmcnt(7)
	v_add_co_u32_e32 v31, vcc, 1, v15
	v_addc_co_u32_e32 v32, vcc, 0, v16, vcc
	s_waitcnt vmcnt(6)
	v_add_co_u32_e32 v33, vcc, 1, v17
	v_addc_co_u32_e32 v34, vcc, 0, v18, vcc
	;; [unrolled: 3-line block ×8, first 2 shown]
	v_cmp_lt_i32_e32 vcc, v37, v38
	v_cndmask_b32_e32 v2, v37, v36, vcc
	v_lshlrev_b32_e32 v72, 2, v2
	v_lshrrev_b32_e32 v2, 4, v0
	v_and_b32_e32 v73, 4, v2
	v_and_b32_e32 v2, 1, v36
	v_cmp_eq_u32_e64 s[22:23], 0, v2
	v_add_u32_e32 v75, -4, v73
	s_branch .LBB111_2
.LBB111_1:                              ;   in Loop: Header=BB111_2 Depth=1
	v_lshlrev_b32_e32 v1, 3, v84
	v_lshlrev_b32_e32 v2, 3, v83
	;; [unrolled: 1-line block ×8, first 2 shown]
	s_barrier
	ds_write_b64 v1, v[67:68]
	ds_write_b64 v2, v[65:66]
	;; [unrolled: 1-line block ×8, first 2 shown]
	s_waitcnt lgkmcnt(0)
	s_barrier
	ds_read2_b64 v[15:18], v77 offset1:1
	ds_read2_b64 v[11:14], v77 offset0:2 offset1:3
	ds_read2_b64 v[7:10], v77 offset0:4 offset1:5
	;; [unrolled: 1-line block ×3, first 2 shown]
	s_waitcnt lgkmcnt(0)
	s_barrier
	ds_write_b64 v1, v[55:56]
	ds_write_b64 v2, v[51:52]
	;; [unrolled: 1-line block ×8, first 2 shown]
	s_waitcnt lgkmcnt(0)
	s_barrier
	ds_read2_b64 v[31:34], v77 offset1:1
	ds_read2_b64 v[27:30], v77 offset0:2 offset1:3
	ds_read2_b64 v[23:26], v77 offset0:4 offset1:5
	;; [unrolled: 1-line block ×3, first 2 shown]
	s_add_i32 s33, s33, 1
	v_xor_b32_e32 v16, 0x80000000, v16
	v_xor_b32_e32 v18, 0x80000000, v18
	;; [unrolled: 1-line block ×7, first 2 shown]
	s_cmp_eq_u32 s33, 10
	v_xor_b32_e32 v6, 0x80000000, v6
	s_cbranch_scc1 .LBB111_28
.LBB111_2:                              ; =>This Loop Header: Depth=1
                                        ;     Child Loop BB111_4 Depth 2
	v_xor_b32_e32 v16, 0x80000000, v16
	v_xor_b32_e32 v18, 0x80000000, v18
	v_xor_b32_e32 v12, 0x80000000, v12
	v_xor_b32_e32 v14, 0x80000000, v14
	v_xor_b32_e32 v8, 0x80000000, v8
	v_xor_b32_e32 v10, 0x80000000, v10
	v_xor_b32_e32 v4, 0x80000000, v4
	v_xor_b32_e32 v6, 0x80000000, v6
	ds_write2_b64 v70, v[15:16], v[17:18] offset1:1
	ds_write2_b64 v70, v[11:12], v[13:14] offset0:2 offset1:3
	ds_write2_b64 v70, v[7:8], v[9:10] offset0:4 offset1:5
	;; [unrolled: 1-line block ×3, first 2 shown]
	; wave barrier
	ds_read2st64_b64 v[1:4], v71 offset1:1
	ds_read2st64_b64 v[5:8], v71 offset0:2 offset1:3
	ds_read2st64_b64 v[9:12], v71 offset0:4 offset1:5
	;; [unrolled: 1-line block ×3, first 2 shown]
	; wave barrier
	s_waitcnt lgkmcnt(11)
	ds_write2_b64 v70, v[31:32], v[33:34] offset1:1
	s_waitcnt lgkmcnt(11)
	ds_write2_b64 v70, v[27:28], v[29:30] offset0:2 offset1:3
	s_waitcnt lgkmcnt(11)
	ds_write2_b64 v70, v[23:24], v[25:26] offset0:4 offset1:5
	;; [unrolled: 2-line block ×3, first 2 shown]
	; wave barrier
	ds_read2st64_b64 v[17:20], v71 offset1:1
	ds_read2st64_b64 v[21:24], v71 offset0:2 offset1:3
	ds_read2st64_b64 v[25:28], v71 offset0:4 offset1:5
	;; [unrolled: 1-line block ×3, first 2 shown]
	v_mov_b32_e32 v45, 0
	v_mov_b32_e32 v46, 0
	s_waitcnt lgkmcnt(0)
	s_barrier
	s_branch .LBB111_4
.LBB111_3:                              ;   in Loop: Header=BB111_4 Depth=2
	s_andn2_b64 vcc, exec, s[24:25]
	s_cbranch_vccz .LBB111_1
.LBB111_4:                              ;   Parent Loop BB111_2 Depth=1
                                        ; =>  This Inner Loop Header: Depth=2
	v_mov_b32_e32 v66, v4
	v_mov_b32_e32 v68, v2
	;; [unrolled: 1-line block ×8, first 2 shown]
	ds_write2_b64 v69, v[1:2], v[3:4] offset0:1 offset1:2
	v_lshrrev_b64 v[1:2], v45, v[67:68]
	v_mov_b32_e32 v64, v6
	v_lshlrev_b32_e32 v2, 3, v1
	v_and_b32_e32 v2, 0x7f8, v2
	v_mov_b32_e32 v63, v5
	v_add_u32_e32 v5, v76, v2
	v_and_b32_e32 v2, 1, v1
	v_add_co_u32_e32 v3, vcc, -1, v2
	v_addc_co_u32_e64 v4, s[24:25], 0, -1, vcc
	v_cmp_ne_u32_e32 vcc, 0, v2
	v_lshlrev_b32_e32 v36, 30, v1
	v_xor_b32_e32 v2, vcc_hi, v4
	v_xor_b32_e32 v3, vcc_lo, v3
	v_cmp_gt_i64_e32 vcc, 0, v[35:36]
	v_not_b32_e32 v4, v36
	v_ashrrev_i32_e32 v4, 31, v4
	v_and_b32_e32 v3, exec_lo, v3
	v_xor_b32_e32 v6, vcc_hi, v4
	v_xor_b32_e32 v4, vcc_lo, v4
	v_lshlrev_b32_e32 v36, 29, v1
	v_and_b32_e32 v3, v3, v4
	v_cmp_gt_i64_e32 vcc, 0, v[35:36]
	v_not_b32_e32 v4, v36
	v_and_b32_e32 v2, exec_hi, v2
	v_ashrrev_i32_e32 v4, 31, v4
	v_and_b32_e32 v2, v2, v6
	v_xor_b32_e32 v6, vcc_hi, v4
	v_xor_b32_e32 v4, vcc_lo, v4
	v_lshlrev_b32_e32 v36, 28, v1
	v_and_b32_e32 v3, v3, v4
	v_cmp_gt_i64_e32 vcc, 0, v[35:36]
	v_not_b32_e32 v4, v36
	v_ashrrev_i32_e32 v4, 31, v4
	v_and_b32_e32 v2, v2, v6
	v_xor_b32_e32 v6, vcc_hi, v4
	v_xor_b32_e32 v4, vcc_lo, v4
	v_lshlrev_b32_e32 v36, 27, v1
	v_and_b32_e32 v3, v3, v4
	v_cmp_gt_i64_e32 vcc, 0, v[35:36]
	v_not_b32_e32 v4, v36
	;; [unrolled: 8-line block ×4, first 2 shown]
	v_ashrrev_i32_e32 v4, 31, v4
	v_lshlrev_b32_e32 v36, 24, v1
	v_and_b32_e32 v2, v2, v6
	v_xor_b32_e32 v6, vcc_hi, v4
	v_xor_b32_e32 v4, vcc_lo, v4
	v_cmp_gt_i64_e32 vcc, 0, v[35:36]
	v_not_b32_e32 v1, v36
	v_ashrrev_i32_e32 v1, 31, v1
	v_and_b32_e32 v3, v3, v4
	v_xor_b32_e32 v4, vcc_hi, v1
	v_xor_b32_e32 v1, vcc_lo, v1
	v_and_b32_e32 v2, v2, v6
	v_and_b32_e32 v1, v3, v1
	;; [unrolled: 1-line block ×3, first 2 shown]
	v_mbcnt_lo_u32_b32 v3, v1, 0
	v_mbcnt_hi_u32_b32 v6, v2, v3
	v_cmp_ne_u64_e32 vcc, 0, v[1:2]
	v_mov_b32_e32 v50, v16
	v_mov_b32_e32 v54, v14
	;; [unrolled: 1-line block ×13, first 2 shown]
	v_cmp_eq_u32_e64 s[24:25], 0, v6
	v_mov_b32_e32 v49, v15
	v_mov_b32_e32 v53, v13
	;; [unrolled: 1-line block ×13, first 2 shown]
	s_and_b64 s[36:37], vcc, s[24:25]
	s_waitcnt lgkmcnt(0)
	s_barrier
	; wave barrier
	s_and_saveexec_b64 s[24:25], s[36:37]
; %bb.5:                                ;   in Loop: Header=BB111_4 Depth=2
	v_bcnt_u32_b32 v1, v1, 0
	v_bcnt_u32_b32 v1, v2, v1
	ds_write_b32 v5, v1 offset:8
; %bb.6:                                ;   in Loop: Header=BB111_4 Depth=2
	s_or_b64 exec, exec, s[24:25]
	v_lshrrev_b64 v[1:2], v45, v[65:66]
	v_lshlrev_b32_e32 v2, 3, v1
	v_and_b32_e32 v2, 0x7f8, v2
	v_add_u32_e32 v8, v76, v2
	v_and_b32_e32 v2, 1, v1
	v_add_co_u32_e32 v3, vcc, -1, v2
	v_addc_co_u32_e64 v4, s[24:25], 0, -1, vcc
	v_cmp_ne_u32_e32 vcc, 0, v2
	v_lshlrev_b32_e32 v36, 30, v1
	v_xor_b32_e32 v2, vcc_hi, v4
	v_xor_b32_e32 v3, vcc_lo, v3
	v_cmp_gt_i64_e32 vcc, 0, v[35:36]
	v_not_b32_e32 v4, v36
	v_ashrrev_i32_e32 v4, 31, v4
	v_and_b32_e32 v3, exec_lo, v3
	v_xor_b32_e32 v9, vcc_hi, v4
	v_xor_b32_e32 v4, vcc_lo, v4
	v_lshlrev_b32_e32 v36, 29, v1
	v_and_b32_e32 v3, v3, v4
	v_cmp_gt_i64_e32 vcc, 0, v[35:36]
	v_not_b32_e32 v4, v36
	v_and_b32_e32 v2, exec_hi, v2
	v_ashrrev_i32_e32 v4, 31, v4
	v_and_b32_e32 v2, v2, v9
	v_xor_b32_e32 v9, vcc_hi, v4
	v_xor_b32_e32 v4, vcc_lo, v4
	v_lshlrev_b32_e32 v36, 28, v1
	v_and_b32_e32 v3, v3, v4
	v_cmp_gt_i64_e32 vcc, 0, v[35:36]
	v_not_b32_e32 v4, v36
	v_ashrrev_i32_e32 v4, 31, v4
	v_and_b32_e32 v2, v2, v9
	v_xor_b32_e32 v9, vcc_hi, v4
	v_xor_b32_e32 v4, vcc_lo, v4
	v_lshlrev_b32_e32 v36, 27, v1
	v_and_b32_e32 v3, v3, v4
	v_cmp_gt_i64_e32 vcc, 0, v[35:36]
	v_not_b32_e32 v4, v36
	;; [unrolled: 8-line block ×4, first 2 shown]
	v_ashrrev_i32_e32 v4, 31, v4
	v_lshlrev_b32_e32 v36, 24, v1
	v_and_b32_e32 v2, v2, v9
	v_xor_b32_e32 v9, vcc_hi, v4
	v_xor_b32_e32 v4, vcc_lo, v4
	v_cmp_gt_i64_e32 vcc, 0, v[35:36]
	v_not_b32_e32 v1, v36
	v_ashrrev_i32_e32 v1, 31, v1
	v_and_b32_e32 v3, v3, v4
	v_xor_b32_e32 v4, vcc_hi, v1
	v_xor_b32_e32 v1, vcc_lo, v1
	; wave barrier
	ds_read_b32 v7, v8 offset:8
	v_and_b32_e32 v2, v2, v9
	v_and_b32_e32 v1, v3, v1
	;; [unrolled: 1-line block ×3, first 2 shown]
	v_mbcnt_lo_u32_b32 v3, v1, 0
	v_mbcnt_hi_u32_b32 v9, v2, v3
	v_cmp_ne_u64_e32 vcc, 0, v[1:2]
	v_cmp_eq_u32_e64 s[24:25], 0, v9
	s_and_b64 s[36:37], vcc, s[24:25]
	; wave barrier
	s_and_saveexec_b64 s[24:25], s[36:37]
	s_cbranch_execz .LBB111_8
; %bb.7:                                ;   in Loop: Header=BB111_4 Depth=2
	v_bcnt_u32_b32 v1, v1, 0
	v_bcnt_u32_b32 v1, v2, v1
	s_waitcnt lgkmcnt(0)
	v_add_u32_e32 v1, v7, v1
	ds_write_b32 v8, v1 offset:8
.LBB111_8:                              ;   in Loop: Header=BB111_4 Depth=2
	s_or_b64 exec, exec, s[24:25]
	v_lshrrev_b64 v[1:2], v45, v[63:64]
	v_lshlrev_b32_e32 v2, 3, v1
	v_and_b32_e32 v2, 0x7f8, v2
	v_add_u32_e32 v11, v76, v2
	v_and_b32_e32 v2, 1, v1
	v_add_co_u32_e32 v3, vcc, -1, v2
	v_addc_co_u32_e64 v4, s[24:25], 0, -1, vcc
	v_cmp_ne_u32_e32 vcc, 0, v2
	v_lshlrev_b32_e32 v36, 30, v1
	v_xor_b32_e32 v2, vcc_hi, v4
	v_xor_b32_e32 v3, vcc_lo, v3
	v_cmp_gt_i64_e32 vcc, 0, v[35:36]
	v_not_b32_e32 v4, v36
	v_ashrrev_i32_e32 v4, 31, v4
	v_and_b32_e32 v3, exec_lo, v3
	v_xor_b32_e32 v12, vcc_hi, v4
	v_xor_b32_e32 v4, vcc_lo, v4
	v_lshlrev_b32_e32 v36, 29, v1
	v_and_b32_e32 v3, v3, v4
	v_cmp_gt_i64_e32 vcc, 0, v[35:36]
	v_not_b32_e32 v4, v36
	v_and_b32_e32 v2, exec_hi, v2
	v_ashrrev_i32_e32 v4, 31, v4
	v_and_b32_e32 v2, v2, v12
	v_xor_b32_e32 v12, vcc_hi, v4
	v_xor_b32_e32 v4, vcc_lo, v4
	v_lshlrev_b32_e32 v36, 28, v1
	v_and_b32_e32 v3, v3, v4
	v_cmp_gt_i64_e32 vcc, 0, v[35:36]
	v_not_b32_e32 v4, v36
	v_ashrrev_i32_e32 v4, 31, v4
	v_and_b32_e32 v2, v2, v12
	v_xor_b32_e32 v12, vcc_hi, v4
	v_xor_b32_e32 v4, vcc_lo, v4
	v_lshlrev_b32_e32 v36, 27, v1
	v_and_b32_e32 v3, v3, v4
	v_cmp_gt_i64_e32 vcc, 0, v[35:36]
	v_not_b32_e32 v4, v36
	;; [unrolled: 8-line block ×4, first 2 shown]
	v_ashrrev_i32_e32 v4, 31, v4
	v_lshlrev_b32_e32 v36, 24, v1
	v_and_b32_e32 v2, v2, v12
	v_xor_b32_e32 v12, vcc_hi, v4
	v_xor_b32_e32 v4, vcc_lo, v4
	v_cmp_gt_i64_e32 vcc, 0, v[35:36]
	v_not_b32_e32 v1, v36
	v_ashrrev_i32_e32 v1, 31, v1
	v_and_b32_e32 v3, v3, v4
	v_xor_b32_e32 v4, vcc_hi, v1
	v_xor_b32_e32 v1, vcc_lo, v1
	; wave barrier
	ds_read_b32 v10, v11 offset:8
	v_and_b32_e32 v2, v2, v12
	v_and_b32_e32 v1, v3, v1
	;; [unrolled: 1-line block ×3, first 2 shown]
	v_mbcnt_lo_u32_b32 v3, v1, 0
	v_mbcnt_hi_u32_b32 v12, v2, v3
	v_cmp_ne_u64_e32 vcc, 0, v[1:2]
	v_cmp_eq_u32_e64 s[24:25], 0, v12
	s_and_b64 s[36:37], vcc, s[24:25]
	; wave barrier
	s_and_saveexec_b64 s[24:25], s[36:37]
	s_cbranch_execz .LBB111_10
; %bb.9:                                ;   in Loop: Header=BB111_4 Depth=2
	v_bcnt_u32_b32 v1, v1, 0
	v_bcnt_u32_b32 v1, v2, v1
	s_waitcnt lgkmcnt(0)
	v_add_u32_e32 v1, v10, v1
	ds_write_b32 v11, v1 offset:8
.LBB111_10:                             ;   in Loop: Header=BB111_4 Depth=2
	s_or_b64 exec, exec, s[24:25]
	v_lshrrev_b64 v[1:2], v45, v[61:62]
	v_lshlrev_b32_e32 v2, 3, v1
	v_and_b32_e32 v2, 0x7f8, v2
	v_add_u32_e32 v14, v76, v2
	v_and_b32_e32 v2, 1, v1
	v_add_co_u32_e32 v3, vcc, -1, v2
	v_addc_co_u32_e64 v4, s[24:25], 0, -1, vcc
	v_cmp_ne_u32_e32 vcc, 0, v2
	v_lshlrev_b32_e32 v36, 30, v1
	v_xor_b32_e32 v2, vcc_hi, v4
	v_xor_b32_e32 v3, vcc_lo, v3
	v_cmp_gt_i64_e32 vcc, 0, v[35:36]
	v_not_b32_e32 v4, v36
	v_ashrrev_i32_e32 v4, 31, v4
	v_and_b32_e32 v3, exec_lo, v3
	v_xor_b32_e32 v15, vcc_hi, v4
	v_xor_b32_e32 v4, vcc_lo, v4
	v_lshlrev_b32_e32 v36, 29, v1
	v_and_b32_e32 v3, v3, v4
	v_cmp_gt_i64_e32 vcc, 0, v[35:36]
	v_not_b32_e32 v4, v36
	v_and_b32_e32 v2, exec_hi, v2
	v_ashrrev_i32_e32 v4, 31, v4
	v_and_b32_e32 v2, v2, v15
	v_xor_b32_e32 v15, vcc_hi, v4
	v_xor_b32_e32 v4, vcc_lo, v4
	v_lshlrev_b32_e32 v36, 28, v1
	v_and_b32_e32 v3, v3, v4
	v_cmp_gt_i64_e32 vcc, 0, v[35:36]
	v_not_b32_e32 v4, v36
	v_ashrrev_i32_e32 v4, 31, v4
	v_and_b32_e32 v2, v2, v15
	v_xor_b32_e32 v15, vcc_hi, v4
	v_xor_b32_e32 v4, vcc_lo, v4
	v_lshlrev_b32_e32 v36, 27, v1
	v_and_b32_e32 v3, v3, v4
	v_cmp_gt_i64_e32 vcc, 0, v[35:36]
	v_not_b32_e32 v4, v36
	;; [unrolled: 8-line block ×4, first 2 shown]
	v_ashrrev_i32_e32 v4, 31, v4
	v_lshlrev_b32_e32 v36, 24, v1
	v_and_b32_e32 v2, v2, v15
	v_xor_b32_e32 v15, vcc_hi, v4
	v_xor_b32_e32 v4, vcc_lo, v4
	v_cmp_gt_i64_e32 vcc, 0, v[35:36]
	v_not_b32_e32 v1, v36
	v_ashrrev_i32_e32 v1, 31, v1
	v_and_b32_e32 v3, v3, v4
	v_xor_b32_e32 v4, vcc_hi, v1
	v_xor_b32_e32 v1, vcc_lo, v1
	; wave barrier
	ds_read_b32 v13, v14 offset:8
	v_and_b32_e32 v2, v2, v15
	v_and_b32_e32 v1, v3, v1
	;; [unrolled: 1-line block ×3, first 2 shown]
	v_mbcnt_lo_u32_b32 v3, v1, 0
	v_mbcnt_hi_u32_b32 v15, v2, v3
	v_cmp_ne_u64_e32 vcc, 0, v[1:2]
	v_cmp_eq_u32_e64 s[24:25], 0, v15
	s_and_b64 s[36:37], vcc, s[24:25]
	; wave barrier
	s_and_saveexec_b64 s[24:25], s[36:37]
	s_cbranch_execz .LBB111_12
; %bb.11:                               ;   in Loop: Header=BB111_4 Depth=2
	v_bcnt_u32_b32 v1, v1, 0
	v_bcnt_u32_b32 v1, v2, v1
	s_waitcnt lgkmcnt(0)
	v_add_u32_e32 v1, v13, v1
	ds_write_b32 v14, v1 offset:8
.LBB111_12:                             ;   in Loop: Header=BB111_4 Depth=2
	s_or_b64 exec, exec, s[24:25]
	v_lshrrev_b64 v[1:2], v45, v[59:60]
	v_lshlrev_b32_e32 v2, 3, v1
	v_and_b32_e32 v2, 0x7f8, v2
	v_add_u32_e32 v17, v76, v2
	v_and_b32_e32 v2, 1, v1
	v_add_co_u32_e32 v3, vcc, -1, v2
	v_addc_co_u32_e64 v4, s[24:25], 0, -1, vcc
	v_cmp_ne_u32_e32 vcc, 0, v2
	v_lshlrev_b32_e32 v36, 30, v1
	v_xor_b32_e32 v2, vcc_hi, v4
	v_xor_b32_e32 v3, vcc_lo, v3
	v_cmp_gt_i64_e32 vcc, 0, v[35:36]
	v_not_b32_e32 v4, v36
	v_ashrrev_i32_e32 v4, 31, v4
	v_and_b32_e32 v3, exec_lo, v3
	v_xor_b32_e32 v18, vcc_hi, v4
	v_xor_b32_e32 v4, vcc_lo, v4
	v_lshlrev_b32_e32 v36, 29, v1
	v_and_b32_e32 v3, v3, v4
	v_cmp_gt_i64_e32 vcc, 0, v[35:36]
	v_not_b32_e32 v4, v36
	v_and_b32_e32 v2, exec_hi, v2
	v_ashrrev_i32_e32 v4, 31, v4
	v_and_b32_e32 v2, v2, v18
	v_xor_b32_e32 v18, vcc_hi, v4
	v_xor_b32_e32 v4, vcc_lo, v4
	v_lshlrev_b32_e32 v36, 28, v1
	v_and_b32_e32 v3, v3, v4
	v_cmp_gt_i64_e32 vcc, 0, v[35:36]
	v_not_b32_e32 v4, v36
	v_ashrrev_i32_e32 v4, 31, v4
	v_and_b32_e32 v2, v2, v18
	v_xor_b32_e32 v18, vcc_hi, v4
	v_xor_b32_e32 v4, vcc_lo, v4
	v_lshlrev_b32_e32 v36, 27, v1
	v_and_b32_e32 v3, v3, v4
	v_cmp_gt_i64_e32 vcc, 0, v[35:36]
	v_not_b32_e32 v4, v36
	v_ashrrev_i32_e32 v4, 31, v4
	v_and_b32_e32 v2, v2, v18
	v_xor_b32_e32 v18, vcc_hi, v4
	v_xor_b32_e32 v4, vcc_lo, v4
	v_lshlrev_b32_e32 v36, 26, v1
	v_and_b32_e32 v3, v3, v4
	v_cmp_gt_i64_e32 vcc, 0, v[35:36]
	v_not_b32_e32 v4, v36
	v_ashrrev_i32_e32 v4, 31, v4
	v_and_b32_e32 v2, v2, v18
	v_xor_b32_e32 v18, vcc_hi, v4
	v_xor_b32_e32 v4, vcc_lo, v4
	v_lshlrev_b32_e32 v36, 25, v1
	v_and_b32_e32 v3, v3, v4
	v_cmp_gt_i64_e32 vcc, 0, v[35:36]
	v_not_b32_e32 v4, v36
	v_ashrrev_i32_e32 v4, 31, v4
	v_lshlrev_b32_e32 v36, 24, v1
	v_and_b32_e32 v2, v2, v18
	v_xor_b32_e32 v18, vcc_hi, v4
	v_xor_b32_e32 v4, vcc_lo, v4
	v_cmp_gt_i64_e32 vcc, 0, v[35:36]
	v_not_b32_e32 v1, v36
	v_ashrrev_i32_e32 v1, 31, v1
	v_and_b32_e32 v3, v3, v4
	v_xor_b32_e32 v4, vcc_hi, v1
	v_xor_b32_e32 v1, vcc_lo, v1
	; wave barrier
	ds_read_b32 v16, v17 offset:8
	v_and_b32_e32 v2, v2, v18
	v_and_b32_e32 v1, v3, v1
	;; [unrolled: 1-line block ×3, first 2 shown]
	v_mbcnt_lo_u32_b32 v3, v1, 0
	v_mbcnt_hi_u32_b32 v18, v2, v3
	v_cmp_ne_u64_e32 vcc, 0, v[1:2]
	v_cmp_eq_u32_e64 s[24:25], 0, v18
	s_and_b64 s[36:37], vcc, s[24:25]
	; wave barrier
	s_and_saveexec_b64 s[24:25], s[36:37]
	s_cbranch_execz .LBB111_14
; %bb.13:                               ;   in Loop: Header=BB111_4 Depth=2
	v_bcnt_u32_b32 v1, v1, 0
	v_bcnt_u32_b32 v1, v2, v1
	s_waitcnt lgkmcnt(0)
	v_add_u32_e32 v1, v16, v1
	ds_write_b32 v17, v1 offset:8
.LBB111_14:                             ;   in Loop: Header=BB111_4 Depth=2
	s_or_b64 exec, exec, s[24:25]
	v_lshrrev_b64 v[1:2], v45, v[57:58]
	v_lshlrev_b32_e32 v2, 3, v1
	v_and_b32_e32 v2, 0x7f8, v2
	v_add_u32_e32 v20, v76, v2
	v_and_b32_e32 v2, 1, v1
	v_add_co_u32_e32 v3, vcc, -1, v2
	v_addc_co_u32_e64 v4, s[24:25], 0, -1, vcc
	v_cmp_ne_u32_e32 vcc, 0, v2
	v_lshlrev_b32_e32 v36, 30, v1
	v_xor_b32_e32 v2, vcc_hi, v4
	v_xor_b32_e32 v3, vcc_lo, v3
	v_cmp_gt_i64_e32 vcc, 0, v[35:36]
	v_not_b32_e32 v4, v36
	v_ashrrev_i32_e32 v4, 31, v4
	v_and_b32_e32 v3, exec_lo, v3
	v_xor_b32_e32 v21, vcc_hi, v4
	v_xor_b32_e32 v4, vcc_lo, v4
	v_lshlrev_b32_e32 v36, 29, v1
	v_and_b32_e32 v3, v3, v4
	v_cmp_gt_i64_e32 vcc, 0, v[35:36]
	v_not_b32_e32 v4, v36
	v_and_b32_e32 v2, exec_hi, v2
	v_ashrrev_i32_e32 v4, 31, v4
	v_and_b32_e32 v2, v2, v21
	v_xor_b32_e32 v21, vcc_hi, v4
	v_xor_b32_e32 v4, vcc_lo, v4
	v_lshlrev_b32_e32 v36, 28, v1
	v_and_b32_e32 v3, v3, v4
	v_cmp_gt_i64_e32 vcc, 0, v[35:36]
	v_not_b32_e32 v4, v36
	v_ashrrev_i32_e32 v4, 31, v4
	v_and_b32_e32 v2, v2, v21
	v_xor_b32_e32 v21, vcc_hi, v4
	v_xor_b32_e32 v4, vcc_lo, v4
	v_lshlrev_b32_e32 v36, 27, v1
	v_and_b32_e32 v3, v3, v4
	v_cmp_gt_i64_e32 vcc, 0, v[35:36]
	v_not_b32_e32 v4, v36
	;; [unrolled: 8-line block ×4, first 2 shown]
	v_ashrrev_i32_e32 v4, 31, v4
	v_lshlrev_b32_e32 v36, 24, v1
	v_and_b32_e32 v2, v2, v21
	v_xor_b32_e32 v21, vcc_hi, v4
	v_xor_b32_e32 v4, vcc_lo, v4
	v_cmp_gt_i64_e32 vcc, 0, v[35:36]
	v_not_b32_e32 v1, v36
	v_ashrrev_i32_e32 v1, 31, v1
	v_and_b32_e32 v3, v3, v4
	v_xor_b32_e32 v4, vcc_hi, v1
	v_xor_b32_e32 v1, vcc_lo, v1
	; wave barrier
	ds_read_b32 v19, v20 offset:8
	v_and_b32_e32 v2, v2, v21
	v_and_b32_e32 v1, v3, v1
	;; [unrolled: 1-line block ×3, first 2 shown]
	v_mbcnt_lo_u32_b32 v3, v1, 0
	v_mbcnt_hi_u32_b32 v21, v2, v3
	v_cmp_ne_u64_e32 vcc, 0, v[1:2]
	v_cmp_eq_u32_e64 s[24:25], 0, v21
	s_and_b64 s[36:37], vcc, s[24:25]
	; wave barrier
	s_and_saveexec_b64 s[24:25], s[36:37]
	s_cbranch_execz .LBB111_16
; %bb.15:                               ;   in Loop: Header=BB111_4 Depth=2
	v_bcnt_u32_b32 v1, v1, 0
	v_bcnt_u32_b32 v1, v2, v1
	s_waitcnt lgkmcnt(0)
	v_add_u32_e32 v1, v19, v1
	ds_write_b32 v20, v1 offset:8
.LBB111_16:                             ;   in Loop: Header=BB111_4 Depth=2
	s_or_b64 exec, exec, s[24:25]
	v_lshrrev_b64 v[1:2], v45, v[53:54]
	v_lshlrev_b32_e32 v2, 3, v1
	v_and_b32_e32 v2, 0x7f8, v2
	v_add_u32_e32 v23, v76, v2
	v_and_b32_e32 v2, 1, v1
	v_add_co_u32_e32 v3, vcc, -1, v2
	v_addc_co_u32_e64 v4, s[24:25], 0, -1, vcc
	v_cmp_ne_u32_e32 vcc, 0, v2
	v_lshlrev_b32_e32 v36, 30, v1
	v_xor_b32_e32 v2, vcc_hi, v4
	v_xor_b32_e32 v3, vcc_lo, v3
	v_cmp_gt_i64_e32 vcc, 0, v[35:36]
	v_not_b32_e32 v4, v36
	v_ashrrev_i32_e32 v4, 31, v4
	v_and_b32_e32 v3, exec_lo, v3
	v_xor_b32_e32 v24, vcc_hi, v4
	v_xor_b32_e32 v4, vcc_lo, v4
	v_lshlrev_b32_e32 v36, 29, v1
	v_and_b32_e32 v3, v3, v4
	v_cmp_gt_i64_e32 vcc, 0, v[35:36]
	v_not_b32_e32 v4, v36
	v_and_b32_e32 v2, exec_hi, v2
	v_ashrrev_i32_e32 v4, 31, v4
	v_and_b32_e32 v2, v2, v24
	v_xor_b32_e32 v24, vcc_hi, v4
	v_xor_b32_e32 v4, vcc_lo, v4
	v_lshlrev_b32_e32 v36, 28, v1
	v_and_b32_e32 v3, v3, v4
	v_cmp_gt_i64_e32 vcc, 0, v[35:36]
	v_not_b32_e32 v4, v36
	v_ashrrev_i32_e32 v4, 31, v4
	v_and_b32_e32 v2, v2, v24
	v_xor_b32_e32 v24, vcc_hi, v4
	v_xor_b32_e32 v4, vcc_lo, v4
	v_lshlrev_b32_e32 v36, 27, v1
	v_and_b32_e32 v3, v3, v4
	v_cmp_gt_i64_e32 vcc, 0, v[35:36]
	v_not_b32_e32 v4, v36
	;; [unrolled: 8-line block ×4, first 2 shown]
	v_ashrrev_i32_e32 v4, 31, v4
	v_lshlrev_b32_e32 v36, 24, v1
	v_and_b32_e32 v2, v2, v24
	v_xor_b32_e32 v24, vcc_hi, v4
	v_xor_b32_e32 v4, vcc_lo, v4
	v_cmp_gt_i64_e32 vcc, 0, v[35:36]
	v_not_b32_e32 v1, v36
	v_ashrrev_i32_e32 v1, 31, v1
	v_and_b32_e32 v3, v3, v4
	v_xor_b32_e32 v4, vcc_hi, v1
	v_xor_b32_e32 v1, vcc_lo, v1
	; wave barrier
	ds_read_b32 v22, v23 offset:8
	v_and_b32_e32 v2, v2, v24
	v_and_b32_e32 v1, v3, v1
	;; [unrolled: 1-line block ×3, first 2 shown]
	v_mbcnt_lo_u32_b32 v3, v1, 0
	v_mbcnt_hi_u32_b32 v24, v2, v3
	v_cmp_ne_u64_e32 vcc, 0, v[1:2]
	v_cmp_eq_u32_e64 s[24:25], 0, v24
	s_and_b64 s[36:37], vcc, s[24:25]
	; wave barrier
	s_and_saveexec_b64 s[24:25], s[36:37]
	s_cbranch_execz .LBB111_18
; %bb.17:                               ;   in Loop: Header=BB111_4 Depth=2
	v_bcnt_u32_b32 v1, v1, 0
	v_bcnt_u32_b32 v1, v2, v1
	s_waitcnt lgkmcnt(0)
	v_add_u32_e32 v1, v22, v1
	ds_write_b32 v23, v1 offset:8
.LBB111_18:                             ;   in Loop: Header=BB111_4 Depth=2
	s_or_b64 exec, exec, s[24:25]
	v_lshrrev_b64 v[1:2], v45, v[49:50]
	v_lshlrev_b32_e32 v2, 3, v1
	v_and_b32_e32 v2, 0x7f8, v2
	v_add_u32_e32 v26, v76, v2
	v_and_b32_e32 v2, 1, v1
	v_add_co_u32_e32 v3, vcc, -1, v2
	v_addc_co_u32_e64 v4, s[24:25], 0, -1, vcc
	v_cmp_ne_u32_e32 vcc, 0, v2
	v_lshlrev_b32_e32 v36, 30, v1
	v_xor_b32_e32 v2, vcc_hi, v4
	v_xor_b32_e32 v3, vcc_lo, v3
	v_cmp_gt_i64_e32 vcc, 0, v[35:36]
	v_not_b32_e32 v4, v36
	v_ashrrev_i32_e32 v4, 31, v4
	v_and_b32_e32 v3, exec_lo, v3
	v_xor_b32_e32 v27, vcc_hi, v4
	v_xor_b32_e32 v4, vcc_lo, v4
	v_lshlrev_b32_e32 v36, 29, v1
	v_and_b32_e32 v3, v3, v4
	v_cmp_gt_i64_e32 vcc, 0, v[35:36]
	v_not_b32_e32 v4, v36
	v_and_b32_e32 v2, exec_hi, v2
	v_ashrrev_i32_e32 v4, 31, v4
	v_and_b32_e32 v2, v2, v27
	v_xor_b32_e32 v27, vcc_hi, v4
	v_xor_b32_e32 v4, vcc_lo, v4
	v_lshlrev_b32_e32 v36, 28, v1
	v_and_b32_e32 v3, v3, v4
	v_cmp_gt_i64_e32 vcc, 0, v[35:36]
	v_not_b32_e32 v4, v36
	v_ashrrev_i32_e32 v4, 31, v4
	v_and_b32_e32 v2, v2, v27
	v_xor_b32_e32 v27, vcc_hi, v4
	v_xor_b32_e32 v4, vcc_lo, v4
	v_lshlrev_b32_e32 v36, 27, v1
	v_and_b32_e32 v3, v3, v4
	v_cmp_gt_i64_e32 vcc, 0, v[35:36]
	v_not_b32_e32 v4, v36
	;; [unrolled: 8-line block ×4, first 2 shown]
	v_ashrrev_i32_e32 v4, 31, v4
	v_lshlrev_b32_e32 v36, 24, v1
	v_and_b32_e32 v2, v2, v27
	v_xor_b32_e32 v27, vcc_hi, v4
	v_xor_b32_e32 v4, vcc_lo, v4
	v_cmp_gt_i64_e32 vcc, 0, v[35:36]
	v_not_b32_e32 v1, v36
	v_ashrrev_i32_e32 v1, 31, v1
	v_and_b32_e32 v3, v3, v4
	v_xor_b32_e32 v4, vcc_hi, v1
	v_xor_b32_e32 v1, vcc_lo, v1
	; wave barrier
	ds_read_b32 v25, v26 offset:8
	v_and_b32_e32 v2, v2, v27
	v_and_b32_e32 v1, v3, v1
	;; [unrolled: 1-line block ×3, first 2 shown]
	v_mbcnt_lo_u32_b32 v3, v1, 0
	v_mbcnt_hi_u32_b32 v27, v2, v3
	v_cmp_ne_u64_e32 vcc, 0, v[1:2]
	v_cmp_eq_u32_e64 s[24:25], 0, v27
	s_and_b64 s[36:37], vcc, s[24:25]
	; wave barrier
	s_and_saveexec_b64 s[24:25], s[36:37]
	s_cbranch_execz .LBB111_20
; %bb.19:                               ;   in Loop: Header=BB111_4 Depth=2
	v_bcnt_u32_b32 v1, v1, 0
	v_bcnt_u32_b32 v1, v2, v1
	s_waitcnt lgkmcnt(0)
	v_add_u32_e32 v1, v25, v1
	ds_write_b32 v26, v1 offset:8
.LBB111_20:                             ;   in Loop: Header=BB111_4 Depth=2
	s_or_b64 exec, exec, s[24:25]
	; wave barrier
	s_waitcnt lgkmcnt(0)
	s_barrier
	ds_read2_b64 v[1:4], v69 offset0:1 offset1:2
	s_waitcnt lgkmcnt(0)
	v_add_u32_e32 v28, v2, v1
	v_add3_u32 v4, v28, v3, v4
	s_nop 1
	v_mov_b32_dpp v28, v4 row_shr:1 row_mask:0xf bank_mask:0xf
	v_cndmask_b32_e64 v28, v28, 0, s[8:9]
	v_add_u32_e32 v4, v28, v4
	s_nop 1
	v_mov_b32_dpp v28, v4 row_shr:2 row_mask:0xf bank_mask:0xf
	v_cndmask_b32_e64 v28, 0, v28, s[10:11]
	v_add_u32_e32 v4, v4, v28
	;; [unrolled: 4-line block ×4, first 2 shown]
	s_nop 1
	v_mov_b32_dpp v28, v4 row_bcast:15 row_mask:0xf bank_mask:0xf
	v_cndmask_b32_e64 v28, v28, 0, s[16:17]
	v_add_u32_e32 v4, v4, v28
	s_nop 1
	v_mov_b32_dpp v28, v4 row_bcast:31 row_mask:0xf bank_mask:0xf
	v_cndmask_b32_e64 v28, 0, v28, s[4:5]
	v_add_u32_e32 v4, v4, v28
	s_and_saveexec_b64 s[24:25], s[18:19]
; %bb.21:                               ;   in Loop: Header=BB111_4 Depth=2
	ds_write_b32 v73, v4
; %bb.22:                               ;   in Loop: Header=BB111_4 Depth=2
	s_or_b64 exec, exec, s[24:25]
	s_waitcnt lgkmcnt(0)
	s_barrier
	s_and_saveexec_b64 s[24:25], s[0:1]
	s_cbranch_execz .LBB111_24
; %bb.23:                               ;   in Loop: Header=BB111_4 Depth=2
	ds_read_b32 v28, v74
	s_waitcnt lgkmcnt(0)
	s_nop 0
	v_mov_b32_dpp v29, v28 row_shr:1 row_mask:0xf bank_mask:0xf
	v_cndmask_b32_e64 v29, v29, 0, s[22:23]
	v_add_u32_e32 v28, v29, v28
	ds_write_b32 v74, v28
.LBB111_24:                             ;   in Loop: Header=BB111_4 Depth=2
	s_or_b64 exec, exec, s[24:25]
	v_mov_b32_e32 v28, 0
	s_waitcnt lgkmcnt(0)
	s_barrier
	s_and_saveexec_b64 s[24:25], s[2:3]
; %bb.25:                               ;   in Loop: Header=BB111_4 Depth=2
	ds_read_b32 v28, v75
; %bb.26:                               ;   in Loop: Header=BB111_4 Depth=2
	s_or_b64 exec, exec, s[24:25]
	s_waitcnt lgkmcnt(0)
	v_add_u32_e32 v4, v28, v4
	ds_bpermute_b32 v4, v72, v4
	v_cmp_lt_u32_e32 vcc, 55, v45
	s_and_b64 vcc, exec, vcc
	s_mov_b64 s[24:25], -1
	s_waitcnt lgkmcnt(0)
	v_cndmask_b32_e64 v4, v4, v28, s[6:7]
	v_cndmask_b32_e64 v28, v4, 0, s[20:21]
	v_add_u32_e32 v29, v28, v1
	v_add_u32_e32 v1, v29, v2
	;; [unrolled: 1-line block ×3, first 2 shown]
	ds_write2_b64 v69, v[28:29], v[1:2] offset0:1 offset1:2
	s_waitcnt lgkmcnt(0)
	s_barrier
	ds_read_b32 v1, v5 offset:8
	ds_read_b32 v2, v8 offset:8
	;; [unrolled: 1-line block ×8, first 2 shown]
	s_waitcnt lgkmcnt(7)
	v_add_u32_e32 v84, v1, v6
	s_waitcnt lgkmcnt(6)
	v_add3_u32 v83, v9, v7, v2
	s_waitcnt lgkmcnt(5)
	v_add3_u32 v82, v12, v10, v3
	;; [unrolled: 2-line block ×7, first 2 shown]
                                        ; implicit-def: $vgpr15_vgpr16
                                        ; implicit-def: $vgpr11_vgpr12
                                        ; implicit-def: $vgpr7_vgpr8
                                        ; implicit-def: $vgpr3_vgpr4
                                        ; implicit-def: $vgpr31_vgpr32
                                        ; implicit-def: $vgpr27_vgpr28
                                        ; implicit-def: $vgpr23_vgpr24
                                        ; implicit-def: $vgpr19_vgpr20
	s_cbranch_vccnz .LBB111_3
; %bb.27:                               ;   in Loop: Header=BB111_4 Depth=2
	v_lshlrev_b32_e32 v17, 3, v84
	v_lshlrev_b32_e32 v18, 3, v83
	;; [unrolled: 1-line block ×8, first 2 shown]
	s_barrier
	ds_write_b64 v17, v[67:68]
	ds_write_b64 v18, v[65:66]
	;; [unrolled: 1-line block ×8, first 2 shown]
	s_waitcnt lgkmcnt(0)
	s_barrier
	ds_read2st64_b64 v[1:4], v71 offset1:1
	ds_read2st64_b64 v[5:8], v71 offset0:2 offset1:3
	ds_read2st64_b64 v[9:12], v71 offset0:4 offset1:5
	;; [unrolled: 1-line block ×3, first 2 shown]
	s_waitcnt lgkmcnt(0)
	s_barrier
	ds_write_b64 v17, v[55:56]
	ds_write_b64 v18, v[51:52]
	;; [unrolled: 1-line block ×8, first 2 shown]
	s_waitcnt lgkmcnt(0)
	s_barrier
	ds_read2st64_b64 v[17:20], v71 offset1:1
	ds_read2st64_b64 v[21:24], v71 offset0:2 offset1:3
	ds_read2st64_b64 v[25:28], v71 offset0:4 offset1:5
	;; [unrolled: 1-line block ×3, first 2 shown]
	v_add_co_u32_e32 v45, vcc, 8, v45
	v_addc_co_u32_e32 v46, vcc, 0, v46, vcc
	s_mov_b64 s[24:25], 0
	s_waitcnt lgkmcnt(0)
	s_barrier
	s_branch .LBB111_3
.LBB111_28:
	s_waitcnt lgkmcnt(3)
	v_add_co_u32_e32 v1, vcc, v15, v31
	v_addc_co_u32_e32 v2, vcc, v16, v32, vcc
	v_add_co_u32_e32 v15, vcc, v17, v33
	v_addc_co_u32_e32 v16, vcc, v18, v34, vcc
	s_waitcnt lgkmcnt(2)
	v_add_co_u32_e32 v11, vcc, v11, v27
	v_addc_co_u32_e32 v12, vcc, v12, v28, vcc
	v_add_co_u32_e32 v13, vcc, v13, v29
	v_addc_co_u32_e32 v14, vcc, v14, v30, vcc
	;; [unrolled: 5-line block ×3, first 2 shown]
	s_waitcnt lgkmcnt(0)
	v_add_co_u32_e32 v3, vcc, v3, v19
	v_addc_co_u32_e32 v4, vcc, v4, v20, vcc
	v_add_co_u32_e32 v5, vcc, v5, v21
	s_add_u32 s0, s26, s28
	v_addc_co_u32_e32 v6, vcc, v6, v22, vcc
	s_addc_u32 s1, s27, s29
	v_lshlrev_b32_e32 v0, 3, v0
	v_mov_b32_e32 v17, s1
	v_add_co_u32_e32 v18, vcc, s0, v0
	v_addc_co_u32_e32 v17, vcc, 0, v17, vcc
	global_store_dwordx2 v0, v[1:2], s[0:1]
	global_store_dwordx2 v0, v[15:16], s[0:1] offset:1024
	global_store_dwordx2 v0, v[11:12], s[0:1] offset:2048
	;; [unrolled: 1-line block ×3, first 2 shown]
	v_add_co_u32_e32 v0, vcc, 0x1000, v18
	v_addc_co_u32_e32 v1, vcc, 0, v17, vcc
	global_store_dwordx2 v[0:1], v[7:8], off
	global_store_dwordx2 v[0:1], v[9:10], off offset:1024
	global_store_dwordx2 v[0:1], v[3:4], off offset:2048
	;; [unrolled: 1-line block ×3, first 2 shown]
	s_endpgm
	.section	.rodata,"a",@progbits
	.p2align	6, 0x0
	.amdhsa_kernel _Z17sort_pairs_kernelI22helper_blocked_blockedxLj128ELj8ELj10EEvPKT0_PS1_
		.amdhsa_group_segment_fixed_size 8192
		.amdhsa_private_segment_fixed_size 0
		.amdhsa_kernarg_size 272
		.amdhsa_user_sgpr_count 6
		.amdhsa_user_sgpr_private_segment_buffer 1
		.amdhsa_user_sgpr_dispatch_ptr 0
		.amdhsa_user_sgpr_queue_ptr 0
		.amdhsa_user_sgpr_kernarg_segment_ptr 1
		.amdhsa_user_sgpr_dispatch_id 0
		.amdhsa_user_sgpr_flat_scratch_init 0
		.amdhsa_user_sgpr_private_segment_size 0
		.amdhsa_uses_dynamic_stack 0
		.amdhsa_system_sgpr_private_segment_wavefront_offset 0
		.amdhsa_system_sgpr_workgroup_id_x 1
		.amdhsa_system_sgpr_workgroup_id_y 0
		.amdhsa_system_sgpr_workgroup_id_z 0
		.amdhsa_system_sgpr_workgroup_info 0
		.amdhsa_system_vgpr_workitem_id 2
		.amdhsa_next_free_vgpr 85
		.amdhsa_next_free_sgpr 98
		.amdhsa_reserve_vcc 1
		.amdhsa_reserve_flat_scratch 0
		.amdhsa_float_round_mode_32 0
		.amdhsa_float_round_mode_16_64 0
		.amdhsa_float_denorm_mode_32 3
		.amdhsa_float_denorm_mode_16_64 3
		.amdhsa_dx10_clamp 1
		.amdhsa_ieee_mode 1
		.amdhsa_fp16_overflow 0
		.amdhsa_exception_fp_ieee_invalid_op 0
		.amdhsa_exception_fp_denorm_src 0
		.amdhsa_exception_fp_ieee_div_zero 0
		.amdhsa_exception_fp_ieee_overflow 0
		.amdhsa_exception_fp_ieee_underflow 0
		.amdhsa_exception_fp_ieee_inexact 0
		.amdhsa_exception_int_div_zero 0
	.end_amdhsa_kernel
	.section	.text._Z17sort_pairs_kernelI22helper_blocked_blockedxLj128ELj8ELj10EEvPKT0_PS1_,"axG",@progbits,_Z17sort_pairs_kernelI22helper_blocked_blockedxLj128ELj8ELj10EEvPKT0_PS1_,comdat
.Lfunc_end111:
	.size	_Z17sort_pairs_kernelI22helper_blocked_blockedxLj128ELj8ELj10EEvPKT0_PS1_, .Lfunc_end111-_Z17sort_pairs_kernelI22helper_blocked_blockedxLj128ELj8ELj10EEvPKT0_PS1_
                                        ; -- End function
	.set _Z17sort_pairs_kernelI22helper_blocked_blockedxLj128ELj8ELj10EEvPKT0_PS1_.num_vgpr, 85
	.set _Z17sort_pairs_kernelI22helper_blocked_blockedxLj128ELj8ELj10EEvPKT0_PS1_.num_agpr, 0
	.set _Z17sort_pairs_kernelI22helper_blocked_blockedxLj128ELj8ELj10EEvPKT0_PS1_.numbered_sgpr, 38
	.set _Z17sort_pairs_kernelI22helper_blocked_blockedxLj128ELj8ELj10EEvPKT0_PS1_.num_named_barrier, 0
	.set _Z17sort_pairs_kernelI22helper_blocked_blockedxLj128ELj8ELj10EEvPKT0_PS1_.private_seg_size, 0
	.set _Z17sort_pairs_kernelI22helper_blocked_blockedxLj128ELj8ELj10EEvPKT0_PS1_.uses_vcc, 1
	.set _Z17sort_pairs_kernelI22helper_blocked_blockedxLj128ELj8ELj10EEvPKT0_PS1_.uses_flat_scratch, 0
	.set _Z17sort_pairs_kernelI22helper_blocked_blockedxLj128ELj8ELj10EEvPKT0_PS1_.has_dyn_sized_stack, 0
	.set _Z17sort_pairs_kernelI22helper_blocked_blockedxLj128ELj8ELj10EEvPKT0_PS1_.has_recursion, 0
	.set _Z17sort_pairs_kernelI22helper_blocked_blockedxLj128ELj8ELj10EEvPKT0_PS1_.has_indirect_call, 0
	.section	.AMDGPU.csdata,"",@progbits
; Kernel info:
; codeLenInByte = 5128
; TotalNumSgprs: 42
; NumVgprs: 85
; ScratchSize: 0
; MemoryBound: 0
; FloatMode: 240
; IeeeMode: 1
; LDSByteSize: 8192 bytes/workgroup (compile time only)
; SGPRBlocks: 12
; VGPRBlocks: 21
; NumSGPRsForWavesPerEU: 102
; NumVGPRsForWavesPerEU: 85
; Occupancy: 2
; WaveLimiterHint : 1
; COMPUTE_PGM_RSRC2:SCRATCH_EN: 0
; COMPUTE_PGM_RSRC2:USER_SGPR: 6
; COMPUTE_PGM_RSRC2:TRAP_HANDLER: 0
; COMPUTE_PGM_RSRC2:TGID_X_EN: 1
; COMPUTE_PGM_RSRC2:TGID_Y_EN: 0
; COMPUTE_PGM_RSRC2:TGID_Z_EN: 0
; COMPUTE_PGM_RSRC2:TIDIG_COMP_CNT: 2
	.section	.text._Z16sort_keys_kernelI22helper_blocked_blockedxLj192ELj1ELj10EEvPKT0_PS1_,"axG",@progbits,_Z16sort_keys_kernelI22helper_blocked_blockedxLj192ELj1ELj10EEvPKT0_PS1_,comdat
	.protected	_Z16sort_keys_kernelI22helper_blocked_blockedxLj192ELj1ELj10EEvPKT0_PS1_ ; -- Begin function _Z16sort_keys_kernelI22helper_blocked_blockedxLj192ELj1ELj10EEvPKT0_PS1_
	.globl	_Z16sort_keys_kernelI22helper_blocked_blockedxLj192ELj1ELj10EEvPKT0_PS1_
	.p2align	8
	.type	_Z16sort_keys_kernelI22helper_blocked_blockedxLj192ELj1ELj10EEvPKT0_PS1_,@function
_Z16sort_keys_kernelI22helper_blocked_blockedxLj192ELj1ELj10EEvPKT0_PS1_: ; @_Z16sort_keys_kernelI22helper_blocked_blockedxLj192ELj1ELj10EEvPKT0_PS1_
; %bb.0:
	s_load_dwordx4 s[28:31], s[4:5], 0x0
	s_load_dword s24, s[4:5], 0x1c
	s_mul_i32 s36, s6, 0xc0
	s_mov_b32 s37, 0
	s_lshl_b64 s[34:35], s[36:37], 3
	s_waitcnt lgkmcnt(0)
	s_add_u32 s0, s28, s34
	s_addc_u32 s1, s29, s35
	v_lshlrev_b32_e32 v3, 3, v0
	global_load_dwordx2 v[7:8], v3, s[0:1]
	s_lshr_b32 s25, s24, 16
	s_and_b32 s24, s24, 0xffff
	v_mad_u32_u24 v1, v2, s25, v1
	v_mbcnt_lo_u32_b32 v4, -1, 0
	v_mad_u64_u32 v[1:2], s[24:25], v1, s24, v[0:1]
	v_mbcnt_hi_u32_b32 v4, -1, v4
	v_and_b32_e32 v5, 0xc0, v0
	v_subrev_co_u32_e64 v16, s[8:9], 1, v4
	v_and_b32_e32 v17, 64, v4
	v_lshlrev_b32_e32 v11, 4, v0
	v_lshrrev_b32_e32 v6, 4, v0
	v_and_b32_e32 v10, 15, v4
	v_min_u32_e32 v15, 0x80, v5
	v_cmp_lt_i32_e32 vcc, v16, v17
	v_lshlrev_b32_e32 v9, 2, v0
	v_and_b32_e32 v14, 16, v4
	v_and_b32_e32 v12, 12, v6
	v_mad_i32_i24 v13, v0, -12, v11
	v_and_b32_e32 v6, 3, v4
	v_lshlrev_b32_e32 v5, 3, v5
	v_cmp_eq_u32_e64 s[10:11], 0, v10
	v_cmp_lt_u32_e64 s[12:13], 1, v10
	v_cmp_lt_u32_e64 s[14:15], 3, v10
	;; [unrolled: 1-line block ×3, first 2 shown]
	v_or_b32_e32 v10, 63, v15
	v_cndmask_b32_e32 v17, v16, v4, vcc
	v_lshrrev_b32_e32 v1, 4, v1
	v_mov_b32_e32 v3, 0
	v_cmp_gt_u32_e64 s[0:1], 3, v0
	v_cmp_lt_u32_e64 s[2:3], 63, v0
	v_cmp_eq_u32_e64 s[4:5], 0, v0
	v_cmp_lt_u32_e64 s[6:7], 31, v4
	v_cmp_eq_u32_e64 s[18:19], 0, v14
	v_cmp_eq_u32_e64 s[20:21], 0, v6
	v_cmp_lt_u32_e64 s[22:23], 1, v6
	v_add_u32_e32 v14, -4, v12
	v_lshl_add_u32 v15, v4, 3, v5
	v_add_u32_e32 v16, v13, v9
	v_cmp_eq_u32_e64 s[24:25], v0, v10
	v_lshlrev_b32_e32 v17, 2, v17
	v_and_b32_e32 v18, 0xffffffc, v1
	v_mov_b32_e32 v19, 12
	s_waitcnt vmcnt(0)
	v_xor_b32_e32 v8, 0x80000000, v8
	s_branch .LBB112_2
.LBB112_1:                              ;   in Loop: Header=BB112_2 Depth=1
	v_lshlrev_b32_e32 v1, 3, v4
	s_barrier
	ds_write_b64 v1, v[5:6]
	s_waitcnt lgkmcnt(0)
	s_barrier
	ds_read_b64 v[7:8], v16
	s_add_i32 s37, s37, 1
	s_cmp_eq_u32 s37, 10
	s_cbranch_scc1 .LBB112_14
.LBB112_2:                              ; =>This Loop Header: Depth=1
                                        ;     Child Loop BB112_4 Depth 2
	v_mov_b32_e32 v1, 0
	v_mov_b32_e32 v2, 0
	s_branch .LBB112_4
.LBB112_3:                              ;   in Loop: Header=BB112_4 Depth=2
	s_andn2_b64 vcc, exec, s[26:27]
	s_cbranch_vccz .LBB112_1
.LBB112_4:                              ;   Parent Loop BB112_2 Depth=1
                                        ; =>  This Inner Loop Header: Depth=2
	s_waitcnt lgkmcnt(0)
	v_mov_b32_e32 v5, v7
	v_mov_b32_e32 v6, v8
	v_lshrrev_b64 v[7:8], v1, v[5:6]
	ds_write2_b32 v11, v3, v3 offset0:3 offset1:4
	ds_write2_b32 v11, v3, v3 offset0:5 offset1:6
	v_and_b32_e32 v4, 1, v7
	v_add_co_u32_e32 v8, vcc, -1, v4
	v_addc_co_u32_e64 v10, s[26:27], 0, -1, vcc
	v_cmp_ne_u32_e32 vcc, 0, v4
	v_xor_b32_e32 v4, vcc_hi, v10
	v_and_b32_e32 v10, exec_hi, v4
	v_lshlrev_b32_e32 v4, 30, v7
	v_xor_b32_e32 v8, vcc_lo, v8
	v_cmp_gt_i64_e32 vcc, 0, v[3:4]
	v_not_b32_e32 v4, v4
	v_ashrrev_i32_e32 v4, 31, v4
	v_and_b32_e32 v8, exec_lo, v8
	v_xor_b32_e32 v20, vcc_hi, v4
	v_xor_b32_e32 v4, vcc_lo, v4
	v_and_b32_e32 v8, v8, v4
	v_lshlrev_b32_e32 v4, 29, v7
	v_cmp_gt_i64_e32 vcc, 0, v[3:4]
	v_not_b32_e32 v4, v4
	v_ashrrev_i32_e32 v4, 31, v4
	v_and_b32_e32 v10, v10, v20
	v_xor_b32_e32 v20, vcc_hi, v4
	v_xor_b32_e32 v4, vcc_lo, v4
	v_and_b32_e32 v8, v8, v4
	v_lshlrev_b32_e32 v4, 28, v7
	v_cmp_gt_i64_e32 vcc, 0, v[3:4]
	v_not_b32_e32 v4, v4
	v_ashrrev_i32_e32 v4, 31, v4
	v_and_b32_e32 v10, v10, v20
	;; [unrolled: 8-line block ×5, first 2 shown]
	v_xor_b32_e32 v20, vcc_hi, v4
	v_xor_b32_e32 v4, vcc_lo, v4
	v_and_b32_e32 v10, v10, v20
	v_and_b32_e32 v20, v8, v4
	v_lshlrev_b32_e32 v4, 24, v7
	v_cmp_gt_i64_e32 vcc, 0, v[3:4]
	v_not_b32_e32 v4, v4
	v_ashrrev_i32_e32 v4, 31, v4
	v_mul_u32_u24_sdwa v9, v7, v19 dst_sel:DWORD dst_unused:UNUSED_PAD src0_sel:BYTE_0 src1_sel:DWORD
	v_xor_b32_e32 v7, vcc_hi, v4
	v_xor_b32_e32 v4, vcc_lo, v4
	v_and_b32_e32 v8, v10, v7
	v_and_b32_e32 v7, v20, v4
	v_mbcnt_lo_u32_b32 v4, v7, 0
	v_mbcnt_hi_u32_b32 v4, v8, v4
	v_cmp_ne_u64_e32 vcc, 0, v[7:8]
	v_cmp_eq_u32_e64 s[26:27], 0, v4
	s_and_b64 s[28:29], vcc, s[26:27]
	v_add_u32_e32 v20, v18, v9
	s_waitcnt lgkmcnt(0)
	s_barrier
	; wave barrier
	s_and_saveexec_b64 s[26:27], s[28:29]
; %bb.5:                                ;   in Loop: Header=BB112_4 Depth=2
	v_bcnt_u32_b32 v7, v7, 0
	v_bcnt_u32_b32 v7, v8, v7
	ds_write_b32 v20, v7 offset:12
; %bb.6:                                ;   in Loop: Header=BB112_4 Depth=2
	s_or_b64 exec, exec, s[26:27]
	; wave barrier
	s_waitcnt lgkmcnt(0)
	s_barrier
	ds_read2_b32 v[9:10], v11 offset0:3 offset1:4
	ds_read2_b32 v[7:8], v11 offset0:5 offset1:6
	s_waitcnt lgkmcnt(1)
	v_add_u32_e32 v21, v10, v9
	s_waitcnt lgkmcnt(0)
	v_add3_u32 v8, v21, v7, v8
	s_nop 1
	v_mov_b32_dpp v21, v8 row_shr:1 row_mask:0xf bank_mask:0xf
	v_cndmask_b32_e64 v21, v21, 0, s[10:11]
	v_add_u32_e32 v8, v21, v8
	s_nop 1
	v_mov_b32_dpp v21, v8 row_shr:2 row_mask:0xf bank_mask:0xf
	v_cndmask_b32_e64 v21, 0, v21, s[12:13]
	v_add_u32_e32 v8, v8, v21
	;; [unrolled: 4-line block ×4, first 2 shown]
	s_nop 1
	v_mov_b32_dpp v21, v8 row_bcast:15 row_mask:0xf bank_mask:0xf
	v_cndmask_b32_e64 v21, v21, 0, s[18:19]
	v_add_u32_e32 v8, v8, v21
	s_nop 1
	v_mov_b32_dpp v21, v8 row_bcast:31 row_mask:0xf bank_mask:0xf
	v_cndmask_b32_e64 v21, 0, v21, s[6:7]
	v_add_u32_e32 v8, v8, v21
	s_and_saveexec_b64 s[26:27], s[24:25]
; %bb.7:                                ;   in Loop: Header=BB112_4 Depth=2
	ds_write_b32 v12, v8
; %bb.8:                                ;   in Loop: Header=BB112_4 Depth=2
	s_or_b64 exec, exec, s[26:27]
	s_waitcnt lgkmcnt(0)
	s_barrier
	s_and_saveexec_b64 s[26:27], s[0:1]
	s_cbranch_execz .LBB112_10
; %bb.9:                                ;   in Loop: Header=BB112_4 Depth=2
	ds_read_b32 v21, v13
	s_waitcnt lgkmcnt(0)
	s_nop 0
	v_mov_b32_dpp v22, v21 row_shr:1 row_mask:0xf bank_mask:0xf
	v_cndmask_b32_e64 v22, v22, 0, s[20:21]
	v_add_u32_e32 v21, v22, v21
	s_nop 1
	v_mov_b32_dpp v22, v21 row_shr:2 row_mask:0xf bank_mask:0xf
	v_cndmask_b32_e64 v22, 0, v22, s[22:23]
	v_add_u32_e32 v21, v21, v22
	ds_write_b32 v13, v21
.LBB112_10:                             ;   in Loop: Header=BB112_4 Depth=2
	s_or_b64 exec, exec, s[26:27]
	v_mov_b32_e32 v21, 0
	s_waitcnt lgkmcnt(0)
	s_barrier
	s_and_saveexec_b64 s[26:27], s[2:3]
; %bb.11:                               ;   in Loop: Header=BB112_4 Depth=2
	ds_read_b32 v21, v14
; %bb.12:                               ;   in Loop: Header=BB112_4 Depth=2
	s_or_b64 exec, exec, s[26:27]
	s_waitcnt lgkmcnt(0)
	v_add_u32_e32 v8, v21, v8
	ds_bpermute_b32 v8, v17, v8
	v_cmp_lt_u32_e32 vcc, 55, v1
	s_and_b64 vcc, exec, vcc
	s_mov_b64 s[26:27], -1
	s_waitcnt lgkmcnt(0)
	v_cndmask_b32_e64 v8, v8, v21, s[8:9]
	v_cndmask_b32_e64 v8, v8, 0, s[4:5]
	v_add_u32_e32 v9, v8, v9
	v_add_u32_e32 v10, v9, v10
	;; [unrolled: 1-line block ×3, first 2 shown]
	ds_write2_b32 v11, v8, v9 offset0:3 offset1:4
	ds_write2_b32 v11, v10, v7 offset0:5 offset1:6
	s_waitcnt lgkmcnt(0)
	s_barrier
	ds_read_b32 v7, v20 offset:12
	s_waitcnt lgkmcnt(0)
	v_add_u32_e32 v4, v7, v4
                                        ; implicit-def: $vgpr7_vgpr8
	s_cbranch_vccnz .LBB112_3
; %bb.13:                               ;   in Loop: Header=BB112_4 Depth=2
	v_lshlrev_b32_e32 v7, 3, v4
	s_barrier
	ds_write_b64 v7, v[5:6]
	s_waitcnt lgkmcnt(0)
	s_barrier
	ds_read_b64 v[7:8], v15
	v_add_co_u32_e32 v1, vcc, 8, v1
	v_addc_co_u32_e32 v2, vcc, 0, v2, vcc
	s_mov_b64 s[26:27], 0
	s_waitcnt lgkmcnt(0)
	s_barrier
	s_branch .LBB112_3
.LBB112_14:
	s_add_u32 s0, s30, s34
	s_waitcnt lgkmcnt(0)
	v_xor_b32_e32 v8, 0x80000000, v8
	s_addc_u32 s1, s31, s35
	v_lshlrev_b32_e32 v0, 3, v0
	global_store_dwordx2 v0, v[7:8], s[0:1]
	s_endpgm
	.section	.rodata,"a",@progbits
	.p2align	6, 0x0
	.amdhsa_kernel _Z16sort_keys_kernelI22helper_blocked_blockedxLj192ELj1ELj10EEvPKT0_PS1_
		.amdhsa_group_segment_fixed_size 3088
		.amdhsa_private_segment_fixed_size 0
		.amdhsa_kernarg_size 272
		.amdhsa_user_sgpr_count 6
		.amdhsa_user_sgpr_private_segment_buffer 1
		.amdhsa_user_sgpr_dispatch_ptr 0
		.amdhsa_user_sgpr_queue_ptr 0
		.amdhsa_user_sgpr_kernarg_segment_ptr 1
		.amdhsa_user_sgpr_dispatch_id 0
		.amdhsa_user_sgpr_flat_scratch_init 0
		.amdhsa_user_sgpr_private_segment_size 0
		.amdhsa_uses_dynamic_stack 0
		.amdhsa_system_sgpr_private_segment_wavefront_offset 0
		.amdhsa_system_sgpr_workgroup_id_x 1
		.amdhsa_system_sgpr_workgroup_id_y 0
		.amdhsa_system_sgpr_workgroup_id_z 0
		.amdhsa_system_sgpr_workgroup_info 0
		.amdhsa_system_vgpr_workitem_id 2
		.amdhsa_next_free_vgpr 23
		.amdhsa_next_free_sgpr 38
		.amdhsa_reserve_vcc 1
		.amdhsa_reserve_flat_scratch 0
		.amdhsa_float_round_mode_32 0
		.amdhsa_float_round_mode_16_64 0
		.amdhsa_float_denorm_mode_32 3
		.amdhsa_float_denorm_mode_16_64 3
		.amdhsa_dx10_clamp 1
		.amdhsa_ieee_mode 1
		.amdhsa_fp16_overflow 0
		.amdhsa_exception_fp_ieee_invalid_op 0
		.amdhsa_exception_fp_denorm_src 0
		.amdhsa_exception_fp_ieee_div_zero 0
		.amdhsa_exception_fp_ieee_overflow 0
		.amdhsa_exception_fp_ieee_underflow 0
		.amdhsa_exception_fp_ieee_inexact 0
		.amdhsa_exception_int_div_zero 0
	.end_amdhsa_kernel
	.section	.text._Z16sort_keys_kernelI22helper_blocked_blockedxLj192ELj1ELj10EEvPKT0_PS1_,"axG",@progbits,_Z16sort_keys_kernelI22helper_blocked_blockedxLj192ELj1ELj10EEvPKT0_PS1_,comdat
.Lfunc_end112:
	.size	_Z16sort_keys_kernelI22helper_blocked_blockedxLj192ELj1ELj10EEvPKT0_PS1_, .Lfunc_end112-_Z16sort_keys_kernelI22helper_blocked_blockedxLj192ELj1ELj10EEvPKT0_PS1_
                                        ; -- End function
	.set _Z16sort_keys_kernelI22helper_blocked_blockedxLj192ELj1ELj10EEvPKT0_PS1_.num_vgpr, 23
	.set _Z16sort_keys_kernelI22helper_blocked_blockedxLj192ELj1ELj10EEvPKT0_PS1_.num_agpr, 0
	.set _Z16sort_keys_kernelI22helper_blocked_blockedxLj192ELj1ELj10EEvPKT0_PS1_.numbered_sgpr, 38
	.set _Z16sort_keys_kernelI22helper_blocked_blockedxLj192ELj1ELj10EEvPKT0_PS1_.num_named_barrier, 0
	.set _Z16sort_keys_kernelI22helper_blocked_blockedxLj192ELj1ELj10EEvPKT0_PS1_.private_seg_size, 0
	.set _Z16sort_keys_kernelI22helper_blocked_blockedxLj192ELj1ELj10EEvPKT0_PS1_.uses_vcc, 1
	.set _Z16sort_keys_kernelI22helper_blocked_blockedxLj192ELj1ELj10EEvPKT0_PS1_.uses_flat_scratch, 0
	.set _Z16sort_keys_kernelI22helper_blocked_blockedxLj192ELj1ELj10EEvPKT0_PS1_.has_dyn_sized_stack, 0
	.set _Z16sort_keys_kernelI22helper_blocked_blockedxLj192ELj1ELj10EEvPKT0_PS1_.has_recursion, 0
	.set _Z16sort_keys_kernelI22helper_blocked_blockedxLj192ELj1ELj10EEvPKT0_PS1_.has_indirect_call, 0
	.section	.AMDGPU.csdata,"",@progbits
; Kernel info:
; codeLenInByte = 1292
; TotalNumSgprs: 42
; NumVgprs: 23
; ScratchSize: 0
; MemoryBound: 0
; FloatMode: 240
; IeeeMode: 1
; LDSByteSize: 3088 bytes/workgroup (compile time only)
; SGPRBlocks: 5
; VGPRBlocks: 5
; NumSGPRsForWavesPerEU: 42
; NumVGPRsForWavesPerEU: 23
; Occupancy: 10
; WaveLimiterHint : 0
; COMPUTE_PGM_RSRC2:SCRATCH_EN: 0
; COMPUTE_PGM_RSRC2:USER_SGPR: 6
; COMPUTE_PGM_RSRC2:TRAP_HANDLER: 0
; COMPUTE_PGM_RSRC2:TGID_X_EN: 1
; COMPUTE_PGM_RSRC2:TGID_Y_EN: 0
; COMPUTE_PGM_RSRC2:TGID_Z_EN: 0
; COMPUTE_PGM_RSRC2:TIDIG_COMP_CNT: 2
	.section	.text._Z17sort_pairs_kernelI22helper_blocked_blockedxLj192ELj1ELj10EEvPKT0_PS1_,"axG",@progbits,_Z17sort_pairs_kernelI22helper_blocked_blockedxLj192ELj1ELj10EEvPKT0_PS1_,comdat
	.protected	_Z17sort_pairs_kernelI22helper_blocked_blockedxLj192ELj1ELj10EEvPKT0_PS1_ ; -- Begin function _Z17sort_pairs_kernelI22helper_blocked_blockedxLj192ELj1ELj10EEvPKT0_PS1_
	.globl	_Z17sort_pairs_kernelI22helper_blocked_blockedxLj192ELj1ELj10EEvPKT0_PS1_
	.p2align	8
	.type	_Z17sort_pairs_kernelI22helper_blocked_blockedxLj192ELj1ELj10EEvPKT0_PS1_,@function
_Z17sort_pairs_kernelI22helper_blocked_blockedxLj192ELj1ELj10EEvPKT0_PS1_: ; @_Z17sort_pairs_kernelI22helper_blocked_blockedxLj192ELj1ELj10EEvPKT0_PS1_
; %bb.0:
	s_load_dwordx4 s[28:31], s[4:5], 0x0
	s_load_dword s24, s[4:5], 0x1c
	s_mul_i32 s36, s6, 0xc0
	s_mov_b32 s37, 0
	s_lshl_b64 s[34:35], s[36:37], 3
	s_waitcnt lgkmcnt(0)
	s_add_u32 s0, s28, s34
	s_addc_u32 s1, s29, s35
	v_lshlrev_b32_e32 v3, 3, v0
	global_load_dwordx2 v[9:10], v3, s[0:1]
	s_lshr_b32 s25, s24, 16
	v_mbcnt_lo_u32_b32 v4, -1, 0
	s_and_b32 s24, s24, 0xffff
	v_mad_u32_u24 v1, v2, s25, v1
	v_mbcnt_hi_u32_b32 v4, -1, v4
	v_mad_u64_u32 v[1:2], s[24:25], v1, s24, v[0:1]
	v_subrev_co_u32_e64 v16, s[8:9], 1, v4
	v_and_b32_e32 v17, 64, v4
	v_and_b32_e32 v5, 0xc0, v0
	;; [unrolled: 1-line block ×3, first 2 shown]
	v_cmp_lt_i32_e32 vcc, v16, v17
	v_lshlrev_b32_e32 v13, 4, v0
	v_lshrrev_b32_e32 v6, 4, v0
	v_and_b32_e32 v8, 15, v4
	v_min_u32_e32 v12, 0x80, v5
	v_cmp_eq_u32_e64 s[18:19], 0, v11
	v_cndmask_b32_e32 v11, v16, v4, vcc
	v_lshlrev_b32_e32 v7, 2, v0
	v_and_b32_e32 v14, 12, v6
	v_mad_i32_i24 v15, v0, -12, v13
	v_and_b32_e32 v6, 3, v4
	v_lshlrev_b32_e32 v5, 3, v5
	v_cmp_eq_u32_e64 s[10:11], 0, v8
	v_cmp_lt_u32_e64 s[12:13], 1, v8
	v_cmp_lt_u32_e64 s[14:15], 3, v8
	;; [unrolled: 1-line block ×3, first 2 shown]
	v_or_b32_e32 v8, 63, v12
	v_lshlrev_b32_e32 v18, 2, v11
	v_lshrrev_b32_e32 v1, 4, v1
	v_mov_b32_e32 v3, 0
	v_cmp_gt_u32_e64 s[0:1], 3, v0
	v_cmp_lt_u32_e64 s[2:3], 63, v0
	v_cmp_eq_u32_e64 s[4:5], 0, v0
	v_cmp_lt_u32_e64 s[6:7], 31, v4
	v_cmp_eq_u32_e64 s[20:21], 0, v6
	v_cmp_lt_u32_e64 s[22:23], 1, v6
	v_lshl_add_u32 v16, v4, 3, v5
	v_add_u32_e32 v17, v15, v7
	v_cmp_eq_u32_e64 s[24:25], v0, v8
	v_and_b32_e32 v19, 0xffffffc, v1
	s_waitcnt vmcnt(0)
	v_add_co_u32_e32 v11, vcc, 1, v9
	v_addc_co_u32_e32 v12, vcc, 0, v10, vcc
	v_xor_b32_e32 v10, 0x80000000, v10
	s_branch .LBB113_2
.LBB113_1:                              ;   in Loop: Header=BB113_2 Depth=1
	v_lshlrev_b32_e32 v4, 3, v4
	s_barrier
	ds_write_b64 v4, v[7:8]
	s_waitcnt lgkmcnt(0)
	s_barrier
	ds_read_b64 v[9:10], v17
	s_waitcnt lgkmcnt(0)
	s_barrier
	ds_write_b64 v4, v[1:2]
	s_waitcnt lgkmcnt(0)
	s_barrier
	ds_read_b64 v[11:12], v17
	s_add_i32 s37, s37, 1
	s_cmp_eq_u32 s37, 10
	s_cbranch_scc1 .LBB113_14
.LBB113_2:                              ; =>This Loop Header: Depth=1
                                        ;     Child Loop BB113_4 Depth 2
	v_mov_b32_e32 v5, 0
	v_mov_b32_e32 v6, 0
	s_branch .LBB113_4
.LBB113_3:                              ;   in Loop: Header=BB113_4 Depth=2
	s_andn2_b64 vcc, exec, s[26:27]
	s_cbranch_vccz .LBB113_1
.LBB113_4:                              ;   Parent Loop BB113_2 Depth=1
                                        ; =>  This Inner Loop Header: Depth=2
	v_mov_b32_e32 v7, v9
	v_mov_b32_e32 v8, v10
	v_lshrrev_b64 v[9:10], v5, v[7:8]
	s_waitcnt lgkmcnt(0)
	v_mov_b32_e32 v1, v11
	v_mov_b32_e32 v4, 12
	;; [unrolled: 1-line block ×3, first 2 shown]
	v_mul_u32_u24_sdwa v11, v9, v4 dst_sel:DWORD dst_unused:UNUSED_PAD src0_sel:BYTE_0 src1_sel:DWORD
	v_and_b32_e32 v4, 1, v9
	v_add_co_u32_e32 v10, vcc, -1, v4
	v_addc_co_u32_e64 v12, s[26:27], 0, -1, vcc
	v_cmp_ne_u32_e32 vcc, 0, v4
	v_xor_b32_e32 v4, vcc_hi, v12
	v_and_b32_e32 v12, exec_hi, v4
	v_lshlrev_b32_e32 v4, 30, v9
	v_xor_b32_e32 v10, vcc_lo, v10
	v_cmp_gt_i64_e32 vcc, 0, v[3:4]
	v_not_b32_e32 v4, v4
	v_ashrrev_i32_e32 v4, 31, v4
	v_and_b32_e32 v10, exec_lo, v10
	v_xor_b32_e32 v20, vcc_hi, v4
	v_xor_b32_e32 v4, vcc_lo, v4
	v_and_b32_e32 v10, v10, v4
	v_lshlrev_b32_e32 v4, 29, v9
	v_cmp_gt_i64_e32 vcc, 0, v[3:4]
	v_not_b32_e32 v4, v4
	v_ashrrev_i32_e32 v4, 31, v4
	v_and_b32_e32 v12, v12, v20
	v_xor_b32_e32 v20, vcc_hi, v4
	v_xor_b32_e32 v4, vcc_lo, v4
	v_and_b32_e32 v10, v10, v4
	v_lshlrev_b32_e32 v4, 28, v9
	v_cmp_gt_i64_e32 vcc, 0, v[3:4]
	v_not_b32_e32 v4, v4
	v_ashrrev_i32_e32 v4, 31, v4
	v_and_b32_e32 v12, v12, v20
	;; [unrolled: 8-line block ×5, first 2 shown]
	v_xor_b32_e32 v20, vcc_hi, v4
	v_xor_b32_e32 v4, vcc_lo, v4
	v_and_b32_e32 v12, v12, v20
	v_and_b32_e32 v20, v10, v4
	v_lshlrev_b32_e32 v4, 24, v9
	v_cmp_gt_i64_e32 vcc, 0, v[3:4]
	v_not_b32_e32 v4, v4
	v_ashrrev_i32_e32 v4, 31, v4
	v_xor_b32_e32 v9, vcc_hi, v4
	v_xor_b32_e32 v4, vcc_lo, v4
	v_and_b32_e32 v10, v12, v9
	v_and_b32_e32 v9, v20, v4
	v_mbcnt_lo_u32_b32 v4, v9, 0
	v_mbcnt_hi_u32_b32 v4, v10, v4
	v_cmp_ne_u64_e32 vcc, 0, v[9:10]
	v_cmp_eq_u32_e64 s[26:27], 0, v4
	s_and_b64 s[28:29], vcc, s[26:27]
	v_add_u32_e32 v20, v19, v11
	ds_write2_b32 v13, v3, v3 offset0:3 offset1:4
	ds_write2_b32 v13, v3, v3 offset0:5 offset1:6
	s_waitcnt lgkmcnt(0)
	s_barrier
	; wave barrier
	s_and_saveexec_b64 s[26:27], s[28:29]
; %bb.5:                                ;   in Loop: Header=BB113_4 Depth=2
	v_bcnt_u32_b32 v9, v9, 0
	v_bcnt_u32_b32 v9, v10, v9
	ds_write_b32 v20, v9 offset:12
; %bb.6:                                ;   in Loop: Header=BB113_4 Depth=2
	s_or_b64 exec, exec, s[26:27]
	; wave barrier
	s_waitcnt lgkmcnt(0)
	s_barrier
	ds_read2_b32 v[11:12], v13 offset0:3 offset1:4
	ds_read2_b32 v[9:10], v13 offset0:5 offset1:6
	s_waitcnt lgkmcnt(1)
	v_add_u32_e32 v21, v12, v11
	s_waitcnt lgkmcnt(0)
	v_add3_u32 v10, v21, v9, v10
	s_nop 1
	v_mov_b32_dpp v21, v10 row_shr:1 row_mask:0xf bank_mask:0xf
	v_cndmask_b32_e64 v21, v21, 0, s[10:11]
	v_add_u32_e32 v10, v21, v10
	s_nop 1
	v_mov_b32_dpp v21, v10 row_shr:2 row_mask:0xf bank_mask:0xf
	v_cndmask_b32_e64 v21, 0, v21, s[12:13]
	v_add_u32_e32 v10, v10, v21
	;; [unrolled: 4-line block ×4, first 2 shown]
	s_nop 1
	v_mov_b32_dpp v21, v10 row_bcast:15 row_mask:0xf bank_mask:0xf
	v_cndmask_b32_e64 v21, v21, 0, s[18:19]
	v_add_u32_e32 v10, v10, v21
	s_nop 1
	v_mov_b32_dpp v21, v10 row_bcast:31 row_mask:0xf bank_mask:0xf
	v_cndmask_b32_e64 v21, 0, v21, s[6:7]
	v_add_u32_e32 v10, v10, v21
	s_and_saveexec_b64 s[26:27], s[24:25]
; %bb.7:                                ;   in Loop: Header=BB113_4 Depth=2
	ds_write_b32 v14, v10
; %bb.8:                                ;   in Loop: Header=BB113_4 Depth=2
	s_or_b64 exec, exec, s[26:27]
	s_waitcnt lgkmcnt(0)
	s_barrier
	s_and_saveexec_b64 s[26:27], s[0:1]
	s_cbranch_execz .LBB113_10
; %bb.9:                                ;   in Loop: Header=BB113_4 Depth=2
	ds_read_b32 v21, v15
	s_waitcnt lgkmcnt(0)
	s_nop 0
	v_mov_b32_dpp v22, v21 row_shr:1 row_mask:0xf bank_mask:0xf
	v_cndmask_b32_e64 v22, v22, 0, s[20:21]
	v_add_u32_e32 v21, v22, v21
	s_nop 1
	v_mov_b32_dpp v22, v21 row_shr:2 row_mask:0xf bank_mask:0xf
	v_cndmask_b32_e64 v22, 0, v22, s[22:23]
	v_add_u32_e32 v21, v21, v22
	ds_write_b32 v15, v21
.LBB113_10:                             ;   in Loop: Header=BB113_4 Depth=2
	s_or_b64 exec, exec, s[26:27]
	v_mov_b32_e32 v21, 0
	s_waitcnt lgkmcnt(0)
	s_barrier
	s_and_saveexec_b64 s[26:27], s[2:3]
; %bb.11:                               ;   in Loop: Header=BB113_4 Depth=2
	v_add_u32_e32 v21, -4, v14
	ds_read_b32 v21, v21
; %bb.12:                               ;   in Loop: Header=BB113_4 Depth=2
	s_or_b64 exec, exec, s[26:27]
	s_waitcnt lgkmcnt(0)
	v_add_u32_e32 v10, v21, v10
	ds_bpermute_b32 v10, v18, v10
	v_cmp_lt_u32_e32 vcc, 55, v5
	s_and_b64 vcc, exec, vcc
	s_mov_b64 s[26:27], -1
	s_waitcnt lgkmcnt(0)
	v_cndmask_b32_e64 v10, v10, v21, s[8:9]
	v_cndmask_b32_e64 v10, v10, 0, s[4:5]
	v_add_u32_e32 v11, v10, v11
	v_add_u32_e32 v12, v11, v12
	;; [unrolled: 1-line block ×3, first 2 shown]
	ds_write2_b32 v13, v10, v11 offset0:3 offset1:4
	ds_write2_b32 v13, v12, v9 offset0:5 offset1:6
	s_waitcnt lgkmcnt(0)
	s_barrier
	ds_read_b32 v9, v20 offset:12
                                        ; implicit-def: $vgpr11_vgpr12
	s_waitcnt lgkmcnt(0)
	v_add_u32_e32 v4, v9, v4
                                        ; implicit-def: $vgpr9_vgpr10
	s_cbranch_vccnz .LBB113_3
; %bb.13:                               ;   in Loop: Header=BB113_4 Depth=2
	v_lshlrev_b32_e32 v11, 3, v4
	s_barrier
	ds_write_b64 v11, v[7:8]
	s_waitcnt lgkmcnt(0)
	s_barrier
	ds_read_b64 v[9:10], v16
	s_waitcnt lgkmcnt(0)
	s_barrier
	ds_write_b64 v11, v[1:2]
	s_waitcnt lgkmcnt(0)
	s_barrier
	ds_read_b64 v[11:12], v16
	v_add_co_u32_e32 v5, vcc, 8, v5
	v_addc_co_u32_e32 v6, vcc, 0, v6, vcc
	s_mov_b64 s[26:27], 0
	s_waitcnt lgkmcnt(0)
	s_barrier
	s_branch .LBB113_3
.LBB113_14:
	s_waitcnt lgkmcnt(0)
	v_add_co_u32_e32 v1, vcc, v11, v9
	v_addc_co_u32_e32 v2, vcc, v12, v10, vcc
	s_add_u32 s0, s30, s34
	v_add_u32_e32 v2, 0x80000000, v2
	s_addc_u32 s1, s31, s35
	v_lshlrev_b32_e32 v0, 3, v0
	global_store_dwordx2 v0, v[1:2], s[0:1]
	s_endpgm
	.section	.rodata,"a",@progbits
	.p2align	6, 0x0
	.amdhsa_kernel _Z17sort_pairs_kernelI22helper_blocked_blockedxLj192ELj1ELj10EEvPKT0_PS1_
		.amdhsa_group_segment_fixed_size 3088
		.amdhsa_private_segment_fixed_size 0
		.amdhsa_kernarg_size 272
		.amdhsa_user_sgpr_count 6
		.amdhsa_user_sgpr_private_segment_buffer 1
		.amdhsa_user_sgpr_dispatch_ptr 0
		.amdhsa_user_sgpr_queue_ptr 0
		.amdhsa_user_sgpr_kernarg_segment_ptr 1
		.amdhsa_user_sgpr_dispatch_id 0
		.amdhsa_user_sgpr_flat_scratch_init 0
		.amdhsa_user_sgpr_private_segment_size 0
		.amdhsa_uses_dynamic_stack 0
		.amdhsa_system_sgpr_private_segment_wavefront_offset 0
		.amdhsa_system_sgpr_workgroup_id_x 1
		.amdhsa_system_sgpr_workgroup_id_y 0
		.amdhsa_system_sgpr_workgroup_id_z 0
		.amdhsa_system_sgpr_workgroup_info 0
		.amdhsa_system_vgpr_workitem_id 2
		.amdhsa_next_free_vgpr 23
		.amdhsa_next_free_sgpr 38
		.amdhsa_reserve_vcc 1
		.amdhsa_reserve_flat_scratch 0
		.amdhsa_float_round_mode_32 0
		.amdhsa_float_round_mode_16_64 0
		.amdhsa_float_denorm_mode_32 3
		.amdhsa_float_denorm_mode_16_64 3
		.amdhsa_dx10_clamp 1
		.amdhsa_ieee_mode 1
		.amdhsa_fp16_overflow 0
		.amdhsa_exception_fp_ieee_invalid_op 0
		.amdhsa_exception_fp_denorm_src 0
		.amdhsa_exception_fp_ieee_div_zero 0
		.amdhsa_exception_fp_ieee_overflow 0
		.amdhsa_exception_fp_ieee_underflow 0
		.amdhsa_exception_fp_ieee_inexact 0
		.amdhsa_exception_int_div_zero 0
	.end_amdhsa_kernel
	.section	.text._Z17sort_pairs_kernelI22helper_blocked_blockedxLj192ELj1ELj10EEvPKT0_PS1_,"axG",@progbits,_Z17sort_pairs_kernelI22helper_blocked_blockedxLj192ELj1ELj10EEvPKT0_PS1_,comdat
.Lfunc_end113:
	.size	_Z17sort_pairs_kernelI22helper_blocked_blockedxLj192ELj1ELj10EEvPKT0_PS1_, .Lfunc_end113-_Z17sort_pairs_kernelI22helper_blocked_blockedxLj192ELj1ELj10EEvPKT0_PS1_
                                        ; -- End function
	.set _Z17sort_pairs_kernelI22helper_blocked_blockedxLj192ELj1ELj10EEvPKT0_PS1_.num_vgpr, 23
	.set _Z17sort_pairs_kernelI22helper_blocked_blockedxLj192ELj1ELj10EEvPKT0_PS1_.num_agpr, 0
	.set _Z17sort_pairs_kernelI22helper_blocked_blockedxLj192ELj1ELj10EEvPKT0_PS1_.numbered_sgpr, 38
	.set _Z17sort_pairs_kernelI22helper_blocked_blockedxLj192ELj1ELj10EEvPKT0_PS1_.num_named_barrier, 0
	.set _Z17sort_pairs_kernelI22helper_blocked_blockedxLj192ELj1ELj10EEvPKT0_PS1_.private_seg_size, 0
	.set _Z17sort_pairs_kernelI22helper_blocked_blockedxLj192ELj1ELj10EEvPKT0_PS1_.uses_vcc, 1
	.set _Z17sort_pairs_kernelI22helper_blocked_blockedxLj192ELj1ELj10EEvPKT0_PS1_.uses_flat_scratch, 0
	.set _Z17sort_pairs_kernelI22helper_blocked_blockedxLj192ELj1ELj10EEvPKT0_PS1_.has_dyn_sized_stack, 0
	.set _Z17sort_pairs_kernelI22helper_blocked_blockedxLj192ELj1ELj10EEvPKT0_PS1_.has_recursion, 0
	.set _Z17sort_pairs_kernelI22helper_blocked_blockedxLj192ELj1ELj10EEvPKT0_PS1_.has_indirect_call, 0
	.section	.AMDGPU.csdata,"",@progbits
; Kernel info:
; codeLenInByte = 1380
; TotalNumSgprs: 42
; NumVgprs: 23
; ScratchSize: 0
; MemoryBound: 0
; FloatMode: 240
; IeeeMode: 1
; LDSByteSize: 3088 bytes/workgroup (compile time only)
; SGPRBlocks: 5
; VGPRBlocks: 5
; NumSGPRsForWavesPerEU: 42
; NumVGPRsForWavesPerEU: 23
; Occupancy: 10
; WaveLimiterHint : 0
; COMPUTE_PGM_RSRC2:SCRATCH_EN: 0
; COMPUTE_PGM_RSRC2:USER_SGPR: 6
; COMPUTE_PGM_RSRC2:TRAP_HANDLER: 0
; COMPUTE_PGM_RSRC2:TGID_X_EN: 1
; COMPUTE_PGM_RSRC2:TGID_Y_EN: 0
; COMPUTE_PGM_RSRC2:TGID_Z_EN: 0
; COMPUTE_PGM_RSRC2:TIDIG_COMP_CNT: 2
	.section	.text._Z16sort_keys_kernelI22helper_blocked_blockedxLj192ELj3ELj10EEvPKT0_PS1_,"axG",@progbits,_Z16sort_keys_kernelI22helper_blocked_blockedxLj192ELj3ELj10EEvPKT0_PS1_,comdat
	.protected	_Z16sort_keys_kernelI22helper_blocked_blockedxLj192ELj3ELj10EEvPKT0_PS1_ ; -- Begin function _Z16sort_keys_kernelI22helper_blocked_blockedxLj192ELj3ELj10EEvPKT0_PS1_
	.globl	_Z16sort_keys_kernelI22helper_blocked_blockedxLj192ELj3ELj10EEvPKT0_PS1_
	.p2align	8
	.type	_Z16sort_keys_kernelI22helper_blocked_blockedxLj192ELj3ELj10EEvPKT0_PS1_,@function
_Z16sort_keys_kernelI22helper_blocked_blockedxLj192ELj3ELj10EEvPKT0_PS1_: ; @_Z16sort_keys_kernelI22helper_blocked_blockedxLj192ELj3ELj10EEvPKT0_PS1_
; %bb.0:
	s_load_dwordx4 s[28:31], s[4:5], 0x0
	s_load_dword s2, s[4:5], 0x1c
	s_mul_i32 s34, s6, 0x240
	s_mov_b32 s35, 0
	s_lshl_b64 s[36:37], s[34:35], 3
	s_waitcnt lgkmcnt(0)
	s_add_u32 s0, s28, s36
	s_addc_u32 s1, s29, s37
	v_lshlrev_b32_e32 v7, 3, v0
	global_load_dwordx2 v[3:4], v7, s[0:1]
	global_load_dwordx2 v[5:6], v7, s[0:1] offset:1536
	global_load_dwordx2 v[8:9], v7, s[0:1] offset:3072
	s_lshr_b32 s0, s2, 16
	v_mbcnt_lo_u32_b32 v10, -1, 0
	s_and_b32 s1, s2, 0xffff
	v_mad_u32_u24 v1, v2, s0, v1
	v_mbcnt_hi_u32_b32 v10, -1, v10
	v_mad_u64_u32 v[1:2], s[0:1], v1, s1, v[0:1]
	v_lshrrev_b32_e32 v11, 6, v0
	v_and_b32_e32 v2, 15, v10
	v_mul_u32_u24_e32 v12, 0xc0, v11
	v_cmp_eq_u32_e64 s[0:1], 0, v2
	v_cmp_lt_u32_e64 s[2:3], 1, v2
	v_cmp_lt_u32_e64 s[4:5], 3, v2
	;; [unrolled: 1-line block ×3, first 2 shown]
	v_and_b32_e32 v2, 16, v10
	v_lshlrev_b32_e32 v12, 3, v12
	v_lshlrev_b32_e32 v13, 3, v10
	v_cmp_eq_u32_e64 s[8:9], 0, v2
	v_and_b32_e32 v2, 0xc0, v0
	v_mad_u32_u24 v17, v10, 24, v12
	v_add_u32_e32 v18, v13, v12
	v_min_u32_e32 v12, 0x80, v2
	v_or_b32_e32 v12, 63, v12
	v_cmp_eq_u32_e64 s[10:11], v0, v12
	v_subrev_co_u32_e64 v12, s[12:13], 1, v10
	v_and_b32_e32 v14, 64, v10
	v_lshlrev_b32_e32 v19, 4, v0
	v_cmp_lt_i32_e32 vcc, v12, v14
	v_lshrrev_b32_e32 v1, 4, v1
	v_cmp_lt_u32_e64 s[14:15], 31, v10
	v_cndmask_b32_e32 v12, v12, v10, vcc
	v_lshlrev_b32_e32 v21, 2, v11
	v_and_b32_e32 v10, 3, v10
	v_mad_i32_i24 v22, v0, -12, v19
	v_mul_u32_u24_e32 v2, 24, v2
	v_and_b32_e32 v24, 0xffffffc, v1
	v_mul_u32_u24_e32 v1, 20, v0
	v_mov_b32_e32 v7, 0
	v_cmp_gt_u32_e64 s[16:17], 3, v0
	v_cmp_lt_u32_e64 s[18:19], 63, v0
	v_lshlrev_b32_e32 v20, 2, v12
	v_cmp_eq_u32_e64 s[20:21], 0, v0
	v_cmp_eq_u32_e64 s[22:23], 0, v10
	v_cmp_lt_u32_e64 s[24:25], 1, v10
	v_add_u32_e32 v23, -4, v21
	v_add_u32_e32 v25, v13, v2
	v_add_u32_e32 v26, v22, v1
	v_mov_b32_e32 v27, 12
	s_branch .LBB114_2
.LBB114_1:                              ;   in Loop: Header=BB114_2 Depth=1
	v_lshlrev_b32_e32 v1, 3, v30
	s_barrier
	ds_write_b64 v1, v[13:14]
	v_lshlrev_b32_e32 v1, 3, v28
	ds_write_b64 v1, v[11:12]
	v_lshlrev_b32_e32 v1, 3, v8
	ds_write_b64 v1, v[5:6]
	s_waitcnt lgkmcnt(0)
	s_barrier
	ds_read2_b64 v[3:6], v26 offset1:1
	ds_read_b64 v[8:9], v26 offset:16
	s_add_i32 s35, s35, 1
	s_cmp_eq_u32 s35, 10
	s_waitcnt lgkmcnt(1)
	v_xor_b32_e32 v4, 0x80000000, v4
	v_xor_b32_e32 v6, 0x80000000, v6
	s_waitcnt lgkmcnt(0)
	v_xor_b32_e32 v9, 0x80000000, v9
	s_cbranch_scc1 .LBB114_18
.LBB114_2:                              ; =>This Loop Header: Depth=1
                                        ;     Child Loop BB114_4 Depth 2
	s_waitcnt vmcnt(2)
	v_xor_b32_e32 v4, 0x80000000, v4
	s_waitcnt vmcnt(1)
	v_xor_b32_e32 v6, 0x80000000, v6
	;; [unrolled: 2-line block ×3, first 2 shown]
	ds_write2_b64 v17, v[3:4], v[5:6] offset1:1
	ds_write_b64 v17, v[8:9] offset:16
	; wave barrier
	ds_read2st64_b64 v[1:4], v18 offset1:1
	ds_read_b64 v[15:16], v18 offset:1024
	v_mov_b32_e32 v9, 0
	v_mov_b32_e32 v10, 0
	s_waitcnt lgkmcnt(0)
	s_barrier
	; wave barrier
	s_barrier
	s_branch .LBB114_4
.LBB114_3:                              ;   in Loop: Header=BB114_4 Depth=2
	s_andn2_b64 vcc, exec, s[26:27]
	s_cbranch_vccz .LBB114_1
.LBB114_4:                              ;   Parent Loop BB114_2 Depth=1
                                        ; =>  This Inner Loop Header: Depth=2
	v_mov_b32_e32 v14, v2
	v_mov_b32_e32 v13, v1
	v_lshrrev_b64 v[1:2], v9, v[13:14]
	v_mov_b32_e32 v12, v4
	v_and_b32_e32 v2, 1, v1
	v_mov_b32_e32 v11, v3
	v_add_co_u32_e32 v4, vcc, -1, v2
	v_addc_co_u32_e64 v8, s[26:27], 0, -1, vcc
	v_cmp_ne_u32_e32 vcc, 0, v2
	v_xor_b32_e32 v2, vcc_hi, v8
	v_lshlrev_b32_e32 v8, 30, v1
	v_xor_b32_e32 v4, vcc_lo, v4
	v_cmp_gt_i64_e32 vcc, 0, v[7:8]
	v_not_b32_e32 v8, v8
	v_mov_b32_e32 v5, v15
	v_ashrrev_i32_e32 v8, 31, v8
	v_mov_b32_e32 v6, v16
	v_and_b32_e32 v4, exec_lo, v4
	v_xor_b32_e32 v15, vcc_hi, v8
	v_xor_b32_e32 v8, vcc_lo, v8
	v_and_b32_e32 v4, v4, v8
	v_lshlrev_b32_e32 v8, 29, v1
	v_cmp_gt_i64_e32 vcc, 0, v[7:8]
	v_not_b32_e32 v8, v8
	v_and_b32_e32 v2, exec_hi, v2
	v_ashrrev_i32_e32 v8, 31, v8
	v_and_b32_e32 v2, v2, v15
	v_xor_b32_e32 v15, vcc_hi, v8
	v_xor_b32_e32 v8, vcc_lo, v8
	v_and_b32_e32 v4, v4, v8
	v_lshlrev_b32_e32 v8, 28, v1
	v_cmp_gt_i64_e32 vcc, 0, v[7:8]
	v_not_b32_e32 v8, v8
	v_ashrrev_i32_e32 v8, 31, v8
	v_and_b32_e32 v2, v2, v15
	v_xor_b32_e32 v15, vcc_hi, v8
	v_xor_b32_e32 v8, vcc_lo, v8
	v_and_b32_e32 v4, v4, v8
	v_lshlrev_b32_e32 v8, 27, v1
	v_cmp_gt_i64_e32 vcc, 0, v[7:8]
	v_not_b32_e32 v8, v8
	;; [unrolled: 8-line block ×4, first 2 shown]
	v_ashrrev_i32_e32 v8, 31, v8
	v_and_b32_e32 v2, v2, v15
	v_xor_b32_e32 v15, vcc_hi, v8
	v_xor_b32_e32 v8, vcc_lo, v8
	v_and_b32_e32 v4, v4, v8
	v_lshlrev_b32_e32 v8, 24, v1
	v_mul_u32_u24_sdwa v3, v1, v27 dst_sel:DWORD dst_unused:UNUSED_PAD src0_sel:BYTE_0 src1_sel:DWORD
	v_cmp_gt_i64_e32 vcc, 0, v[7:8]
	v_not_b32_e32 v1, v8
	v_ashrrev_i32_e32 v1, 31, v1
	v_xor_b32_e32 v8, vcc_hi, v1
	v_xor_b32_e32 v1, vcc_lo, v1
	v_and_b32_e32 v2, v2, v15
	v_and_b32_e32 v1, v4, v1
	;; [unrolled: 1-line block ×3, first 2 shown]
	v_mbcnt_lo_u32_b32 v4, v1, 0
	v_mbcnt_hi_u32_b32 v15, v2, v4
	v_cmp_ne_u64_e32 vcc, 0, v[1:2]
	v_cmp_eq_u32_e64 s[26:27], 0, v15
	s_and_b64 s[28:29], vcc, s[26:27]
	v_add_u32_e32 v16, v24, v3
	ds_write2_b32 v19, v7, v7 offset0:3 offset1:4
	ds_write2_b32 v19, v7, v7 offset0:5 offset1:6
	s_waitcnt lgkmcnt(0)
	s_barrier
	; wave barrier
	s_and_saveexec_b64 s[26:27], s[28:29]
; %bb.5:                                ;   in Loop: Header=BB114_4 Depth=2
	v_bcnt_u32_b32 v1, v1, 0
	v_bcnt_u32_b32 v1, v2, v1
	ds_write_b32 v16, v1 offset:12
; %bb.6:                                ;   in Loop: Header=BB114_4 Depth=2
	s_or_b64 exec, exec, s[26:27]
	v_lshrrev_b64 v[1:2], v9, v[11:12]
	v_and_b32_e32 v2, 0xff, v1
	v_mul_u32_u24_e32 v3, 12, v2
	v_mad_u32_u24 v2, v2, 12, v24
	; wave barrier
	ds_read_b32 v28, v2 offset:12
	v_and_b32_e32 v2, 1, v1
	v_add_co_u32_e32 v4, vcc, -1, v2
	v_addc_co_u32_e64 v8, s[26:27], 0, -1, vcc
	v_cmp_ne_u32_e32 vcc, 0, v2
	v_xor_b32_e32 v2, vcc_hi, v8
	v_lshlrev_b32_e32 v8, 30, v1
	v_xor_b32_e32 v4, vcc_lo, v4
	v_cmp_gt_i64_e32 vcc, 0, v[7:8]
	v_not_b32_e32 v8, v8
	v_ashrrev_i32_e32 v8, 31, v8
	v_and_b32_e32 v4, exec_lo, v4
	v_xor_b32_e32 v29, vcc_hi, v8
	v_xor_b32_e32 v8, vcc_lo, v8
	v_and_b32_e32 v4, v4, v8
	v_lshlrev_b32_e32 v8, 29, v1
	v_cmp_gt_i64_e32 vcc, 0, v[7:8]
	v_not_b32_e32 v8, v8
	v_and_b32_e32 v2, exec_hi, v2
	v_ashrrev_i32_e32 v8, 31, v8
	v_and_b32_e32 v2, v2, v29
	v_xor_b32_e32 v29, vcc_hi, v8
	v_xor_b32_e32 v8, vcc_lo, v8
	v_and_b32_e32 v4, v4, v8
	v_lshlrev_b32_e32 v8, 28, v1
	v_cmp_gt_i64_e32 vcc, 0, v[7:8]
	v_not_b32_e32 v8, v8
	v_ashrrev_i32_e32 v8, 31, v8
	v_and_b32_e32 v2, v2, v29
	v_xor_b32_e32 v29, vcc_hi, v8
	v_xor_b32_e32 v8, vcc_lo, v8
	v_and_b32_e32 v4, v4, v8
	v_lshlrev_b32_e32 v8, 27, v1
	v_cmp_gt_i64_e32 vcc, 0, v[7:8]
	v_not_b32_e32 v8, v8
	;; [unrolled: 8-line block ×5, first 2 shown]
	v_ashrrev_i32_e32 v1, 31, v1
	v_xor_b32_e32 v8, vcc_hi, v1
	v_xor_b32_e32 v1, vcc_lo, v1
	v_and_b32_e32 v2, v2, v29
	v_and_b32_e32 v1, v4, v1
	v_and_b32_e32 v2, v2, v8
	v_mbcnt_lo_u32_b32 v4, v1, 0
	v_mbcnt_hi_u32_b32 v29, v2, v4
	v_cmp_ne_u64_e32 vcc, 0, v[1:2]
	v_cmp_eq_u32_e64 s[26:27], 0, v29
	s_and_b64 s[28:29], vcc, s[26:27]
	v_add_u32_e32 v30, v24, v3
	; wave barrier
	s_and_saveexec_b64 s[26:27], s[28:29]
	s_cbranch_execz .LBB114_8
; %bb.7:                                ;   in Loop: Header=BB114_4 Depth=2
	v_bcnt_u32_b32 v1, v1, 0
	v_bcnt_u32_b32 v1, v2, v1
	s_waitcnt lgkmcnt(0)
	v_add_u32_e32 v1, v28, v1
	ds_write_b32 v30, v1 offset:12
.LBB114_8:                              ;   in Loop: Header=BB114_4 Depth=2
	s_or_b64 exec, exec, s[26:27]
	v_lshrrev_b64 v[1:2], v9, v[5:6]
	v_and_b32_e32 v2, 0xff, v1
	v_mul_u32_u24_e32 v3, 12, v2
	v_mad_u32_u24 v2, v2, 12, v24
	; wave barrier
	ds_read_b32 v31, v2 offset:12
	v_and_b32_e32 v2, 1, v1
	v_add_co_u32_e32 v4, vcc, -1, v2
	v_addc_co_u32_e64 v8, s[26:27], 0, -1, vcc
	v_cmp_ne_u32_e32 vcc, 0, v2
	v_xor_b32_e32 v2, vcc_hi, v8
	v_lshlrev_b32_e32 v8, 30, v1
	v_xor_b32_e32 v4, vcc_lo, v4
	v_cmp_gt_i64_e32 vcc, 0, v[7:8]
	v_not_b32_e32 v8, v8
	v_ashrrev_i32_e32 v8, 31, v8
	v_and_b32_e32 v4, exec_lo, v4
	v_xor_b32_e32 v32, vcc_hi, v8
	v_xor_b32_e32 v8, vcc_lo, v8
	v_and_b32_e32 v4, v4, v8
	v_lshlrev_b32_e32 v8, 29, v1
	v_cmp_gt_i64_e32 vcc, 0, v[7:8]
	v_not_b32_e32 v8, v8
	v_and_b32_e32 v2, exec_hi, v2
	v_ashrrev_i32_e32 v8, 31, v8
	v_and_b32_e32 v2, v2, v32
	v_xor_b32_e32 v32, vcc_hi, v8
	v_xor_b32_e32 v8, vcc_lo, v8
	v_and_b32_e32 v4, v4, v8
	v_lshlrev_b32_e32 v8, 28, v1
	v_cmp_gt_i64_e32 vcc, 0, v[7:8]
	v_not_b32_e32 v8, v8
	v_ashrrev_i32_e32 v8, 31, v8
	v_and_b32_e32 v2, v2, v32
	v_xor_b32_e32 v32, vcc_hi, v8
	v_xor_b32_e32 v8, vcc_lo, v8
	v_and_b32_e32 v4, v4, v8
	v_lshlrev_b32_e32 v8, 27, v1
	v_cmp_gt_i64_e32 vcc, 0, v[7:8]
	v_not_b32_e32 v8, v8
	v_ashrrev_i32_e32 v8, 31, v8
	v_and_b32_e32 v2, v2, v32
	v_xor_b32_e32 v32, vcc_hi, v8
	v_xor_b32_e32 v8, vcc_lo, v8
	v_and_b32_e32 v4, v4, v8
	v_lshlrev_b32_e32 v8, 26, v1
	v_cmp_gt_i64_e32 vcc, 0, v[7:8]
	v_not_b32_e32 v8, v8
	v_ashrrev_i32_e32 v8, 31, v8
	v_and_b32_e32 v2, v2, v32
	v_xor_b32_e32 v32, vcc_hi, v8
	v_xor_b32_e32 v8, vcc_lo, v8
	v_and_b32_e32 v4, v4, v8
	v_lshlrev_b32_e32 v8, 25, v1
	v_cmp_gt_i64_e32 vcc, 0, v[7:8]
	v_not_b32_e32 v8, v8
	v_ashrrev_i32_e32 v8, 31, v8
	v_and_b32_e32 v2, v2, v32
	v_xor_b32_e32 v32, vcc_hi, v8
	v_xor_b32_e32 v8, vcc_lo, v8
	v_and_b32_e32 v4, v4, v8
	v_lshlrev_b32_e32 v8, 24, v1
	v_cmp_gt_i64_e32 vcc, 0, v[7:8]
	v_not_b32_e32 v1, v8
	v_ashrrev_i32_e32 v1, 31, v1
	v_xor_b32_e32 v8, vcc_hi, v1
	v_xor_b32_e32 v1, vcc_lo, v1
	v_and_b32_e32 v2, v2, v32
	v_and_b32_e32 v1, v4, v1
	;; [unrolled: 1-line block ×3, first 2 shown]
	v_mbcnt_lo_u32_b32 v4, v1, 0
	v_mbcnt_hi_u32_b32 v8, v2, v4
	v_cmp_ne_u64_e32 vcc, 0, v[1:2]
	v_cmp_eq_u32_e64 s[26:27], 0, v8
	s_and_b64 s[28:29], vcc, s[26:27]
	v_add_u32_e32 v32, v24, v3
	; wave barrier
	s_and_saveexec_b64 s[26:27], s[28:29]
	s_cbranch_execz .LBB114_10
; %bb.9:                                ;   in Loop: Header=BB114_4 Depth=2
	v_bcnt_u32_b32 v1, v1, 0
	v_bcnt_u32_b32 v1, v2, v1
	s_waitcnt lgkmcnt(0)
	v_add_u32_e32 v1, v31, v1
	ds_write_b32 v32, v1 offset:12
.LBB114_10:                             ;   in Loop: Header=BB114_4 Depth=2
	s_or_b64 exec, exec, s[26:27]
	; wave barrier
	s_waitcnt lgkmcnt(0)
	s_barrier
	ds_read2_b32 v[3:4], v19 offset0:3 offset1:4
	ds_read2_b32 v[1:2], v19 offset0:5 offset1:6
	s_waitcnt lgkmcnt(1)
	v_add_u32_e32 v33, v4, v3
	s_waitcnt lgkmcnt(0)
	v_add3_u32 v2, v33, v1, v2
	s_nop 1
	v_mov_b32_dpp v33, v2 row_shr:1 row_mask:0xf bank_mask:0xf
	v_cndmask_b32_e64 v33, v33, 0, s[0:1]
	v_add_u32_e32 v2, v33, v2
	s_nop 1
	v_mov_b32_dpp v33, v2 row_shr:2 row_mask:0xf bank_mask:0xf
	v_cndmask_b32_e64 v33, 0, v33, s[2:3]
	v_add_u32_e32 v2, v2, v33
	s_nop 1
	v_mov_b32_dpp v33, v2 row_shr:4 row_mask:0xf bank_mask:0xf
	v_cndmask_b32_e64 v33, 0, v33, s[4:5]
	v_add_u32_e32 v2, v2, v33
	s_nop 1
	v_mov_b32_dpp v33, v2 row_shr:8 row_mask:0xf bank_mask:0xf
	v_cndmask_b32_e64 v33, 0, v33, s[6:7]
	v_add_u32_e32 v2, v2, v33
	s_nop 1
	v_mov_b32_dpp v33, v2 row_bcast:15 row_mask:0xf bank_mask:0xf
	v_cndmask_b32_e64 v33, v33, 0, s[8:9]
	v_add_u32_e32 v2, v2, v33
	s_nop 1
	v_mov_b32_dpp v33, v2 row_bcast:31 row_mask:0xf bank_mask:0xf
	v_cndmask_b32_e64 v33, 0, v33, s[14:15]
	v_add_u32_e32 v2, v2, v33
	s_and_saveexec_b64 s[26:27], s[10:11]
; %bb.11:                               ;   in Loop: Header=BB114_4 Depth=2
	ds_write_b32 v21, v2
; %bb.12:                               ;   in Loop: Header=BB114_4 Depth=2
	s_or_b64 exec, exec, s[26:27]
	s_waitcnt lgkmcnt(0)
	s_barrier
	s_and_saveexec_b64 s[26:27], s[16:17]
	s_cbranch_execz .LBB114_14
; %bb.13:                               ;   in Loop: Header=BB114_4 Depth=2
	ds_read_b32 v33, v22
	s_waitcnt lgkmcnt(0)
	s_nop 0
	v_mov_b32_dpp v34, v33 row_shr:1 row_mask:0xf bank_mask:0xf
	v_cndmask_b32_e64 v34, v34, 0, s[22:23]
	v_add_u32_e32 v33, v34, v33
	s_nop 1
	v_mov_b32_dpp v34, v33 row_shr:2 row_mask:0xf bank_mask:0xf
	v_cndmask_b32_e64 v34, 0, v34, s[24:25]
	v_add_u32_e32 v33, v33, v34
	ds_write_b32 v22, v33
.LBB114_14:                             ;   in Loop: Header=BB114_4 Depth=2
	s_or_b64 exec, exec, s[26:27]
	v_mov_b32_e32 v33, 0
	s_waitcnt lgkmcnt(0)
	s_barrier
	s_and_saveexec_b64 s[26:27], s[18:19]
; %bb.15:                               ;   in Loop: Header=BB114_4 Depth=2
	ds_read_b32 v33, v23
; %bb.16:                               ;   in Loop: Header=BB114_4 Depth=2
	s_or_b64 exec, exec, s[26:27]
	s_waitcnt lgkmcnt(0)
	v_add_u32_e32 v2, v33, v2
	ds_bpermute_b32 v2, v20, v2
	v_cmp_lt_u32_e32 vcc, 55, v9
	s_and_b64 vcc, exec, vcc
	s_mov_b64 s[26:27], -1
	s_waitcnt lgkmcnt(0)
	v_cndmask_b32_e64 v2, v2, v33, s[12:13]
	v_cndmask_b32_e64 v2, v2, 0, s[20:21]
	v_add_u32_e32 v3, v2, v3
	v_add_u32_e32 v4, v3, v4
	;; [unrolled: 1-line block ×3, first 2 shown]
	ds_write2_b32 v19, v2, v3 offset0:3 offset1:4
	ds_write2_b32 v19, v4, v1 offset0:5 offset1:6
	s_waitcnt lgkmcnt(0)
	s_barrier
	ds_read_b32 v1, v16 offset:12
	ds_read_b32 v2, v30 offset:12
	;; [unrolled: 1-line block ×3, first 2 shown]
	s_waitcnt lgkmcnt(2)
	v_add_u32_e32 v30, v1, v15
	s_waitcnt lgkmcnt(1)
	v_add3_u32 v28, v29, v28, v2
	s_waitcnt lgkmcnt(0)
	v_add3_u32 v8, v8, v31, v3
                                        ; implicit-def: $vgpr15_vgpr16
                                        ; implicit-def: $vgpr3_vgpr4
	s_cbranch_vccnz .LBB114_3
; %bb.17:                               ;   in Loop: Header=BB114_4 Depth=2
	v_lshlrev_b32_e32 v1, 3, v30
	s_barrier
	ds_write_b64 v1, v[13:14]
	v_lshlrev_b32_e32 v1, 3, v28
	ds_write_b64 v1, v[11:12]
	v_lshlrev_b32_e32 v1, 3, v8
	ds_write_b64 v1, v[5:6]
	s_waitcnt lgkmcnt(0)
	s_barrier
	ds_read2st64_b64 v[1:4], v25 offset1:1
	ds_read_b64 v[15:16], v25 offset:1024
	v_add_co_u32_e32 v9, vcc, 8, v9
	v_addc_co_u32_e32 v10, vcc, 0, v10, vcc
	s_mov_b64 s[26:27], 0
	s_waitcnt lgkmcnt(0)
	s_barrier
	s_branch .LBB114_3
.LBB114_18:
	s_add_u32 s0, s30, s36
	s_addc_u32 s1, s31, s37
	v_lshlrev_b32_e32 v0, 3, v0
	global_store_dwordx2 v0, v[3:4], s[0:1]
	global_store_dwordx2 v0, v[5:6], s[0:1] offset:1536
	global_store_dwordx2 v0, v[8:9], s[0:1] offset:3072
	s_endpgm
	.section	.rodata,"a",@progbits
	.p2align	6, 0x0
	.amdhsa_kernel _Z16sort_keys_kernelI22helper_blocked_blockedxLj192ELj3ELj10EEvPKT0_PS1_
		.amdhsa_group_segment_fixed_size 4608
		.amdhsa_private_segment_fixed_size 0
		.amdhsa_kernarg_size 272
		.amdhsa_user_sgpr_count 6
		.amdhsa_user_sgpr_private_segment_buffer 1
		.amdhsa_user_sgpr_dispatch_ptr 0
		.amdhsa_user_sgpr_queue_ptr 0
		.amdhsa_user_sgpr_kernarg_segment_ptr 1
		.amdhsa_user_sgpr_dispatch_id 0
		.amdhsa_user_sgpr_flat_scratch_init 0
		.amdhsa_user_sgpr_private_segment_size 0
		.amdhsa_uses_dynamic_stack 0
		.amdhsa_system_sgpr_private_segment_wavefront_offset 0
		.amdhsa_system_sgpr_workgroup_id_x 1
		.amdhsa_system_sgpr_workgroup_id_y 0
		.amdhsa_system_sgpr_workgroup_id_z 0
		.amdhsa_system_sgpr_workgroup_info 0
		.amdhsa_system_vgpr_workitem_id 2
		.amdhsa_next_free_vgpr 35
		.amdhsa_next_free_sgpr 38
		.amdhsa_reserve_vcc 1
		.amdhsa_reserve_flat_scratch 0
		.amdhsa_float_round_mode_32 0
		.amdhsa_float_round_mode_16_64 0
		.amdhsa_float_denorm_mode_32 3
		.amdhsa_float_denorm_mode_16_64 3
		.amdhsa_dx10_clamp 1
		.amdhsa_ieee_mode 1
		.amdhsa_fp16_overflow 0
		.amdhsa_exception_fp_ieee_invalid_op 0
		.amdhsa_exception_fp_denorm_src 0
		.amdhsa_exception_fp_ieee_div_zero 0
		.amdhsa_exception_fp_ieee_overflow 0
		.amdhsa_exception_fp_ieee_underflow 0
		.amdhsa_exception_fp_ieee_inexact 0
		.amdhsa_exception_int_div_zero 0
	.end_amdhsa_kernel
	.section	.text._Z16sort_keys_kernelI22helper_blocked_blockedxLj192ELj3ELj10EEvPKT0_PS1_,"axG",@progbits,_Z16sort_keys_kernelI22helper_blocked_blockedxLj192ELj3ELj10EEvPKT0_PS1_,comdat
.Lfunc_end114:
	.size	_Z16sort_keys_kernelI22helper_blocked_blockedxLj192ELj3ELj10EEvPKT0_PS1_, .Lfunc_end114-_Z16sort_keys_kernelI22helper_blocked_blockedxLj192ELj3ELj10EEvPKT0_PS1_
                                        ; -- End function
	.set _Z16sort_keys_kernelI22helper_blocked_blockedxLj192ELj3ELj10EEvPKT0_PS1_.num_vgpr, 35
	.set _Z16sort_keys_kernelI22helper_blocked_blockedxLj192ELj3ELj10EEvPKT0_PS1_.num_agpr, 0
	.set _Z16sort_keys_kernelI22helper_blocked_blockedxLj192ELj3ELj10EEvPKT0_PS1_.numbered_sgpr, 38
	.set _Z16sort_keys_kernelI22helper_blocked_blockedxLj192ELj3ELj10EEvPKT0_PS1_.num_named_barrier, 0
	.set _Z16sort_keys_kernelI22helper_blocked_blockedxLj192ELj3ELj10EEvPKT0_PS1_.private_seg_size, 0
	.set _Z16sort_keys_kernelI22helper_blocked_blockedxLj192ELj3ELj10EEvPKT0_PS1_.uses_vcc, 1
	.set _Z16sort_keys_kernelI22helper_blocked_blockedxLj192ELj3ELj10EEvPKT0_PS1_.uses_flat_scratch, 0
	.set _Z16sort_keys_kernelI22helper_blocked_blockedxLj192ELj3ELj10EEvPKT0_PS1_.has_dyn_sized_stack, 0
	.set _Z16sort_keys_kernelI22helper_blocked_blockedxLj192ELj3ELj10EEvPKT0_PS1_.has_recursion, 0
	.set _Z16sort_keys_kernelI22helper_blocked_blockedxLj192ELj3ELj10EEvPKT0_PS1_.has_indirect_call, 0
	.section	.AMDGPU.csdata,"",@progbits
; Kernel info:
; codeLenInByte = 2304
; TotalNumSgprs: 42
; NumVgprs: 35
; ScratchSize: 0
; MemoryBound: 0
; FloatMode: 240
; IeeeMode: 1
; LDSByteSize: 4608 bytes/workgroup (compile time only)
; SGPRBlocks: 5
; VGPRBlocks: 8
; NumSGPRsForWavesPerEU: 42
; NumVGPRsForWavesPerEU: 35
; Occupancy: 7
; WaveLimiterHint : 1
; COMPUTE_PGM_RSRC2:SCRATCH_EN: 0
; COMPUTE_PGM_RSRC2:USER_SGPR: 6
; COMPUTE_PGM_RSRC2:TRAP_HANDLER: 0
; COMPUTE_PGM_RSRC2:TGID_X_EN: 1
; COMPUTE_PGM_RSRC2:TGID_Y_EN: 0
; COMPUTE_PGM_RSRC2:TGID_Z_EN: 0
; COMPUTE_PGM_RSRC2:TIDIG_COMP_CNT: 2
	.section	.text._Z17sort_pairs_kernelI22helper_blocked_blockedxLj192ELj3ELj10EEvPKT0_PS1_,"axG",@progbits,_Z17sort_pairs_kernelI22helper_blocked_blockedxLj192ELj3ELj10EEvPKT0_PS1_,comdat
	.protected	_Z17sort_pairs_kernelI22helper_blocked_blockedxLj192ELj3ELj10EEvPKT0_PS1_ ; -- Begin function _Z17sort_pairs_kernelI22helper_blocked_blockedxLj192ELj3ELj10EEvPKT0_PS1_
	.globl	_Z17sort_pairs_kernelI22helper_blocked_blockedxLj192ELj3ELj10EEvPKT0_PS1_
	.p2align	8
	.type	_Z17sort_pairs_kernelI22helper_blocked_blockedxLj192ELj3ELj10EEvPKT0_PS1_,@function
_Z17sort_pairs_kernelI22helper_blocked_blockedxLj192ELj3ELj10EEvPKT0_PS1_: ; @_Z17sort_pairs_kernelI22helper_blocked_blockedxLj192ELj3ELj10EEvPKT0_PS1_
; %bb.0:
	s_load_dwordx4 s[28:31], s[4:5], 0x0
	s_load_dword s24, s[4:5], 0x1c
	s_mul_i32 s36, s6, 0x240
	s_mov_b32 s37, 0
	s_lshl_b64 s[34:35], s[36:37], 3
	s_waitcnt lgkmcnt(0)
	s_add_u32 s0, s28, s34
	s_addc_u32 s1, s29, s35
	v_lshlrev_b32_e32 v7, 3, v0
	global_load_dwordx2 v[3:4], v7, s[0:1]
	global_load_dwordx2 v[5:6], v7, s[0:1] offset:1536
	global_load_dwordx2 v[12:13], v7, s[0:1] offset:3072
	v_mbcnt_lo_u32_b32 v7, -1, 0
	v_mbcnt_hi_u32_b32 v7, -1, v7
	v_lshrrev_b32_e32 v8, 6, v0
	v_mul_u32_u24_e32 v11, 0xc0, v8
	v_subrev_co_u32_e64 v18, s[8:9], 1, v7
	v_and_b32_e32 v19, 64, v7
	v_lshlrev_b32_e32 v31, 2, v8
	v_and_b32_e32 v8, 3, v7
	s_lshr_b32 s25, s24, 16
	v_and_b32_e32 v15, 15, v7
	v_cmp_eq_u32_e64 s[20:21], 0, v8
	v_cmp_lt_u32_e64 s[22:23], 1, v8
	v_lshlrev_b32_e32 v8, 3, v11
	v_cmp_lt_i32_e32 vcc, v18, v19
	s_and_b32 s24, s24, 0xffff
	v_mad_u32_u24 v1, v2, s25, v1
	v_and_b32_e32 v9, 0xc0, v0
	v_lshlrev_b32_e32 v14, 3, v7
	v_and_b32_e32 v16, 16, v7
	v_cmp_lt_u32_e64 s[6:7], 31, v7
	v_cmp_eq_u32_e64 s[10:11], 0, v15
	v_cmp_lt_u32_e64 s[12:13], 1, v15
	v_cmp_lt_u32_e64 s[14:15], 3, v15
	;; [unrolled: 1-line block ×3, first 2 shown]
	v_cndmask_b32_e32 v15, v18, v7, vcc
	v_mad_u32_u24 v36, v7, 24, v8
	v_mad_u64_u32 v[1:2], s[24:25], v1, s24, v[0:1]
	v_lshlrev_b32_e32 v30, 4, v0
	v_min_u32_e32 v17, 0x80, v9
	v_mul_u32_u24_e32 v9, 24, v9
	v_add_u32_e32 v37, v14, v8
	v_mul_u32_u24_e32 v10, 20, v0
	v_mad_i32_i24 v32, v0, -12, v30
	v_add_u32_e32 v33, v14, v9
	v_add_u32_e32 v34, v32, v10
	v_or_b32_e32 v11, 63, v17
	v_lshrrev_b32_e32 v1, 4, v1
	v_mov_b32_e32 v29, 12
	v_cmp_gt_u32_e64 s[0:1], 3, v0
	v_cmp_lt_u32_e64 s[2:3], 63, v0
	v_cmp_eq_u32_e64 s[4:5], 0, v0
	v_cmp_eq_u32_e64 s[18:19], 0, v16
	v_add_u32_e32 v35, -4, v31
	v_cmp_eq_u32_e64 s[24:25], v0, v11
	v_lshlrev_b32_e32 v38, 2, v15
	v_and_b32_e32 v39, 0xffffffc, v1
	v_mov_b32_e32 v11, 0
	s_waitcnt vmcnt(2)
	v_add_co_u32_e32 v7, vcc, 1, v3
	v_addc_co_u32_e32 v8, vcc, 0, v4, vcc
	s_waitcnt vmcnt(1)
	v_add_co_u32_e32 v9, vcc, 1, v5
	v_addc_co_u32_e32 v10, vcc, 0, v6, vcc
	;; [unrolled: 3-line block ×3, first 2 shown]
	s_branch .LBB115_2
.LBB115_1:                              ;   in Loop: Header=BB115_2 Depth=1
	v_lshlrev_b32_e32 v1, 3, v41
	v_lshlrev_b32_e32 v2, 3, v40
	;; [unrolled: 1-line block ×3, first 2 shown]
	s_barrier
	ds_write_b64 v1, v[19:20]
	ds_write_b64 v2, v[15:16]
	;; [unrolled: 1-line block ×3, first 2 shown]
	s_waitcnt lgkmcnt(0)
	s_barrier
	ds_read2_b64 v[3:6], v34 offset1:1
	ds_read_b64 v[12:13], v34 offset:16
	s_waitcnt lgkmcnt(0)
	s_barrier
	ds_write_b64 v1, v[17:18]
	ds_write_b64 v2, v[9:10]
	;; [unrolled: 1-line block ×3, first 2 shown]
	s_waitcnt lgkmcnt(0)
	s_barrier
	ds_read2_b64 v[7:10], v34 offset1:1
	ds_read_b64 v[14:15], v34 offset:16
	s_add_i32 s37, s37, 1
	v_xor_b32_e32 v4, 0x80000000, v4
	v_xor_b32_e32 v6, 0x80000000, v6
	s_cmp_eq_u32 s37, 10
	v_xor_b32_e32 v13, 0x80000000, v13
	s_cbranch_scc1 .LBB115_18
.LBB115_2:                              ; =>This Loop Header: Depth=1
                                        ;     Child Loop BB115_4 Depth 2
	v_xor_b32_e32 v4, 0x80000000, v4
	v_xor_b32_e32 v6, 0x80000000, v6
	;; [unrolled: 1-line block ×3, first 2 shown]
	ds_write2_b64 v36, v[3:4], v[5:6] offset1:1
	ds_write_b64 v36, v[12:13] offset:16
	; wave barrier
	ds_read2st64_b64 v[1:4], v37 offset1:1
	ds_read_b64 v[25:26], v37 offset:1024
	; wave barrier
	s_waitcnt lgkmcnt(5)
	ds_write2_b64 v36, v[7:8], v[9:10] offset1:1
	s_waitcnt lgkmcnt(5)
	ds_write_b64 v36, v[14:15] offset:16
	; wave barrier
	ds_read2st64_b64 v[5:8], v37 offset1:1
	ds_read_b64 v[27:28], v37 offset:1024
	v_mov_b32_e32 v13, 0
	v_mov_b32_e32 v14, 0
	s_waitcnt lgkmcnt(0)
	s_barrier
	s_branch .LBB115_4
.LBB115_3:                              ;   in Loop: Header=BB115_4 Depth=2
	s_andn2_b64 vcc, exec, s[26:27]
	s_cbranch_vccz .LBB115_1
.LBB115_4:                              ;   Parent Loop BB115_2 Depth=1
                                        ; =>  This Inner Loop Header: Depth=2
	v_mov_b32_e32 v20, v2
	v_mov_b32_e32 v19, v1
	v_lshrrev_b64 v[1:2], v13, v[19:20]
	v_mov_b32_e32 v16, v4
	v_and_b32_e32 v2, 1, v1
	v_mov_b32_e32 v15, v3
	v_add_co_u32_e32 v3, vcc, -1, v2
	v_addc_co_u32_e64 v4, s[26:27], 0, -1, vcc
	v_cmp_ne_u32_e32 vcc, 0, v2
	v_lshlrev_b32_e32 v12, 30, v1
	v_xor_b32_e32 v2, vcc_hi, v4
	v_cmp_gt_i64_e64 s[26:27], 0, v[11:12]
	v_not_b32_e32 v4, v12
	v_mov_b32_e32 v18, v6
	v_ashrrev_i32_e32 v4, 31, v4
	v_xor_b32_e32 v3, vcc_lo, v3
	v_mov_b32_e32 v17, v5
	v_xor_b32_e32 v5, s27, v4
	v_and_b32_e32 v3, exec_lo, v3
	v_xor_b32_e32 v4, s26, v4
	v_lshlrev_b32_e32 v12, 29, v1
	v_and_b32_e32 v3, v3, v4
	v_cmp_gt_i64_e32 vcc, 0, v[11:12]
	v_not_b32_e32 v4, v12
	v_and_b32_e32 v2, exec_hi, v2
	v_ashrrev_i32_e32 v4, 31, v4
	v_and_b32_e32 v2, v2, v5
	v_xor_b32_e32 v5, vcc_hi, v4
	v_xor_b32_e32 v4, vcc_lo, v4
	v_lshlrev_b32_e32 v12, 28, v1
	v_and_b32_e32 v3, v3, v4
	v_cmp_gt_i64_e32 vcc, 0, v[11:12]
	v_not_b32_e32 v4, v12
	v_ashrrev_i32_e32 v4, 31, v4
	v_and_b32_e32 v2, v2, v5
	v_xor_b32_e32 v5, vcc_hi, v4
	v_xor_b32_e32 v4, vcc_lo, v4
	v_lshlrev_b32_e32 v12, 27, v1
	v_and_b32_e32 v3, v3, v4
	v_cmp_gt_i64_e32 vcc, 0, v[11:12]
	v_not_b32_e32 v4, v12
	;; [unrolled: 8-line block ×4, first 2 shown]
	v_ashrrev_i32_e32 v4, 31, v4
	v_and_b32_e32 v2, v2, v5
	v_xor_b32_e32 v5, vcc_hi, v4
	v_xor_b32_e32 v4, vcc_lo, v4
	v_lshlrev_b32_e32 v12, 24, v1
	v_and_b32_e32 v3, v3, v4
	v_mul_u32_u24_sdwa v4, v1, v29 dst_sel:DWORD dst_unused:UNUSED_PAD src0_sel:BYTE_0 src1_sel:DWORD
	v_cmp_gt_i64_e32 vcc, 0, v[11:12]
	v_not_b32_e32 v1, v12
	v_ashrrev_i32_e32 v1, 31, v1
	v_and_b32_e32 v2, v2, v5
	v_xor_b32_e32 v5, vcc_hi, v1
	v_xor_b32_e32 v1, vcc_lo, v1
	v_and_b32_e32 v1, v3, v1
	v_and_b32_e32 v2, v2, v5
	v_mbcnt_lo_u32_b32 v3, v1, 0
	v_mbcnt_hi_u32_b32 v5, v2, v3
	v_cmp_ne_u64_e32 vcc, 0, v[1:2]
	v_mov_b32_e32 v10, v8
	v_mov_b32_e32 v23, v25
	;; [unrolled: 1-line block ×3, first 2 shown]
	v_cmp_eq_u32_e64 s[26:27], 0, v5
	v_mov_b32_e32 v9, v7
	v_mov_b32_e32 v24, v26
	;; [unrolled: 1-line block ×3, first 2 shown]
	s_and_b64 s[28:29], vcc, s[26:27]
	v_add_u32_e32 v6, v39, v4
	ds_write2_b32 v30, v11, v11 offset0:3 offset1:4
	ds_write2_b32 v30, v11, v11 offset0:5 offset1:6
	s_waitcnt lgkmcnt(0)
	s_barrier
	; wave barrier
	s_and_saveexec_b64 s[26:27], s[28:29]
; %bb.5:                                ;   in Loop: Header=BB115_4 Depth=2
	v_bcnt_u32_b32 v1, v1, 0
	v_bcnt_u32_b32 v1, v2, v1
	ds_write_b32 v6, v1 offset:12
; %bb.6:                                ;   in Loop: Header=BB115_4 Depth=2
	s_or_b64 exec, exec, s[26:27]
	v_lshrrev_b64 v[1:2], v13, v[15:16]
	v_and_b32_e32 v2, 0xff, v1
	v_mul_u32_u24_e32 v3, 12, v2
	v_mad_u32_u24 v2, v2, 12, v39
	; wave barrier
	ds_read_b32 v7, v2 offset:12
	v_and_b32_e32 v2, 1, v1
	v_add_co_u32_e32 v4, vcc, -1, v2
	v_addc_co_u32_e64 v8, s[26:27], 0, -1, vcc
	v_cmp_ne_u32_e32 vcc, 0, v2
	v_lshlrev_b32_e32 v12, 30, v1
	v_xor_b32_e32 v2, vcc_hi, v8
	v_xor_b32_e32 v4, vcc_lo, v4
	v_cmp_gt_i64_e32 vcc, 0, v[11:12]
	v_not_b32_e32 v8, v12
	v_ashrrev_i32_e32 v8, 31, v8
	v_and_b32_e32 v2, exec_hi, v2
	v_xor_b32_e32 v12, vcc_hi, v8
	v_and_b32_e32 v4, exec_lo, v4
	v_xor_b32_e32 v8, vcc_lo, v8
	v_and_b32_e32 v2, v2, v12
	v_lshlrev_b32_e32 v12, 29, v1
	v_and_b32_e32 v4, v4, v8
	v_cmp_gt_i64_e32 vcc, 0, v[11:12]
	v_not_b32_e32 v8, v12
	v_ashrrev_i32_e32 v8, 31, v8
	v_xor_b32_e32 v12, vcc_hi, v8
	v_xor_b32_e32 v8, vcc_lo, v8
	v_and_b32_e32 v2, v2, v12
	v_lshlrev_b32_e32 v12, 28, v1
	v_and_b32_e32 v4, v4, v8
	v_cmp_gt_i64_e32 vcc, 0, v[11:12]
	v_not_b32_e32 v8, v12
	v_ashrrev_i32_e32 v8, 31, v8
	v_xor_b32_e32 v12, vcc_hi, v8
	;; [unrolled: 8-line block ×5, first 2 shown]
	v_and_b32_e32 v2, v2, v12
	v_lshlrev_b32_e32 v12, 24, v1
	v_xor_b32_e32 v8, vcc_lo, v8
	v_cmp_gt_i64_e32 vcc, 0, v[11:12]
	v_not_b32_e32 v1, v12
	v_ashrrev_i32_e32 v1, 31, v1
	v_and_b32_e32 v4, v4, v8
	v_xor_b32_e32 v8, vcc_hi, v1
	v_xor_b32_e32 v1, vcc_lo, v1
	v_and_b32_e32 v1, v4, v1
	v_and_b32_e32 v2, v2, v8
	v_mbcnt_lo_u32_b32 v4, v1, 0
	v_mbcnt_hi_u32_b32 v8, v2, v4
	v_cmp_ne_u64_e32 vcc, 0, v[1:2]
	v_cmp_eq_u32_e64 s[26:27], 0, v8
	s_and_b64 s[28:29], vcc, s[26:27]
	v_add_u32_e32 v25, v39, v3
	; wave barrier
	s_and_saveexec_b64 s[26:27], s[28:29]
	s_cbranch_execz .LBB115_8
; %bb.7:                                ;   in Loop: Header=BB115_4 Depth=2
	v_bcnt_u32_b32 v1, v1, 0
	v_bcnt_u32_b32 v1, v2, v1
	s_waitcnt lgkmcnt(0)
	v_add_u32_e32 v1, v7, v1
	ds_write_b32 v25, v1 offset:12
.LBB115_8:                              ;   in Loop: Header=BB115_4 Depth=2
	s_or_b64 exec, exec, s[26:27]
	v_lshrrev_b64 v[1:2], v13, v[23:24]
	v_and_b32_e32 v2, 0xff, v1
	v_mul_u32_u24_e32 v3, 12, v2
	v_mad_u32_u24 v2, v2, 12, v39
	; wave barrier
	ds_read_b32 v26, v2 offset:12
	v_and_b32_e32 v2, 1, v1
	v_add_co_u32_e32 v4, vcc, -1, v2
	v_addc_co_u32_e64 v12, s[26:27], 0, -1, vcc
	v_cmp_ne_u32_e32 vcc, 0, v2
	v_xor_b32_e32 v2, vcc_hi, v12
	v_lshlrev_b32_e32 v12, 30, v1
	v_xor_b32_e32 v4, vcc_lo, v4
	v_cmp_gt_i64_e32 vcc, 0, v[11:12]
	v_not_b32_e32 v12, v12
	v_ashrrev_i32_e32 v12, 31, v12
	v_and_b32_e32 v4, exec_lo, v4
	v_xor_b32_e32 v27, vcc_hi, v12
	v_xor_b32_e32 v12, vcc_lo, v12
	v_and_b32_e32 v4, v4, v12
	v_lshlrev_b32_e32 v12, 29, v1
	v_cmp_gt_i64_e32 vcc, 0, v[11:12]
	v_not_b32_e32 v12, v12
	v_and_b32_e32 v2, exec_hi, v2
	v_ashrrev_i32_e32 v12, 31, v12
	v_and_b32_e32 v2, v2, v27
	v_xor_b32_e32 v27, vcc_hi, v12
	v_xor_b32_e32 v12, vcc_lo, v12
	v_and_b32_e32 v4, v4, v12
	v_lshlrev_b32_e32 v12, 28, v1
	v_cmp_gt_i64_e32 vcc, 0, v[11:12]
	v_not_b32_e32 v12, v12
	v_ashrrev_i32_e32 v12, 31, v12
	v_and_b32_e32 v2, v2, v27
	v_xor_b32_e32 v27, vcc_hi, v12
	v_xor_b32_e32 v12, vcc_lo, v12
	v_and_b32_e32 v4, v4, v12
	v_lshlrev_b32_e32 v12, 27, v1
	v_cmp_gt_i64_e32 vcc, 0, v[11:12]
	v_not_b32_e32 v12, v12
	;; [unrolled: 8-line block ×5, first 2 shown]
	v_ashrrev_i32_e32 v1, 31, v1
	v_xor_b32_e32 v12, vcc_hi, v1
	v_xor_b32_e32 v1, vcc_lo, v1
	v_and_b32_e32 v2, v2, v27
	v_and_b32_e32 v1, v4, v1
	;; [unrolled: 1-line block ×3, first 2 shown]
	v_mbcnt_lo_u32_b32 v4, v1, 0
	v_mbcnt_hi_u32_b32 v12, v2, v4
	v_cmp_ne_u64_e32 vcc, 0, v[1:2]
	v_cmp_eq_u32_e64 s[26:27], 0, v12
	s_and_b64 s[28:29], vcc, s[26:27]
	v_add_u32_e32 v27, v39, v3
	; wave barrier
	s_and_saveexec_b64 s[26:27], s[28:29]
	s_cbranch_execz .LBB115_10
; %bb.9:                                ;   in Loop: Header=BB115_4 Depth=2
	v_bcnt_u32_b32 v1, v1, 0
	v_bcnt_u32_b32 v1, v2, v1
	s_waitcnt lgkmcnt(0)
	v_add_u32_e32 v1, v26, v1
	ds_write_b32 v27, v1 offset:12
.LBB115_10:                             ;   in Loop: Header=BB115_4 Depth=2
	s_or_b64 exec, exec, s[26:27]
	; wave barrier
	s_waitcnt lgkmcnt(0)
	s_barrier
	ds_read2_b32 v[3:4], v30 offset0:3 offset1:4
	ds_read2_b32 v[1:2], v30 offset0:5 offset1:6
	s_waitcnt lgkmcnt(1)
	v_add_u32_e32 v28, v4, v3
	s_waitcnt lgkmcnt(0)
	v_add3_u32 v2, v28, v1, v2
	s_nop 1
	v_mov_b32_dpp v28, v2 row_shr:1 row_mask:0xf bank_mask:0xf
	v_cndmask_b32_e64 v28, v28, 0, s[10:11]
	v_add_u32_e32 v2, v28, v2
	s_nop 1
	v_mov_b32_dpp v28, v2 row_shr:2 row_mask:0xf bank_mask:0xf
	v_cndmask_b32_e64 v28, 0, v28, s[12:13]
	v_add_u32_e32 v2, v2, v28
	;; [unrolled: 4-line block ×4, first 2 shown]
	s_nop 1
	v_mov_b32_dpp v28, v2 row_bcast:15 row_mask:0xf bank_mask:0xf
	v_cndmask_b32_e64 v28, v28, 0, s[18:19]
	v_add_u32_e32 v2, v2, v28
	s_nop 1
	v_mov_b32_dpp v28, v2 row_bcast:31 row_mask:0xf bank_mask:0xf
	v_cndmask_b32_e64 v28, 0, v28, s[6:7]
	v_add_u32_e32 v2, v2, v28
	s_and_saveexec_b64 s[26:27], s[24:25]
; %bb.11:                               ;   in Loop: Header=BB115_4 Depth=2
	ds_write_b32 v31, v2
; %bb.12:                               ;   in Loop: Header=BB115_4 Depth=2
	s_or_b64 exec, exec, s[26:27]
	s_waitcnt lgkmcnt(0)
	s_barrier
	s_and_saveexec_b64 s[26:27], s[0:1]
	s_cbranch_execz .LBB115_14
; %bb.13:                               ;   in Loop: Header=BB115_4 Depth=2
	ds_read_b32 v28, v32
	s_waitcnt lgkmcnt(0)
	s_nop 0
	v_mov_b32_dpp v40, v28 row_shr:1 row_mask:0xf bank_mask:0xf
	v_cndmask_b32_e64 v40, v40, 0, s[20:21]
	v_add_u32_e32 v28, v40, v28
	s_nop 1
	v_mov_b32_dpp v40, v28 row_shr:2 row_mask:0xf bank_mask:0xf
	v_cndmask_b32_e64 v40, 0, v40, s[22:23]
	v_add_u32_e32 v28, v28, v40
	ds_write_b32 v32, v28
.LBB115_14:                             ;   in Loop: Header=BB115_4 Depth=2
	s_or_b64 exec, exec, s[26:27]
	v_mov_b32_e32 v28, 0
	s_waitcnt lgkmcnt(0)
	s_barrier
	s_and_saveexec_b64 s[26:27], s[2:3]
; %bb.15:                               ;   in Loop: Header=BB115_4 Depth=2
	ds_read_b32 v28, v35
; %bb.16:                               ;   in Loop: Header=BB115_4 Depth=2
	s_or_b64 exec, exec, s[26:27]
	s_waitcnt lgkmcnt(0)
	v_add_u32_e32 v2, v28, v2
	ds_bpermute_b32 v2, v38, v2
	v_cmp_lt_u32_e32 vcc, 55, v13
	s_and_b64 vcc, exec, vcc
	s_mov_b64 s[26:27], -1
	s_waitcnt lgkmcnt(0)
	v_cndmask_b32_e64 v2, v2, v28, s[8:9]
	v_cndmask_b32_e64 v2, v2, 0, s[4:5]
	v_add_u32_e32 v3, v2, v3
	v_add_u32_e32 v4, v3, v4
	;; [unrolled: 1-line block ×3, first 2 shown]
	ds_write2_b32 v30, v2, v3 offset0:3 offset1:4
	ds_write2_b32 v30, v4, v1 offset0:5 offset1:6
	s_waitcnt lgkmcnt(0)
	s_barrier
	ds_read_b32 v1, v6 offset:12
	ds_read_b32 v2, v25 offset:12
	ds_read_b32 v3, v27 offset:12
                                        ; implicit-def: $vgpr27_vgpr28
	s_waitcnt lgkmcnt(2)
	v_add_u32_e32 v41, v1, v5
	s_waitcnt lgkmcnt(1)
	v_add3_u32 v40, v8, v7, v2
	s_waitcnt lgkmcnt(0)
	v_add3_u32 v12, v12, v26, v3
                                        ; implicit-def: $vgpr25_vgpr26
                                        ; implicit-def: $vgpr3_vgpr4
                                        ; implicit-def: $vgpr7_vgpr8
	s_cbranch_vccnz .LBB115_3
; %bb.17:                               ;   in Loop: Header=BB115_4 Depth=2
	v_lshlrev_b32_e32 v5, 3, v41
	v_lshlrev_b32_e32 v6, 3, v40
	;; [unrolled: 1-line block ×3, first 2 shown]
	s_barrier
	ds_write_b64 v5, v[19:20]
	ds_write_b64 v6, v[15:16]
	;; [unrolled: 1-line block ×3, first 2 shown]
	s_waitcnt lgkmcnt(0)
	s_barrier
	ds_read2st64_b64 v[1:4], v33 offset1:1
	ds_read_b64 v[25:26], v33 offset:1024
	s_waitcnt lgkmcnt(0)
	s_barrier
	ds_write_b64 v5, v[17:18]
	ds_write_b64 v6, v[9:10]
	;; [unrolled: 1-line block ×3, first 2 shown]
	s_waitcnt lgkmcnt(0)
	s_barrier
	ds_read2st64_b64 v[5:8], v33 offset1:1
	ds_read_b64 v[27:28], v33 offset:1024
	v_add_co_u32_e32 v13, vcc, 8, v13
	v_addc_co_u32_e32 v14, vcc, 0, v14, vcc
	s_mov_b64 s[26:27], 0
	s_waitcnt lgkmcnt(0)
	s_barrier
	s_branch .LBB115_3
.LBB115_18:
	s_waitcnt lgkmcnt(1)
	v_add_co_u32_e32 v1, vcc, v3, v7
	v_addc_co_u32_e32 v2, vcc, v4, v8, vcc
	v_add_co_u32_e32 v3, vcc, v5, v9
	v_addc_co_u32_e32 v4, vcc, v6, v10, vcc
	s_add_u32 s0, s30, s34
	s_waitcnt lgkmcnt(0)
	v_add_co_u32_e32 v5, vcc, v12, v14
	s_addc_u32 s1, s31, s35
	v_lshlrev_b32_e32 v0, 3, v0
	v_addc_co_u32_e32 v6, vcc, v13, v15, vcc
	global_store_dwordx2 v0, v[1:2], s[0:1]
	global_store_dwordx2 v0, v[3:4], s[0:1] offset:1536
	global_store_dwordx2 v0, v[5:6], s[0:1] offset:3072
	s_endpgm
	.section	.rodata,"a",@progbits
	.p2align	6, 0x0
	.amdhsa_kernel _Z17sort_pairs_kernelI22helper_blocked_blockedxLj192ELj3ELj10EEvPKT0_PS1_
		.amdhsa_group_segment_fixed_size 4608
		.amdhsa_private_segment_fixed_size 0
		.amdhsa_kernarg_size 272
		.amdhsa_user_sgpr_count 6
		.amdhsa_user_sgpr_private_segment_buffer 1
		.amdhsa_user_sgpr_dispatch_ptr 0
		.amdhsa_user_sgpr_queue_ptr 0
		.amdhsa_user_sgpr_kernarg_segment_ptr 1
		.amdhsa_user_sgpr_dispatch_id 0
		.amdhsa_user_sgpr_flat_scratch_init 0
		.amdhsa_user_sgpr_private_segment_size 0
		.amdhsa_uses_dynamic_stack 0
		.amdhsa_system_sgpr_private_segment_wavefront_offset 0
		.amdhsa_system_sgpr_workgroup_id_x 1
		.amdhsa_system_sgpr_workgroup_id_y 0
		.amdhsa_system_sgpr_workgroup_id_z 0
		.amdhsa_system_sgpr_workgroup_info 0
		.amdhsa_system_vgpr_workitem_id 2
		.amdhsa_next_free_vgpr 42
		.amdhsa_next_free_sgpr 38
		.amdhsa_reserve_vcc 1
		.amdhsa_reserve_flat_scratch 0
		.amdhsa_float_round_mode_32 0
		.amdhsa_float_round_mode_16_64 0
		.amdhsa_float_denorm_mode_32 3
		.amdhsa_float_denorm_mode_16_64 3
		.amdhsa_dx10_clamp 1
		.amdhsa_ieee_mode 1
		.amdhsa_fp16_overflow 0
		.amdhsa_exception_fp_ieee_invalid_op 0
		.amdhsa_exception_fp_denorm_src 0
		.amdhsa_exception_fp_ieee_div_zero 0
		.amdhsa_exception_fp_ieee_overflow 0
		.amdhsa_exception_fp_ieee_underflow 0
		.amdhsa_exception_fp_ieee_inexact 0
		.amdhsa_exception_int_div_zero 0
	.end_amdhsa_kernel
	.section	.text._Z17sort_pairs_kernelI22helper_blocked_blockedxLj192ELj3ELj10EEvPKT0_PS1_,"axG",@progbits,_Z17sort_pairs_kernelI22helper_blocked_blockedxLj192ELj3ELj10EEvPKT0_PS1_,comdat
.Lfunc_end115:
	.size	_Z17sort_pairs_kernelI22helper_blocked_blockedxLj192ELj3ELj10EEvPKT0_PS1_, .Lfunc_end115-_Z17sort_pairs_kernelI22helper_blocked_blockedxLj192ELj3ELj10EEvPKT0_PS1_
                                        ; -- End function
	.set _Z17sort_pairs_kernelI22helper_blocked_blockedxLj192ELj3ELj10EEvPKT0_PS1_.num_vgpr, 42
	.set _Z17sort_pairs_kernelI22helper_blocked_blockedxLj192ELj3ELj10EEvPKT0_PS1_.num_agpr, 0
	.set _Z17sort_pairs_kernelI22helper_blocked_blockedxLj192ELj3ELj10EEvPKT0_PS1_.numbered_sgpr, 38
	.set _Z17sort_pairs_kernelI22helper_blocked_blockedxLj192ELj3ELj10EEvPKT0_PS1_.num_named_barrier, 0
	.set _Z17sort_pairs_kernelI22helper_blocked_blockedxLj192ELj3ELj10EEvPKT0_PS1_.private_seg_size, 0
	.set _Z17sort_pairs_kernelI22helper_blocked_blockedxLj192ELj3ELj10EEvPKT0_PS1_.uses_vcc, 1
	.set _Z17sort_pairs_kernelI22helper_blocked_blockedxLj192ELj3ELj10EEvPKT0_PS1_.uses_flat_scratch, 0
	.set _Z17sort_pairs_kernelI22helper_blocked_blockedxLj192ELj3ELj10EEvPKT0_PS1_.has_dyn_sized_stack, 0
	.set _Z17sort_pairs_kernelI22helper_blocked_blockedxLj192ELj3ELj10EEvPKT0_PS1_.has_recursion, 0
	.set _Z17sort_pairs_kernelI22helper_blocked_blockedxLj192ELj3ELj10EEvPKT0_PS1_.has_indirect_call, 0
	.section	.AMDGPU.csdata,"",@progbits
; Kernel info:
; codeLenInByte = 2528
; TotalNumSgprs: 42
; NumVgprs: 42
; ScratchSize: 0
; MemoryBound: 0
; FloatMode: 240
; IeeeMode: 1
; LDSByteSize: 4608 bytes/workgroup (compile time only)
; SGPRBlocks: 5
; VGPRBlocks: 10
; NumSGPRsForWavesPerEU: 42
; NumVGPRsForWavesPerEU: 42
; Occupancy: 5
; WaveLimiterHint : 1
; COMPUTE_PGM_RSRC2:SCRATCH_EN: 0
; COMPUTE_PGM_RSRC2:USER_SGPR: 6
; COMPUTE_PGM_RSRC2:TRAP_HANDLER: 0
; COMPUTE_PGM_RSRC2:TGID_X_EN: 1
; COMPUTE_PGM_RSRC2:TGID_Y_EN: 0
; COMPUTE_PGM_RSRC2:TGID_Z_EN: 0
; COMPUTE_PGM_RSRC2:TIDIG_COMP_CNT: 2
	.section	.text._Z16sort_keys_kernelI22helper_blocked_blockedxLj192ELj4ELj10EEvPKT0_PS1_,"axG",@progbits,_Z16sort_keys_kernelI22helper_blocked_blockedxLj192ELj4ELj10EEvPKT0_PS1_,comdat
	.protected	_Z16sort_keys_kernelI22helper_blocked_blockedxLj192ELj4ELj10EEvPKT0_PS1_ ; -- Begin function _Z16sort_keys_kernelI22helper_blocked_blockedxLj192ELj4ELj10EEvPKT0_PS1_
	.globl	_Z16sort_keys_kernelI22helper_blocked_blockedxLj192ELj4ELj10EEvPKT0_PS1_
	.p2align	8
	.type	_Z16sort_keys_kernelI22helper_blocked_blockedxLj192ELj4ELj10EEvPKT0_PS1_,@function
_Z16sort_keys_kernelI22helper_blocked_blockedxLj192ELj4ELj10EEvPKT0_PS1_: ; @_Z16sort_keys_kernelI22helper_blocked_blockedxLj192ELj4ELj10EEvPKT0_PS1_
; %bb.0:
	s_load_dwordx4 s[36:39], s[4:5], 0x0
	s_load_dword s8, s[4:5], 0x1c
	s_mul_i32 s40, s6, 0x300
	s_mov_b32 s41, 0
	s_lshl_b64 s[42:43], s[40:41], 3
	s_waitcnt lgkmcnt(0)
	s_add_u32 s0, s36, s42
	s_addc_u32 s1, s37, s43
	v_lshlrev_b32_e32 v13, 3, v0
	v_mov_b32_e32 v3, s1
	v_add_co_u32_e32 v4, vcc, s0, v13
	v_addc_co_u32_e32 v3, vcc, 0, v3, vcc
	s_movk_i32 s2, 0x1000
	v_add_co_u32_e32 v11, vcc, s2, v4
	v_addc_co_u32_e32 v12, vcc, 0, v3, vcc
	global_load_dwordx2 v[7:8], v13, s[0:1]
	global_load_dwordx2 v[9:10], v13, s[0:1] offset:1536
	global_load_dwordx2 v[3:4], v13, s[0:1] offset:3072
	global_load_dwordx2 v[5:6], v[11:12], off offset:512
	v_mbcnt_lo_u32_b32 v12, -1, 0
	v_mbcnt_hi_u32_b32 v12, -1, v12
	v_lshrrev_b32_e32 v13, 2, v12
	v_and_b32_e32 v15, 64, v12
	v_or_b32_e32 v16, v13, v15
	v_add_u32_e32 v13, 48, v13
	s_lshr_b32 s9, s8, 16
	v_and_or_b32 v13, v13, 63, v15
	s_and_b32 s8, s8, 0xffff
	v_mad_u32_u24 v1, v2, s9, v1
	v_lshlrev_b32_e32 v23, 2, v13
	v_mad_u64_u32 v[1:2], s[8:9], v1, s8, v[0:1]
	v_and_b32_e32 v13, 15, v12
	v_cmp_eq_u32_e64 s[8:9], 0, v13
	v_cmp_lt_u32_e64 s[10:11], 1, v13
	v_cmp_lt_u32_e64 s[12:13], 3, v13
	;; [unrolled: 1-line block ×3, first 2 shown]
	v_and_b32_e32 v13, 16, v12
	v_cmp_eq_u32_e64 s[16:17], 0, v13
	v_and_b32_e32 v13, 0xc0, v0
	v_min_u32_e32 v13, 0x80, v13
	v_or_b32_e32 v13, 63, v13
	s_movk_i32 s33, 0x300
	v_lshlrev_b32_e32 v2, 2, v0
	v_cmp_eq_u32_e64 s[20:21], v0, v13
	v_subrev_co_u32_e64 v13, s[26:27], 1, v12
	v_cmp_lt_i32_e32 vcc, v13, v15
	v_and_or_b32 v2, v2, s33, v12
	v_and_b32_e32 v14, 3, v12
	v_cmp_lt_u32_e64 s[18:19], 31, v12
	v_cndmask_b32_e32 v13, v13, v12, vcc
	v_lshrrev_b32_e32 v12, 2, v2
	v_cmp_eq_u32_e64 s[0:1], 3, v14
	v_cmp_eq_u32_e64 s[2:3], 2, v14
	;; [unrolled: 1-line block ×4, first 2 shown]
	v_cmp_lt_u32_e64 s[30:31], 1, v14
	v_and_b32_e32 v12, 0xd8, v12
	v_lshlrev_b32_e32 v14, 3, v2
	v_add_u32_e32 v28, v12, v14
	v_add_u32_e32 v12, 64, v2
	v_lshrrev_b32_e32 v12, 2, v12
	v_and_b32_e32 v12, 0xf8, v12
	v_add_u32_e32 v29, v12, v14
	v_or_b32_e32 v12, 0x80, v2
	v_add_u32_e32 v2, 0xc0, v2
	v_lshlrev_b32_e32 v25, 2, v13
	v_lshrrev_b32_e32 v13, 4, v0
	v_lshrrev_b32_e32 v12, 2, v12
	;; [unrolled: 1-line block ×4, first 2 shown]
	v_lshlrev_b32_e32 v20, 2, v16
	v_lshlrev_b32_e32 v24, 4, v0
	v_and_b32_e32 v26, 12, v13
	v_mul_i32_i24_e32 v13, -12, v0
	v_and_b32_e32 v12, 0xf8, v12
	v_and_b32_e32 v2, 0x1f8, v2
	;; [unrolled: 1-line block ×4, first 2 shown]
	v_mov_b32_e32 v11, 0
	v_add_u32_e32 v21, 64, v20
	v_or_b32_e32 v22, 0x80, v20
	v_cmp_gt_u32_e64 s[22:23], 3, v0
	v_cmp_lt_u32_e64 s[24:25], 63, v0
	v_cmp_eq_u32_e64 s[28:29], 0, v0
	v_add_u32_e32 v27, -4, v26
	v_add_u32_e32 v30, v12, v14
	v_add_u32_e32 v31, v2, v14
	v_lshl_add_u32 v33, v0, 5, v1
	v_add_u32_e32 v34, v24, v13
	v_mov_b32_e32 v35, 12
	s_branch .LBB116_2
.LBB116_1:                              ;   in Loop: Header=BB116_2 Depth=1
	v_lshrrev_b32_e32 v7, 2, v42
	v_and_b32_e32 v7, 0x3ffffff8, v7
	v_lshl_add_u32 v7, v42, 3, v7
	s_barrier
	ds_write_b64 v7, v[9:10]
	v_lshrrev_b32_e32 v7, 2, v39
	v_and_b32_e32 v7, 0x3ffffff8, v7
	v_lshl_add_u32 v7, v39, 3, v7
	ds_write_b64 v7, v[5:6]
	v_lshrrev_b32_e32 v5, 2, v37
	v_and_b32_e32 v5, 0x3ffffff8, v5
	v_lshl_add_u32 v5, v37, 3, v5
	;; [unrolled: 4-line block ×3, first 2 shown]
	ds_write_b64 v3, v[1:2]
	s_waitcnt lgkmcnt(0)
	s_barrier
	ds_read2_b64 v[7:10], v33 offset1:1
	ds_read2_b64 v[3:6], v33 offset0:2 offset1:3
	s_add_i32 s41, s41, 1
	s_cmp_eq_u32 s41, 10
	s_waitcnt lgkmcnt(1)
	v_xor_b32_e32 v8, 0x80000000, v8
	v_xor_b32_e32 v10, 0x80000000, v10
	s_waitcnt lgkmcnt(0)
	v_xor_b32_e32 v4, 0x80000000, v4
	v_xor_b32_e32 v6, 0x80000000, v6
	s_cbranch_scc1 .LBB116_20
.LBB116_2:                              ; =>This Loop Header: Depth=1
                                        ;     Child Loop BB116_4 Depth 2
	s_waitcnt vmcnt(3)
	v_xor_b32_e32 v1, 0x80000000, v8
	ds_bpermute_b32 v2, v20, v7
	ds_bpermute_b32 v8, v20, v1
	s_waitcnt vmcnt(2)
	v_xor_b32_e32 v10, 0x80000000, v10
	ds_bpermute_b32 v12, v20, v9
	ds_bpermute_b32 v13, v20, v10
	s_waitcnt vmcnt(1)
	v_xor_b32_e32 v4, 0x80000000, v4
	s_waitcnt lgkmcnt(3)
	v_cndmask_b32_e64 v2, 0, v2, s[6:7]
	ds_bpermute_b32 v14, v20, v4
	ds_bpermute_b32 v15, v20, v3
	s_waitcnt lgkmcnt(4)
	v_cndmask_b32_e64 v8, 0, v8, s[6:7]
	s_waitcnt lgkmcnt(3)
	v_cndmask_b32_e64 v2, v2, v12, s[4:5]
	s_waitcnt vmcnt(0)
	ds_bpermute_b32 v12, v20, v5
	v_xor_b32_e32 v6, 0x80000000, v6
	s_waitcnt lgkmcnt(3)
	v_cndmask_b32_e64 v8, v8, v13, s[4:5]
	ds_bpermute_b32 v13, v20, v6
	s_waitcnt lgkmcnt(3)
	v_cndmask_b32_e64 v8, v8, v14, s[2:3]
	s_waitcnt lgkmcnt(2)
	v_cndmask_b32_e64 v2, v2, v15, s[2:3]
	ds_bpermute_b32 v14, v21, v7
	s_waitcnt lgkmcnt(2)
	v_cndmask_b32_e64 v12, v2, v12, s[0:1]
	ds_bpermute_b32 v2, v21, v1
	ds_bpermute_b32 v15, v21, v9
	s_waitcnt lgkmcnt(3)
	v_cndmask_b32_e64 v13, v8, v13, s[0:1]
	ds_bpermute_b32 v8, v21, v10
	s_waitcnt lgkmcnt(3)
	v_cndmask_b32_e64 v14, 0, v14, s[6:7]
	s_waitcnt lgkmcnt(2)
	v_cndmask_b32_e64 v2, 0, v2, s[6:7]
	;; [unrolled: 2-line block ×3, first 2 shown]
	ds_bpermute_b32 v15, v21, v4
	s_waitcnt lgkmcnt(1)
	v_cndmask_b32_e64 v2, v2, v8, s[4:5]
	ds_bpermute_b32 v8, v21, v3
	ds_bpermute_b32 v17, v21, v6
	;; [unrolled: 1-line block ×3, first 2 shown]
	s_waitcnt lgkmcnt(3)
	v_cndmask_b32_e64 v2, v2, v15, s[2:3]
	ds_bpermute_b32 v18, v22, v1
	s_waitcnt lgkmcnt(3)
	v_cndmask_b32_e64 v8, v14, v8, s[2:3]
	s_waitcnt lgkmcnt(2)
	v_cndmask_b32_e64 v15, v2, v17, s[0:1]
	ds_bpermute_b32 v2, v22, v7
	s_waitcnt lgkmcnt(2)
	v_cndmask_b32_e64 v14, v8, v16, s[0:1]
	ds_bpermute_b32 v16, v22, v9
	ds_bpermute_b32 v17, v22, v10
	s_waitcnt lgkmcnt(3)
	v_cndmask_b32_e64 v8, 0, v18, s[6:7]
	ds_bpermute_b32 v18, v22, v4
	s_waitcnt lgkmcnt(3)
	v_cndmask_b32_e64 v2, 0, v2, s[6:7]
	ds_bpermute_b32 v19, v22, v3
	s_waitcnt lgkmcnt(3)
	v_cndmask_b32_e64 v2, v2, v16, s[4:5]
	s_waitcnt lgkmcnt(2)
	v_cndmask_b32_e64 v8, v8, v17, s[4:5]
	ds_bpermute_b32 v16, v22, v5
	ds_bpermute_b32 v17, v22, v6
	s_waitcnt lgkmcnt(3)
	v_cndmask_b32_e64 v8, v8, v18, s[2:3]
	s_waitcnt lgkmcnt(2)
	v_cndmask_b32_e64 v2, v2, v19, s[2:3]
	ds_bpermute_b32 v1, v23, v1
	ds_bpermute_b32 v7, v23, v7
	s_waitcnt lgkmcnt(3)
	v_cndmask_b32_e64 v16, v2, v16, s[0:1]
	ds_bpermute_b32 v2, v23, v9
	s_waitcnt lgkmcnt(3)
	v_cndmask_b32_e64 v17, v8, v17, s[0:1]
	ds_bpermute_b32 v8, v23, v10
	ds_bpermute_b32 v4, v23, v4
	;; [unrolled: 1-line block ×5, first 2 shown]
	s_waitcnt lgkmcnt(7)
	v_cndmask_b32_e64 v1, 0, v1, s[6:7]
	s_waitcnt lgkmcnt(6)
	v_cndmask_b32_e64 v7, 0, v7, s[6:7]
	;; [unrolled: 2-line block ×6, first 2 shown]
	v_mov_b32_e32 v7, 0
	s_waitcnt lgkmcnt(1)
	v_cndmask_b32_e64 v18, v2, v5, s[0:1]
	s_waitcnt lgkmcnt(0)
	v_cndmask_b32_e64 v19, v1, v6, s[0:1]
	v_mov_b32_e32 v8, 0
	s_barrier
	s_branch .LBB116_4
.LBB116_3:                              ;   in Loop: Header=BB116_4 Depth=2
	s_andn2_b64 vcc, exec, s[34:35]
	s_cbranch_vccz .LBB116_1
.LBB116_4:                              ;   Parent Loop BB116_2 Depth=1
                                        ; =>  This Inner Loop Header: Depth=2
	v_mov_b32_e32 v9, v12
	v_mov_b32_e32 v5, v14
	;; [unrolled: 1-line block ×4, first 2 shown]
	v_lshrrev_b64 v[13:14], v7, v[9:10]
	v_mov_b32_e32 v3, v16
	v_and_b32_e32 v12, 1, v13
	v_add_co_u32_e32 v15, vcc, -1, v12
	v_mov_b32_e32 v4, v17
	v_addc_co_u32_e64 v16, s[34:35], 0, -1, vcc
	v_cmp_ne_u32_e32 vcc, 0, v12
	v_xor_b32_e32 v12, vcc_hi, v16
	v_and_b32_e32 v16, exec_hi, v12
	v_lshlrev_b32_e32 v12, 30, v13
	v_xor_b32_e32 v15, vcc_lo, v15
	v_cmp_gt_i64_e32 vcc, 0, v[11:12]
	v_not_b32_e32 v12, v12
	v_ashrrev_i32_e32 v12, 31, v12
	v_and_b32_e32 v15, exec_lo, v15
	v_xor_b32_e32 v17, vcc_hi, v12
	v_xor_b32_e32 v12, vcc_lo, v12
	v_and_b32_e32 v15, v15, v12
	v_lshlrev_b32_e32 v12, 29, v13
	v_cmp_gt_i64_e32 vcc, 0, v[11:12]
	v_not_b32_e32 v12, v12
	v_ashrrev_i32_e32 v12, 31, v12
	v_and_b32_e32 v16, v16, v17
	v_xor_b32_e32 v17, vcc_hi, v12
	v_xor_b32_e32 v12, vcc_lo, v12
	v_and_b32_e32 v15, v15, v12
	v_lshlrev_b32_e32 v12, 28, v13
	v_cmp_gt_i64_e32 vcc, 0, v[11:12]
	v_not_b32_e32 v12, v12
	v_ashrrev_i32_e32 v12, 31, v12
	v_and_b32_e32 v16, v16, v17
	;; [unrolled: 8-line block ×5, first 2 shown]
	v_xor_b32_e32 v17, vcc_hi, v12
	v_xor_b32_e32 v12, vcc_lo, v12
	v_and_b32_e32 v15, v15, v12
	v_lshlrev_b32_e32 v12, 24, v13
	v_cmp_gt_i64_e32 vcc, 0, v[11:12]
	v_not_b32_e32 v12, v12
	v_ashrrev_i32_e32 v12, 31, v12
	v_mul_u32_u24_sdwa v14, v13, v35 dst_sel:DWORD dst_unused:UNUSED_PAD src0_sel:BYTE_0 src1_sel:DWORD
	v_xor_b32_e32 v13, vcc_hi, v12
	v_xor_b32_e32 v12, vcc_lo, v12
	v_and_b32_e32 v16, v16, v17
	v_and_b32_e32 v12, v15, v12
	;; [unrolled: 1-line block ×3, first 2 shown]
	v_mbcnt_lo_u32_b32 v15, v12, 0
	v_mbcnt_hi_u32_b32 v16, v13, v15
	v_cmp_ne_u64_e32 vcc, 0, v[12:13]
	v_mov_b32_e32 v1, v18
	v_cmp_eq_u32_e64 s[34:35], 0, v16
	v_mov_b32_e32 v2, v19
	s_and_b64 s[36:37], vcc, s[34:35]
	v_add_u32_e32 v17, v32, v14
	ds_write2_b32 v24, v11, v11 offset0:3 offset1:4
	ds_write2_b32 v24, v11, v11 offset0:5 offset1:6
	s_waitcnt lgkmcnt(0)
	s_barrier
	; wave barrier
	s_and_saveexec_b64 s[34:35], s[36:37]
; %bb.5:                                ;   in Loop: Header=BB116_4 Depth=2
	v_bcnt_u32_b32 v12, v12, 0
	v_bcnt_u32_b32 v12, v13, v12
	ds_write_b32 v17, v12 offset:12
; %bb.6:                                ;   in Loop: Header=BB116_4 Depth=2
	s_or_b64 exec, exec, s[34:35]
	v_lshrrev_b64 v[13:14], v7, v[5:6]
	v_and_b32_e32 v12, 0xff, v13
	v_mul_u32_u24_e32 v14, 12, v12
	v_mad_u32_u24 v12, v12, 12, v32
	; wave barrier
	ds_read_b32 v18, v12 offset:12
	v_and_b32_e32 v12, 1, v13
	v_add_co_u32_e32 v15, vcc, -1, v12
	v_addc_co_u32_e64 v19, s[34:35], 0, -1, vcc
	v_cmp_ne_u32_e32 vcc, 0, v12
	v_xor_b32_e32 v12, vcc_hi, v19
	v_and_b32_e32 v19, exec_hi, v12
	v_lshlrev_b32_e32 v12, 30, v13
	v_xor_b32_e32 v15, vcc_lo, v15
	v_cmp_gt_i64_e32 vcc, 0, v[11:12]
	v_not_b32_e32 v12, v12
	v_ashrrev_i32_e32 v12, 31, v12
	v_and_b32_e32 v15, exec_lo, v15
	v_xor_b32_e32 v36, vcc_hi, v12
	v_xor_b32_e32 v12, vcc_lo, v12
	v_and_b32_e32 v15, v15, v12
	v_lshlrev_b32_e32 v12, 29, v13
	v_cmp_gt_i64_e32 vcc, 0, v[11:12]
	v_not_b32_e32 v12, v12
	v_ashrrev_i32_e32 v12, 31, v12
	v_and_b32_e32 v19, v19, v36
	v_xor_b32_e32 v36, vcc_hi, v12
	v_xor_b32_e32 v12, vcc_lo, v12
	v_and_b32_e32 v15, v15, v12
	v_lshlrev_b32_e32 v12, 28, v13
	v_cmp_gt_i64_e32 vcc, 0, v[11:12]
	v_not_b32_e32 v12, v12
	v_ashrrev_i32_e32 v12, 31, v12
	v_and_b32_e32 v19, v19, v36
	;; [unrolled: 8-line block ×5, first 2 shown]
	v_xor_b32_e32 v36, vcc_hi, v12
	v_xor_b32_e32 v12, vcc_lo, v12
	v_and_b32_e32 v15, v15, v12
	v_lshlrev_b32_e32 v12, 24, v13
	v_cmp_gt_i64_e32 vcc, 0, v[11:12]
	v_not_b32_e32 v12, v12
	v_ashrrev_i32_e32 v12, 31, v12
	v_xor_b32_e32 v13, vcc_hi, v12
	v_xor_b32_e32 v12, vcc_lo, v12
	v_and_b32_e32 v19, v19, v36
	v_and_b32_e32 v12, v15, v12
	;; [unrolled: 1-line block ×3, first 2 shown]
	v_mbcnt_lo_u32_b32 v15, v12, 0
	v_mbcnt_hi_u32_b32 v19, v13, v15
	v_cmp_ne_u64_e32 vcc, 0, v[12:13]
	v_cmp_eq_u32_e64 s[34:35], 0, v19
	s_and_b64 s[36:37], vcc, s[34:35]
	v_add_u32_e32 v36, v32, v14
	; wave barrier
	s_and_saveexec_b64 s[34:35], s[36:37]
	s_cbranch_execz .LBB116_8
; %bb.7:                                ;   in Loop: Header=BB116_4 Depth=2
	v_bcnt_u32_b32 v12, v12, 0
	v_bcnt_u32_b32 v12, v13, v12
	s_waitcnt lgkmcnt(0)
	v_add_u32_e32 v12, v18, v12
	ds_write_b32 v36, v12 offset:12
.LBB116_8:                              ;   in Loop: Header=BB116_4 Depth=2
	s_or_b64 exec, exec, s[34:35]
	v_lshrrev_b64 v[13:14], v7, v[3:4]
	v_and_b32_e32 v12, 0xff, v13
	v_mul_u32_u24_e32 v14, 12, v12
	v_mad_u32_u24 v12, v12, 12, v32
	; wave barrier
	ds_read_b32 v37, v12 offset:12
	v_and_b32_e32 v12, 1, v13
	v_add_co_u32_e32 v15, vcc, -1, v12
	v_addc_co_u32_e64 v38, s[34:35], 0, -1, vcc
	v_cmp_ne_u32_e32 vcc, 0, v12
	v_xor_b32_e32 v12, vcc_hi, v38
	v_and_b32_e32 v38, exec_hi, v12
	v_lshlrev_b32_e32 v12, 30, v13
	v_xor_b32_e32 v15, vcc_lo, v15
	v_cmp_gt_i64_e32 vcc, 0, v[11:12]
	v_not_b32_e32 v12, v12
	v_ashrrev_i32_e32 v12, 31, v12
	v_and_b32_e32 v15, exec_lo, v15
	v_xor_b32_e32 v39, vcc_hi, v12
	v_xor_b32_e32 v12, vcc_lo, v12
	v_and_b32_e32 v15, v15, v12
	v_lshlrev_b32_e32 v12, 29, v13
	v_cmp_gt_i64_e32 vcc, 0, v[11:12]
	v_not_b32_e32 v12, v12
	v_ashrrev_i32_e32 v12, 31, v12
	v_and_b32_e32 v38, v38, v39
	v_xor_b32_e32 v39, vcc_hi, v12
	v_xor_b32_e32 v12, vcc_lo, v12
	v_and_b32_e32 v15, v15, v12
	v_lshlrev_b32_e32 v12, 28, v13
	v_cmp_gt_i64_e32 vcc, 0, v[11:12]
	v_not_b32_e32 v12, v12
	v_ashrrev_i32_e32 v12, 31, v12
	v_and_b32_e32 v38, v38, v39
	;; [unrolled: 8-line block ×5, first 2 shown]
	v_xor_b32_e32 v39, vcc_hi, v12
	v_xor_b32_e32 v12, vcc_lo, v12
	v_and_b32_e32 v15, v15, v12
	v_lshlrev_b32_e32 v12, 24, v13
	v_cmp_gt_i64_e32 vcc, 0, v[11:12]
	v_not_b32_e32 v12, v12
	v_ashrrev_i32_e32 v12, 31, v12
	v_xor_b32_e32 v13, vcc_hi, v12
	v_xor_b32_e32 v12, vcc_lo, v12
	v_and_b32_e32 v38, v38, v39
	v_and_b32_e32 v12, v15, v12
	;; [unrolled: 1-line block ×3, first 2 shown]
	v_mbcnt_lo_u32_b32 v15, v12, 0
	v_mbcnt_hi_u32_b32 v38, v13, v15
	v_cmp_ne_u64_e32 vcc, 0, v[12:13]
	v_cmp_eq_u32_e64 s[34:35], 0, v38
	s_and_b64 s[36:37], vcc, s[34:35]
	v_add_u32_e32 v39, v32, v14
	; wave barrier
	s_and_saveexec_b64 s[34:35], s[36:37]
	s_cbranch_execz .LBB116_10
; %bb.9:                                ;   in Loop: Header=BB116_4 Depth=2
	v_bcnt_u32_b32 v12, v12, 0
	v_bcnt_u32_b32 v12, v13, v12
	s_waitcnt lgkmcnt(0)
	v_add_u32_e32 v12, v37, v12
	ds_write_b32 v39, v12 offset:12
.LBB116_10:                             ;   in Loop: Header=BB116_4 Depth=2
	s_or_b64 exec, exec, s[34:35]
	v_lshrrev_b64 v[13:14], v7, v[1:2]
	v_and_b32_e32 v12, 0xff, v13
	v_mul_u32_u24_e32 v14, 12, v12
	v_mad_u32_u24 v12, v12, 12, v32
	; wave barrier
	ds_read_b32 v40, v12 offset:12
	v_and_b32_e32 v12, 1, v13
	v_add_co_u32_e32 v15, vcc, -1, v12
	v_addc_co_u32_e64 v41, s[34:35], 0, -1, vcc
	v_cmp_ne_u32_e32 vcc, 0, v12
	v_xor_b32_e32 v12, vcc_hi, v41
	v_and_b32_e32 v41, exec_hi, v12
	v_lshlrev_b32_e32 v12, 30, v13
	v_xor_b32_e32 v15, vcc_lo, v15
	v_cmp_gt_i64_e32 vcc, 0, v[11:12]
	v_not_b32_e32 v12, v12
	v_ashrrev_i32_e32 v12, 31, v12
	v_and_b32_e32 v15, exec_lo, v15
	v_xor_b32_e32 v42, vcc_hi, v12
	v_xor_b32_e32 v12, vcc_lo, v12
	v_and_b32_e32 v15, v15, v12
	v_lshlrev_b32_e32 v12, 29, v13
	v_cmp_gt_i64_e32 vcc, 0, v[11:12]
	v_not_b32_e32 v12, v12
	v_ashrrev_i32_e32 v12, 31, v12
	v_and_b32_e32 v41, v41, v42
	v_xor_b32_e32 v42, vcc_hi, v12
	v_xor_b32_e32 v12, vcc_lo, v12
	v_and_b32_e32 v15, v15, v12
	v_lshlrev_b32_e32 v12, 28, v13
	v_cmp_gt_i64_e32 vcc, 0, v[11:12]
	v_not_b32_e32 v12, v12
	v_ashrrev_i32_e32 v12, 31, v12
	v_and_b32_e32 v41, v41, v42
	;; [unrolled: 8-line block ×5, first 2 shown]
	v_xor_b32_e32 v42, vcc_hi, v12
	v_xor_b32_e32 v12, vcc_lo, v12
	v_and_b32_e32 v15, v15, v12
	v_lshlrev_b32_e32 v12, 24, v13
	v_cmp_gt_i64_e32 vcc, 0, v[11:12]
	v_not_b32_e32 v12, v12
	v_ashrrev_i32_e32 v12, 31, v12
	v_xor_b32_e32 v13, vcc_hi, v12
	v_xor_b32_e32 v12, vcc_lo, v12
	v_and_b32_e32 v41, v41, v42
	v_and_b32_e32 v12, v15, v12
	;; [unrolled: 1-line block ×3, first 2 shown]
	v_mbcnt_lo_u32_b32 v15, v12, 0
	v_mbcnt_hi_u32_b32 v41, v13, v15
	v_cmp_ne_u64_e32 vcc, 0, v[12:13]
	v_cmp_eq_u32_e64 s[34:35], 0, v41
	s_and_b64 s[36:37], vcc, s[34:35]
	v_add_u32_e32 v42, v32, v14
	; wave barrier
	s_and_saveexec_b64 s[34:35], s[36:37]
	s_cbranch_execz .LBB116_12
; %bb.11:                               ;   in Loop: Header=BB116_4 Depth=2
	v_bcnt_u32_b32 v12, v12, 0
	v_bcnt_u32_b32 v12, v13, v12
	s_waitcnt lgkmcnt(0)
	v_add_u32_e32 v12, v40, v12
	ds_write_b32 v42, v12 offset:12
.LBB116_12:                             ;   in Loop: Header=BB116_4 Depth=2
	s_or_b64 exec, exec, s[34:35]
	; wave barrier
	s_waitcnt lgkmcnt(0)
	s_barrier
	ds_read2_b32 v[14:15], v24 offset0:3 offset1:4
	ds_read2_b32 v[12:13], v24 offset0:5 offset1:6
	s_waitcnt lgkmcnt(1)
	v_add_u32_e32 v43, v15, v14
	s_waitcnt lgkmcnt(0)
	v_add3_u32 v13, v43, v12, v13
	s_nop 1
	v_mov_b32_dpp v43, v13 row_shr:1 row_mask:0xf bank_mask:0xf
	v_cndmask_b32_e64 v43, v43, 0, s[8:9]
	v_add_u32_e32 v13, v43, v13
	s_nop 1
	v_mov_b32_dpp v43, v13 row_shr:2 row_mask:0xf bank_mask:0xf
	v_cndmask_b32_e64 v43, 0, v43, s[10:11]
	v_add_u32_e32 v13, v13, v43
	;; [unrolled: 4-line block ×4, first 2 shown]
	s_nop 1
	v_mov_b32_dpp v43, v13 row_bcast:15 row_mask:0xf bank_mask:0xf
	v_cndmask_b32_e64 v43, v43, 0, s[16:17]
	v_add_u32_e32 v13, v13, v43
	s_nop 1
	v_mov_b32_dpp v43, v13 row_bcast:31 row_mask:0xf bank_mask:0xf
	v_cndmask_b32_e64 v43, 0, v43, s[18:19]
	v_add_u32_e32 v13, v13, v43
	s_and_saveexec_b64 s[34:35], s[20:21]
; %bb.13:                               ;   in Loop: Header=BB116_4 Depth=2
	ds_write_b32 v26, v13
; %bb.14:                               ;   in Loop: Header=BB116_4 Depth=2
	s_or_b64 exec, exec, s[34:35]
	s_waitcnt lgkmcnt(0)
	s_barrier
	s_and_saveexec_b64 s[34:35], s[22:23]
	s_cbranch_execz .LBB116_16
; %bb.15:                               ;   in Loop: Header=BB116_4 Depth=2
	ds_read_b32 v43, v34
	s_waitcnt lgkmcnt(0)
	s_nop 0
	v_mov_b32_dpp v44, v43 row_shr:1 row_mask:0xf bank_mask:0xf
	v_cndmask_b32_e64 v44, v44, 0, s[6:7]
	v_add_u32_e32 v43, v44, v43
	s_nop 1
	v_mov_b32_dpp v44, v43 row_shr:2 row_mask:0xf bank_mask:0xf
	v_cndmask_b32_e64 v44, 0, v44, s[30:31]
	v_add_u32_e32 v43, v43, v44
	ds_write_b32 v34, v43
.LBB116_16:                             ;   in Loop: Header=BB116_4 Depth=2
	s_or_b64 exec, exec, s[34:35]
	v_mov_b32_e32 v43, 0
	s_waitcnt lgkmcnt(0)
	s_barrier
	s_and_saveexec_b64 s[34:35], s[24:25]
; %bb.17:                               ;   in Loop: Header=BB116_4 Depth=2
	ds_read_b32 v43, v27
; %bb.18:                               ;   in Loop: Header=BB116_4 Depth=2
	s_or_b64 exec, exec, s[34:35]
	s_waitcnt lgkmcnt(0)
	v_add_u32_e32 v13, v43, v13
	ds_bpermute_b32 v13, v25, v13
	v_cmp_lt_u32_e32 vcc, 55, v7
	s_and_b64 vcc, exec, vcc
	s_mov_b64 s[34:35], -1
	s_waitcnt lgkmcnt(0)
	v_cndmask_b32_e64 v13, v13, v43, s[26:27]
	v_cndmask_b32_e64 v13, v13, 0, s[28:29]
	v_add_u32_e32 v14, v13, v14
	v_add_u32_e32 v15, v14, v15
	;; [unrolled: 1-line block ×3, first 2 shown]
	ds_write2_b32 v24, v13, v14 offset0:3 offset1:4
	ds_write2_b32 v24, v15, v12 offset0:5 offset1:6
	s_waitcnt lgkmcnt(0)
	s_barrier
	ds_read_b32 v12, v17 offset:12
	ds_read_b32 v13, v36 offset:12
	;; [unrolled: 1-line block ×4, first 2 shown]
	s_waitcnt lgkmcnt(3)
	v_add_u32_e32 v42, v12, v16
	s_waitcnt lgkmcnt(2)
	v_add3_u32 v39, v19, v18, v13
	s_waitcnt lgkmcnt(1)
	v_add3_u32 v37, v38, v37, v14
	;; [unrolled: 2-line block ×3, first 2 shown]
                                        ; implicit-def: $vgpr18_vgpr19
                                        ; implicit-def: $vgpr16_vgpr17
                                        ; implicit-def: $vgpr14_vgpr15
                                        ; implicit-def: $vgpr12_vgpr13
	s_cbranch_vccnz .LBB116_3
; %bb.19:                               ;   in Loop: Header=BB116_4 Depth=2
	v_lshrrev_b32_e32 v12, 2, v42
	v_and_b32_e32 v12, 0x3ffffff8, v12
	v_lshl_add_u32 v12, v42, 3, v12
	s_barrier
	ds_write_b64 v12, v[9:10]
	v_lshrrev_b32_e32 v12, 2, v39
	v_and_b32_e32 v12, 0x3ffffff8, v12
	v_lshl_add_u32 v12, v39, 3, v12
	ds_write_b64 v12, v[5:6]
	v_lshrrev_b32_e32 v12, 2, v37
	v_and_b32_e32 v12, 0x3ffffff8, v12
	v_lshl_add_u32 v12, v37, 3, v12
	;; [unrolled: 4-line block ×3, first 2 shown]
	ds_write_b64 v12, v[1:2]
	s_waitcnt lgkmcnt(0)
	s_barrier
	ds_read_b64 v[12:13], v28
	ds_read_b64 v[14:15], v29 offset:512
	ds_read_b64 v[16:17], v30 offset:1024
	;; [unrolled: 1-line block ×3, first 2 shown]
	v_add_co_u32_e32 v7, vcc, 8, v7
	v_addc_co_u32_e32 v8, vcc, 0, v8, vcc
	s_mov_b64 s[34:35], 0
	s_waitcnt lgkmcnt(0)
	s_barrier
	s_branch .LBB116_3
.LBB116_20:
	s_add_u32 s0, s38, s42
	s_addc_u32 s1, s39, s43
	v_lshlrev_b32_e32 v0, 3, v0
	v_mov_b32_e32 v1, s1
	v_add_co_u32_e32 v2, vcc, s0, v0
	v_addc_co_u32_e32 v1, vcc, 0, v1, vcc
	global_store_dwordx2 v0, v[7:8], s[0:1]
	global_store_dwordx2 v0, v[9:10], s[0:1] offset:1536
	global_store_dwordx2 v0, v[3:4], s[0:1] offset:3072
	v_add_co_u32_e32 v0, vcc, 0x1000, v2
	v_addc_co_u32_e32 v1, vcc, 0, v1, vcc
	global_store_dwordx2 v[0:1], v[5:6], off offset:512
	s_endpgm
	.section	.rodata,"a",@progbits
	.p2align	6, 0x0
	.amdhsa_kernel _Z16sort_keys_kernelI22helper_blocked_blockedxLj192ELj4ELj10EEvPKT0_PS1_
		.amdhsa_group_segment_fixed_size 6336
		.amdhsa_private_segment_fixed_size 0
		.amdhsa_kernarg_size 272
		.amdhsa_user_sgpr_count 6
		.amdhsa_user_sgpr_private_segment_buffer 1
		.amdhsa_user_sgpr_dispatch_ptr 0
		.amdhsa_user_sgpr_queue_ptr 0
		.amdhsa_user_sgpr_kernarg_segment_ptr 1
		.amdhsa_user_sgpr_dispatch_id 0
		.amdhsa_user_sgpr_flat_scratch_init 0
		.amdhsa_user_sgpr_private_segment_size 0
		.amdhsa_uses_dynamic_stack 0
		.amdhsa_system_sgpr_private_segment_wavefront_offset 0
		.amdhsa_system_sgpr_workgroup_id_x 1
		.amdhsa_system_sgpr_workgroup_id_y 0
		.amdhsa_system_sgpr_workgroup_id_z 0
		.amdhsa_system_sgpr_workgroup_info 0
		.amdhsa_system_vgpr_workitem_id 2
		.amdhsa_next_free_vgpr 45
		.amdhsa_next_free_sgpr 61
		.amdhsa_reserve_vcc 1
		.amdhsa_reserve_flat_scratch 0
		.amdhsa_float_round_mode_32 0
		.amdhsa_float_round_mode_16_64 0
		.amdhsa_float_denorm_mode_32 3
		.amdhsa_float_denorm_mode_16_64 3
		.amdhsa_dx10_clamp 1
		.amdhsa_ieee_mode 1
		.amdhsa_fp16_overflow 0
		.amdhsa_exception_fp_ieee_invalid_op 0
		.amdhsa_exception_fp_denorm_src 0
		.amdhsa_exception_fp_ieee_div_zero 0
		.amdhsa_exception_fp_ieee_overflow 0
		.amdhsa_exception_fp_ieee_underflow 0
		.amdhsa_exception_fp_ieee_inexact 0
		.amdhsa_exception_int_div_zero 0
	.end_amdhsa_kernel
	.section	.text._Z16sort_keys_kernelI22helper_blocked_blockedxLj192ELj4ELj10EEvPKT0_PS1_,"axG",@progbits,_Z16sort_keys_kernelI22helper_blocked_blockedxLj192ELj4ELj10EEvPKT0_PS1_,comdat
.Lfunc_end116:
	.size	_Z16sort_keys_kernelI22helper_blocked_blockedxLj192ELj4ELj10EEvPKT0_PS1_, .Lfunc_end116-_Z16sort_keys_kernelI22helper_blocked_blockedxLj192ELj4ELj10EEvPKT0_PS1_
                                        ; -- End function
	.set _Z16sort_keys_kernelI22helper_blocked_blockedxLj192ELj4ELj10EEvPKT0_PS1_.num_vgpr, 45
	.set _Z16sort_keys_kernelI22helper_blocked_blockedxLj192ELj4ELj10EEvPKT0_PS1_.num_agpr, 0
	.set _Z16sort_keys_kernelI22helper_blocked_blockedxLj192ELj4ELj10EEvPKT0_PS1_.numbered_sgpr, 44
	.set _Z16sort_keys_kernelI22helper_blocked_blockedxLj192ELj4ELj10EEvPKT0_PS1_.num_named_barrier, 0
	.set _Z16sort_keys_kernelI22helper_blocked_blockedxLj192ELj4ELj10EEvPKT0_PS1_.private_seg_size, 0
	.set _Z16sort_keys_kernelI22helper_blocked_blockedxLj192ELj4ELj10EEvPKT0_PS1_.uses_vcc, 1
	.set _Z16sort_keys_kernelI22helper_blocked_blockedxLj192ELj4ELj10EEvPKT0_PS1_.uses_flat_scratch, 0
	.set _Z16sort_keys_kernelI22helper_blocked_blockedxLj192ELj4ELj10EEvPKT0_PS1_.has_dyn_sized_stack, 0
	.set _Z16sort_keys_kernelI22helper_blocked_blockedxLj192ELj4ELj10EEvPKT0_PS1_.has_recursion, 0
	.set _Z16sort_keys_kernelI22helper_blocked_blockedxLj192ELj4ELj10EEvPKT0_PS1_.has_indirect_call, 0
	.section	.AMDGPU.csdata,"",@progbits
; Kernel info:
; codeLenInByte = 3700
; TotalNumSgprs: 48
; NumVgprs: 45
; ScratchSize: 0
; MemoryBound: 0
; FloatMode: 240
; IeeeMode: 1
; LDSByteSize: 6336 bytes/workgroup (compile time only)
; SGPRBlocks: 8
; VGPRBlocks: 11
; NumSGPRsForWavesPerEU: 65
; NumVGPRsForWavesPerEU: 45
; Occupancy: 5
; WaveLimiterHint : 1
; COMPUTE_PGM_RSRC2:SCRATCH_EN: 0
; COMPUTE_PGM_RSRC2:USER_SGPR: 6
; COMPUTE_PGM_RSRC2:TRAP_HANDLER: 0
; COMPUTE_PGM_RSRC2:TGID_X_EN: 1
; COMPUTE_PGM_RSRC2:TGID_Y_EN: 0
; COMPUTE_PGM_RSRC2:TGID_Z_EN: 0
; COMPUTE_PGM_RSRC2:TIDIG_COMP_CNT: 2
	.section	.text._Z17sort_pairs_kernelI22helper_blocked_blockedxLj192ELj4ELj10EEvPKT0_PS1_,"axG",@progbits,_Z17sort_pairs_kernelI22helper_blocked_blockedxLj192ELj4ELj10EEvPKT0_PS1_,comdat
	.protected	_Z17sort_pairs_kernelI22helper_blocked_blockedxLj192ELj4ELj10EEvPKT0_PS1_ ; -- Begin function _Z17sort_pairs_kernelI22helper_blocked_blockedxLj192ELj4ELj10EEvPKT0_PS1_
	.globl	_Z17sort_pairs_kernelI22helper_blocked_blockedxLj192ELj4ELj10EEvPKT0_PS1_
	.p2align	8
	.type	_Z17sort_pairs_kernelI22helper_blocked_blockedxLj192ELj4ELj10EEvPKT0_PS1_,@function
_Z17sort_pairs_kernelI22helper_blocked_blockedxLj192ELj4ELj10EEvPKT0_PS1_: ; @_Z17sort_pairs_kernelI22helper_blocked_blockedxLj192ELj4ELj10EEvPKT0_PS1_
; %bb.0:
	s_load_dwordx4 s[36:39], s[4:5], 0x0
	s_load_dword s33, s[4:5], 0x1c
	s_mul_i32 s42, s6, 0x300
	s_mov_b32 s43, 0
	s_lshl_b64 s[40:41], s[42:43], 3
	s_waitcnt lgkmcnt(0)
	s_add_u32 s0, s36, s40
	s_addc_u32 s1, s37, s41
	v_lshlrev_b32_e32 v3, 3, v0
	global_load_dwordx2 v[7:8], v3, s[0:1]
	global_load_dwordx2 v[9:10], v3, s[0:1] offset:1536
	v_mov_b32_e32 v4, s1
	v_add_co_u32_e32 v5, vcc, s0, v3
	v_addc_co_u32_e32 v6, vcc, 0, v4, vcc
	global_load_dwordx2 v[3:4], v3, s[0:1] offset:3072
	s_movk_i32 s0, 0x1000
	v_add_co_u32_e32 v5, vcc, s0, v5
	v_addc_co_u32_e32 v6, vcc, 0, v6, vcc
	global_load_dwordx2 v[5:6], v[5:6], off offset:512
	v_mbcnt_lo_u32_b32 v11, -1, 0
	s_movk_i32 s10, 0x300
	v_mbcnt_hi_u32_b32 v11, -1, v11
	v_lshlrev_b32_e32 v12, 2, v0
	v_and_b32_e32 v17, 15, v11
	v_and_or_b32 v20, v12, s10, v11
	s_lshr_b32 s34, s33, 16
	v_and_b32_e32 v16, 64, v11
	v_subrev_co_u32_e64 v19, s[8:9], 1, v11
	v_cmp_eq_u32_e64 s[18:19], 0, v17
	v_cmp_lt_u32_e64 s[20:21], 1, v17
	v_cmp_lt_u32_e64 s[22:23], 3, v17
	;; [unrolled: 1-line block ×3, first 2 shown]
	v_add_u32_e32 v17, 64, v20
	s_and_b32 s33, s33, 0xffff
	v_mad_u32_u24 v1, v2, s34, v1
	v_cmp_lt_i32_e32 vcc, v19, v16
	v_lshrrev_b32_e32 v21, 2, v17
	v_mad_u64_u32 v[1:2], s[34:35], v1, s33, v[0:1]
	v_lshrrev_b32_e32 v14, 2, v11
	v_and_b32_e32 v15, 3, v11
	v_and_b32_e32 v18, 16, v11
	v_cmp_lt_u32_e64 s[6:7], 31, v11
	v_cndmask_b32_e32 v11, v19, v11, vcc
	v_lshlrev_b32_e32 v19, 3, v20
	v_and_b32_e32 v2, 0xf8, v21
	v_cmp_eq_u32_e64 s[10:11], 3, v15
	v_cmp_eq_u32_e64 s[12:13], 2, v15
	;; [unrolled: 1-line block ×4, first 2 shown]
	v_cmp_lt_u32_e64 s[28:29], 1, v15
	v_lshrrev_b32_e32 v15, 2, v20
	v_add_u32_e32 v41, v2, v19
	v_or_b32_e32 v2, 0x80, v20
	v_or_b32_e32 v12, v14, v16
	v_add_u32_e32 v14, 48, v14
	v_lshlrev_b32_e32 v38, 2, v11
	v_and_b32_e32 v11, 0xd8, v15
	v_lshrrev_b32_e32 v2, 2, v2
	v_lshlrev_b32_e32 v37, 2, v12
	v_and_or_b32 v12, v14, 63, v16
	v_and_b32_e32 v2, 0xf8, v2
	v_add_u32_e32 v42, v2, v19
	v_add_u32_e32 v2, 0xc0, v20
	v_and_b32_e32 v13, 0xc0, v0
	v_cmp_eq_u32_e64 s[26:27], 0, v18
	v_lshrrev_b32_e32 v2, 2, v2
	v_min_u32_e32 v13, 0x80, v13
	v_add_u32_e32 v40, v11, v19
	v_and_b32_e32 v2, 0x1f8, v2
	v_lshrrev_b32_e32 v1, 4, v1
	v_or_b32_e32 v13, 63, v13
	v_lshlrev_b32_e32 v39, 2, v12
	v_add_u32_e32 v43, v2, v19
	v_lshrrev_b32_e32 v2, 4, v0
	v_and_b32_e32 v45, 0xffffffc, v1
	v_and_b32_e32 v1, 0xf8, v0
	v_cmp_eq_u32_e64 s[30:31], v0, v13
	v_and_b32_e32 v44, 12, v2
	v_lshl_add_u32 v46, v0, 5, v1
	v_lshlrev_b32_e32 v47, 4, v0
	v_mul_i32_i24_e32 v1, -12, v0
	v_cmp_gt_u32_e64 s[0:1], 3, v0
	v_cmp_lt_u32_e64 s[2:3], 63, v0
	s_waitcnt vmcnt(3)
	v_add_co_u32_e32 v15, vcc, 1, v7
	v_addc_co_u32_e32 v16, vcc, 0, v8, vcc
	s_waitcnt vmcnt(2)
	v_add_co_u32_e32 v17, vcc, 1, v9
	v_addc_co_u32_e32 v18, vcc, 0, v10, vcc
	;; [unrolled: 3-line block ×3, first 2 shown]
	v_cmp_eq_u32_e64 s[4:5], 0, v0
	s_waitcnt vmcnt(0)
	v_add_co_u32_e32 v13, vcc, 1, v5
	v_addc_co_u32_e32 v14, vcc, 0, v6, vcc
	v_add_u32_e32 v48, v47, v1
	v_add_u32_e32 v49, 64, v37
	v_or_b32_e32 v50, 0x80, v37
	v_add_u32_e32 v51, -4, v44
	v_mov_b32_e32 v52, 12
	v_mov_b32_e32 v1, 0
	s_branch .LBB117_2
.LBB117_1:                              ;   in Loop: Header=BB117_2 Depth=1
	v_lshrrev_b32_e32 v7, 2, v55
	v_and_b32_e32 v7, 0x3ffffff8, v7
	v_lshl_add_u32 v21, v55, 3, v7
	v_lshrrev_b32_e32 v7, 2, v54
	v_and_b32_e32 v7, 0x3ffffff8, v7
	s_barrier
	ds_write_b64 v21, v[19:20]
	v_lshl_add_u32 v19, v54, 3, v7
	v_lshrrev_b32_e32 v7, 2, v53
	v_and_b32_e32 v7, 0x3ffffff8, v7
	v_lshl_add_u32 v20, v53, 3, v7
	ds_write_b64 v19, v[9:10]
	ds_write_b64 v20, v[5:6]
	v_lshrrev_b32_e32 v5, 2, v2
	v_and_b32_e32 v5, 0x3ffffff8, v5
	v_lshl_add_u32 v2, v2, 3, v5
	ds_write_b64 v2, v[3:4]
	s_waitcnt lgkmcnt(0)
	s_barrier
	ds_read2_b64 v[7:10], v46 offset1:1
	ds_read2_b64 v[3:6], v46 offset0:2 offset1:3
	s_waitcnt lgkmcnt(0)
	s_barrier
	ds_write_b64 v21, v[17:18]
	ds_write_b64 v19, v[15:16]
	;; [unrolled: 1-line block ×4, first 2 shown]
	s_waitcnt lgkmcnt(0)
	s_barrier
	ds_read2_b64 v[15:18], v46 offset1:1
	ds_read2_b64 v[11:14], v46 offset0:2 offset1:3
	s_add_i32 s43, s43, 1
	v_xor_b32_e32 v8, 0x80000000, v8
	v_xor_b32_e32 v10, 0x80000000, v10
	;; [unrolled: 1-line block ×3, first 2 shown]
	s_cmp_lg_u32 s43, 10
	v_xor_b32_e32 v6, 0x80000000, v6
	s_cbranch_scc0 .LBB117_20
.LBB117_2:                              ; =>This Loop Header: Depth=1
                                        ;     Child Loop BB117_4 Depth 2
	v_xor_b32_e32 v2, 0x80000000, v8
	ds_bpermute_b32 v8, v37, v7
	ds_bpermute_b32 v20, v37, v9
	;; [unrolled: 1-line block ×3, first 2 shown]
	v_xor_b32_e32 v10, 0x80000000, v10
	ds_bpermute_b32 v21, v37, v10
	s_waitcnt lgkmcnt(3)
	v_cndmask_b32_e64 v8, 0, v8, s[16:17]
	v_xor_b32_e32 v4, 0x80000000, v4
	ds_bpermute_b32 v23, v37, v3
	ds_bpermute_b32 v22, v37, v4
	s_waitcnt lgkmcnt(4)
	v_cndmask_b32_e64 v8, v8, v20, s[14:15]
	ds_bpermute_b32 v20, v37, v5
	s_waitcnt lgkmcnt(4)
	v_cndmask_b32_e64 v19, 0, v19, s[16:17]
	s_waitcnt lgkmcnt(3)
	v_cndmask_b32_e64 v19, v19, v21, s[14:15]
	;; [unrolled: 2-line block ×3, first 2 shown]
	v_xor_b32_e32 v6, 0x80000000, v6
	s_waitcnt lgkmcnt(1)
	v_cndmask_b32_e64 v19, v19, v22, s[12:13]
	ds_bpermute_b32 v22, v37, v6
	s_waitcnt lgkmcnt(1)
	v_cndmask_b32_e64 v21, v8, v20, s[10:11]
	ds_bpermute_b32 v20, v49, v7
	ds_bpermute_b32 v23, v49, v9
	;; [unrolled: 1-line block ×4, first 2 shown]
	s_waitcnt lgkmcnt(4)
	v_cndmask_b32_e64 v22, v19, v22, s[10:11]
	s_waitcnt lgkmcnt(3)
	v_cndmask_b32_e64 v19, 0, v20, s[16:17]
	;; [unrolled: 2-line block ×3, first 2 shown]
	ds_bpermute_b32 v20, v49, v4
	ds_bpermute_b32 v23, v49, v3
	s_waitcnt lgkmcnt(3)
	v_cndmask_b32_e64 v8, 0, v8, s[16:17]
	ds_bpermute_b32 v25, v49, v5
	s_waitcnt lgkmcnt(3)
	v_cndmask_b32_e64 v8, v8, v24, s[14:15]
	;; [unrolled: 3-line block ×3, first 2 shown]
	s_waitcnt lgkmcnt(2)
	v_cndmask_b32_e64 v19, v19, v23, s[12:13]
	ds_bpermute_b32 v20, v50, v7
	s_waitcnt lgkmcnt(2)
	v_cndmask_b32_e64 v23, v19, v25, s[10:11]
	ds_bpermute_b32 v19, v50, v2
	ds_bpermute_b32 v25, v50, v9
	s_waitcnt lgkmcnt(3)
	v_cndmask_b32_e64 v24, v8, v24, s[10:11]
	ds_bpermute_b32 v8, v50, v10
	s_waitcnt lgkmcnt(3)
	v_cndmask_b32_e64 v20, 0, v20, s[16:17]
	s_waitcnt lgkmcnt(2)
	v_cndmask_b32_e64 v19, 0, v19, s[16:17]
	;; [unrolled: 2-line block ×3, first 2 shown]
	ds_bpermute_b32 v25, v50, v4
	ds_bpermute_b32 v26, v50, v3
	s_waitcnt lgkmcnt(2)
	v_cndmask_b32_e64 v8, v19, v8, s[14:15]
	ds_bpermute_b32 v19, v50, v6
	ds_bpermute_b32 v2, v39, v2
	s_waitcnt lgkmcnt(3)
	v_cndmask_b32_e64 v8, v8, v25, s[12:13]
	s_waitcnt lgkmcnt(2)
	v_cndmask_b32_e64 v20, v20, v26, s[12:13]
	ds_bpermute_b32 v4, v39, v4
	s_waitcnt lgkmcnt(2)
	v_cndmask_b32_e64 v26, v8, v19, s[10:11]
	ds_bpermute_b32 v8, v39, v9
	ds_bpermute_b32 v9, v39, v10
	;; [unrolled: 1-line block ×3, first 2 shown]
	s_waitcnt lgkmcnt(4)
	v_cndmask_b32_e64 v2, 0, v2, s[16:17]
	ds_bpermute_b32 v3, v39, v3
	ds_bpermute_b32 v27, v50, v5
	s_waitcnt lgkmcnt(3)
	v_cndmask_b32_e64 v2, v2, v9, s[14:15]
	v_cndmask_b32_e64 v2, v2, v4, s[12:13]
	ds_bpermute_b32 v4, v39, v5
	ds_bpermute_b32 v5, v39, v6
	s_waitcnt lgkmcnt(4)
	v_cndmask_b32_e64 v7, 0, v7, s[16:17]
	v_cndmask_b32_e64 v7, v7, v8, s[14:15]
	s_waitcnt lgkmcnt(3)
	v_cndmask_b32_e64 v3, v7, v3, s[12:13]
	ds_bpermute_b32 v7, v37, v16
	s_waitcnt lgkmcnt(3)
	v_cndmask_b32_e64 v25, v20, v27, s[10:11]
	ds_bpermute_b32 v6, v37, v15
	;; [unrolled: 3-line block ×8, first 2 shown]
	s_waitcnt lgkmcnt(3)
	v_cndmask_b32_e64 v3, v3, v7, s[12:13]
	s_waitcnt lgkmcnt(2)
	v_cndmask_b32_e64 v2, v2, v6, s[12:13]
	;; [unrolled: 2-line block ×3, first 2 shown]
	ds_bpermute_b32 v3, v49, v15
	s_waitcnt lgkmcnt(1)
	v_cndmask_b32_e64 v29, v2, v5, s[10:11]
	ds_bpermute_b32 v2, v49, v17
	ds_bpermute_b32 v4, v49, v16
	;; [unrolled: 1-line block ×4, first 2 shown]
	s_waitcnt lgkmcnt(4)
	v_cndmask_b32_e64 v3, 0, v3, s[16:17]
	ds_bpermute_b32 v7, v49, v13
	s_waitcnt lgkmcnt(4)
	v_cndmask_b32_e64 v2, v3, v2, s[14:15]
	ds_bpermute_b32 v3, v49, v12
	s_waitcnt lgkmcnt(4)
	v_cndmask_b32_e64 v4, 0, v4, s[16:17]
	s_waitcnt lgkmcnt(3)
	v_cndmask_b32_e64 v2, v2, v5, s[12:13]
	;; [unrolled: 2-line block ×3, first 2 shown]
	ds_bpermute_b32 v6, v49, v14
	ds_bpermute_b32 v5, v50, v15
	s_waitcnt lgkmcnt(3)
	v_cndmask_b32_e64 v31, v2, v7, s[10:11]
	ds_bpermute_b32 v2, v50, v16
	s_waitcnt lgkmcnt(3)
	v_cndmask_b32_e64 v3, v4, v3, s[12:13]
	;; [unrolled: 3-line block ×3, first 2 shown]
	s_waitcnt lgkmcnt(2)
	v_cndmask_b32_e64 v3, 0, v5, s[16:17]
	ds_bpermute_b32 v5, v50, v17
	s_waitcnt lgkmcnt(2)
	v_cndmask_b32_e64 v2, 0, v2, s[16:17]
	ds_bpermute_b32 v7, v50, v12
	ds_bpermute_b32 v6, v50, v11
	s_waitcnt lgkmcnt(3)
	v_cndmask_b32_e64 v2, v2, v4, s[14:15]
	ds_bpermute_b32 v4, v50, v14
	s_waitcnt lgkmcnt(3)
	v_cndmask_b32_e64 v3, v3, v5, s[14:15]
	s_waitcnt lgkmcnt(2)
	v_cndmask_b32_e64 v2, v2, v7, s[12:13]
	ds_bpermute_b32 v5, v50, v13
	ds_bpermute_b32 v7, v39, v16
	s_waitcnt lgkmcnt(3)
	v_cndmask_b32_e64 v3, v3, v6, s[12:13]
	ds_bpermute_b32 v6, v39, v15
	s_waitcnt lgkmcnt(3)
	v_cndmask_b32_e64 v34, v2, v4, s[10:11]
	ds_bpermute_b32 v2, v39, v18
	s_waitcnt lgkmcnt(3)
	v_cndmask_b32_e64 v33, v3, v5, s[10:11]
	s_waitcnt lgkmcnt(2)
	v_cndmask_b32_e64 v4, 0, v7, s[16:17]
	ds_bpermute_b32 v5, v39, v17
	s_waitcnt lgkmcnt(2)
	v_cndmask_b32_e64 v3, 0, v6, s[16:17]
	s_waitcnt lgkmcnt(1)
	v_cndmask_b32_e64 v2, v4, v2, s[14:15]
	ds_bpermute_b32 v4, v39, v11
	ds_bpermute_b32 v6, v39, v12
	;; [unrolled: 1-line block ×4, first 2 shown]
	s_waitcnt lgkmcnt(4)
	v_cndmask_b32_e64 v3, v3, v5, s[14:15]
	s_waitcnt lgkmcnt(3)
	v_cndmask_b32_e64 v3, v3, v4, s[12:13]
	;; [unrolled: 2-line block ×5, first 2 shown]
	v_mov_b32_e32 v7, 0
	v_mov_b32_e32 v8, 0
	s_barrier
	s_branch .LBB117_4
.LBB117_3:                              ;   in Loop: Header=BB117_4 Depth=2
	s_andn2_b64 vcc, exec, s[34:35]
	s_cbranch_vccz .LBB117_1
.LBB117_4:                              ;   Parent Loop BB117_2 Depth=1
                                        ; =>  This Inner Loop Header: Depth=2
	v_mov_b32_e32 v19, v21
	v_mov_b32_e32 v20, v22
	v_lshrrev_b64 v[21:22], v7, v[19:20]
	v_mov_b32_e32 v9, v23
	v_and_b32_e32 v2, 1, v21
	v_add_co_u32_e32 v22, vcc, -1, v2
	v_mov_b32_e32 v10, v24
	v_addc_co_u32_e64 v24, s[34:35], 0, -1, vcc
	v_cmp_ne_u32_e32 vcc, 0, v2
	v_xor_b32_e32 v2, vcc_hi, v24
	v_and_b32_e32 v24, exec_hi, v2
	v_lshlrev_b32_e32 v2, 30, v21
	v_xor_b32_e32 v22, vcc_lo, v22
	v_cmp_gt_i64_e32 vcc, 0, v[1:2]
	v_not_b32_e32 v2, v2
	v_mov_b32_e32 v5, v25
	v_ashrrev_i32_e32 v2, 31, v2
	v_mov_b32_e32 v6, v26
	v_and_b32_e32 v22, exec_lo, v22
	v_xor_b32_e32 v25, vcc_hi, v2
	v_xor_b32_e32 v2, vcc_lo, v2
	v_and_b32_e32 v22, v22, v2
	v_lshlrev_b32_e32 v2, 29, v21
	v_cmp_gt_i64_e32 vcc, 0, v[1:2]
	v_not_b32_e32 v2, v2
	v_ashrrev_i32_e32 v2, 31, v2
	v_and_b32_e32 v24, v24, v25
	v_xor_b32_e32 v25, vcc_hi, v2
	v_xor_b32_e32 v2, vcc_lo, v2
	v_and_b32_e32 v22, v22, v2
	v_lshlrev_b32_e32 v2, 28, v21
	v_cmp_gt_i64_e32 vcc, 0, v[1:2]
	v_not_b32_e32 v2, v2
	v_ashrrev_i32_e32 v2, 31, v2
	v_and_b32_e32 v24, v24, v25
	;; [unrolled: 8-line block ×5, first 2 shown]
	v_xor_b32_e32 v25, vcc_hi, v2
	v_xor_b32_e32 v2, vcc_lo, v2
	v_and_b32_e32 v24, v24, v25
	v_and_b32_e32 v25, v22, v2
	v_lshlrev_b32_e32 v2, 24, v21
	v_cmp_gt_i64_e32 vcc, 0, v[1:2]
	v_not_b32_e32 v2, v2
	v_ashrrev_i32_e32 v2, 31, v2
	v_mul_u32_u24_sdwa v23, v21, v52 dst_sel:DWORD dst_unused:UNUSED_PAD src0_sel:BYTE_0 src1_sel:DWORD
	v_xor_b32_e32 v21, vcc_hi, v2
	v_xor_b32_e32 v2, vcc_lo, v2
	v_and_b32_e32 v22, v24, v21
	v_and_b32_e32 v21, v25, v2
	v_mbcnt_lo_u32_b32 v2, v21, 0
	v_mbcnt_hi_u32_b32 v25, v22, v2
	v_cmp_ne_u64_e32 vcc, 0, v[21:22]
	v_mov_b32_e32 v3, v27
	v_mov_b32_e32 v17, v29
	v_mov_b32_e32 v15, v31
	v_mov_b32_e32 v13, v33
	v_mov_b32_e32 v11, v35
	v_cmp_eq_u32_e64 s[34:35], 0, v25
	v_mov_b32_e32 v4, v28
	v_mov_b32_e32 v18, v30
	;; [unrolled: 1-line block ×5, first 2 shown]
	s_and_b64 s[36:37], vcc, s[34:35]
	v_add_u32_e32 v26, v45, v23
	ds_write2_b32 v47, v1, v1 offset0:3 offset1:4
	ds_write2_b32 v47, v1, v1 offset0:5 offset1:6
	s_waitcnt lgkmcnt(0)
	s_barrier
	; wave barrier
	s_and_saveexec_b64 s[34:35], s[36:37]
; %bb.5:                                ;   in Loop: Header=BB117_4 Depth=2
	v_bcnt_u32_b32 v2, v21, 0
	v_bcnt_u32_b32 v2, v22, v2
	ds_write_b32 v26, v2 offset:12
; %bb.6:                                ;   in Loop: Header=BB117_4 Depth=2
	s_or_b64 exec, exec, s[34:35]
	v_lshrrev_b64 v[21:22], v7, v[9:10]
	v_and_b32_e32 v2, 0xff, v21
	v_mul_u32_u24_e32 v23, 12, v2
	v_mad_u32_u24 v2, v2, 12, v45
	; wave barrier
	ds_read_b32 v27, v2 offset:12
	v_and_b32_e32 v2, 1, v21
	v_add_co_u32_e32 v22, vcc, -1, v2
	v_addc_co_u32_e64 v24, s[34:35], 0, -1, vcc
	v_cmp_ne_u32_e32 vcc, 0, v2
	v_xor_b32_e32 v2, vcc_hi, v24
	v_and_b32_e32 v24, exec_hi, v2
	v_lshlrev_b32_e32 v2, 30, v21
	v_xor_b32_e32 v22, vcc_lo, v22
	v_cmp_gt_i64_e32 vcc, 0, v[1:2]
	v_not_b32_e32 v2, v2
	v_ashrrev_i32_e32 v2, 31, v2
	v_and_b32_e32 v22, exec_lo, v22
	v_xor_b32_e32 v28, vcc_hi, v2
	v_xor_b32_e32 v2, vcc_lo, v2
	v_and_b32_e32 v22, v22, v2
	v_lshlrev_b32_e32 v2, 29, v21
	v_cmp_gt_i64_e32 vcc, 0, v[1:2]
	v_not_b32_e32 v2, v2
	v_ashrrev_i32_e32 v2, 31, v2
	v_and_b32_e32 v24, v24, v28
	v_xor_b32_e32 v28, vcc_hi, v2
	v_xor_b32_e32 v2, vcc_lo, v2
	v_and_b32_e32 v22, v22, v2
	v_lshlrev_b32_e32 v2, 28, v21
	v_cmp_gt_i64_e32 vcc, 0, v[1:2]
	v_not_b32_e32 v2, v2
	v_ashrrev_i32_e32 v2, 31, v2
	v_and_b32_e32 v24, v24, v28
	;; [unrolled: 8-line block ×5, first 2 shown]
	v_xor_b32_e32 v28, vcc_hi, v2
	v_xor_b32_e32 v2, vcc_lo, v2
	v_and_b32_e32 v24, v24, v28
	v_and_b32_e32 v28, v22, v2
	v_lshlrev_b32_e32 v2, 24, v21
	v_cmp_gt_i64_e32 vcc, 0, v[1:2]
	v_not_b32_e32 v2, v2
	v_ashrrev_i32_e32 v2, 31, v2
	v_xor_b32_e32 v21, vcc_hi, v2
	v_xor_b32_e32 v2, vcc_lo, v2
	v_and_b32_e32 v22, v24, v21
	v_and_b32_e32 v21, v28, v2
	v_mbcnt_lo_u32_b32 v2, v21, 0
	v_mbcnt_hi_u32_b32 v28, v22, v2
	v_cmp_ne_u64_e32 vcc, 0, v[21:22]
	v_cmp_eq_u32_e64 s[34:35], 0, v28
	s_and_b64 s[36:37], vcc, s[34:35]
	v_add_u32_e32 v29, v45, v23
	; wave barrier
	s_and_saveexec_b64 s[34:35], s[36:37]
	s_cbranch_execz .LBB117_8
; %bb.7:                                ;   in Loop: Header=BB117_4 Depth=2
	v_bcnt_u32_b32 v2, v21, 0
	v_bcnt_u32_b32 v2, v22, v2
	s_waitcnt lgkmcnt(0)
	v_add_u32_e32 v2, v27, v2
	ds_write_b32 v29, v2 offset:12
.LBB117_8:                              ;   in Loop: Header=BB117_4 Depth=2
	s_or_b64 exec, exec, s[34:35]
	v_lshrrev_b64 v[21:22], v7, v[5:6]
	v_and_b32_e32 v2, 0xff, v21
	v_mul_u32_u24_e32 v23, 12, v2
	v_mad_u32_u24 v2, v2, 12, v45
	; wave barrier
	ds_read_b32 v30, v2 offset:12
	v_and_b32_e32 v2, 1, v21
	v_add_co_u32_e32 v22, vcc, -1, v2
	v_addc_co_u32_e64 v24, s[34:35], 0, -1, vcc
	v_cmp_ne_u32_e32 vcc, 0, v2
	v_xor_b32_e32 v2, vcc_hi, v24
	v_and_b32_e32 v24, exec_hi, v2
	v_lshlrev_b32_e32 v2, 30, v21
	v_xor_b32_e32 v22, vcc_lo, v22
	v_cmp_gt_i64_e32 vcc, 0, v[1:2]
	v_not_b32_e32 v2, v2
	v_ashrrev_i32_e32 v2, 31, v2
	v_and_b32_e32 v22, exec_lo, v22
	v_xor_b32_e32 v31, vcc_hi, v2
	v_xor_b32_e32 v2, vcc_lo, v2
	v_and_b32_e32 v22, v22, v2
	v_lshlrev_b32_e32 v2, 29, v21
	v_cmp_gt_i64_e32 vcc, 0, v[1:2]
	v_not_b32_e32 v2, v2
	v_ashrrev_i32_e32 v2, 31, v2
	v_and_b32_e32 v24, v24, v31
	v_xor_b32_e32 v31, vcc_hi, v2
	v_xor_b32_e32 v2, vcc_lo, v2
	v_and_b32_e32 v22, v22, v2
	v_lshlrev_b32_e32 v2, 28, v21
	v_cmp_gt_i64_e32 vcc, 0, v[1:2]
	v_not_b32_e32 v2, v2
	v_ashrrev_i32_e32 v2, 31, v2
	v_and_b32_e32 v24, v24, v31
	;; [unrolled: 8-line block ×5, first 2 shown]
	v_xor_b32_e32 v31, vcc_hi, v2
	v_xor_b32_e32 v2, vcc_lo, v2
	v_and_b32_e32 v24, v24, v31
	v_and_b32_e32 v31, v22, v2
	v_lshlrev_b32_e32 v2, 24, v21
	v_cmp_gt_i64_e32 vcc, 0, v[1:2]
	v_not_b32_e32 v2, v2
	v_ashrrev_i32_e32 v2, 31, v2
	v_xor_b32_e32 v21, vcc_hi, v2
	v_xor_b32_e32 v2, vcc_lo, v2
	v_and_b32_e32 v22, v24, v21
	v_and_b32_e32 v21, v31, v2
	v_mbcnt_lo_u32_b32 v2, v21, 0
	v_mbcnt_hi_u32_b32 v31, v22, v2
	v_cmp_ne_u64_e32 vcc, 0, v[21:22]
	v_cmp_eq_u32_e64 s[34:35], 0, v31
	s_and_b64 s[36:37], vcc, s[34:35]
	v_add_u32_e32 v32, v45, v23
	; wave barrier
	s_and_saveexec_b64 s[34:35], s[36:37]
	s_cbranch_execz .LBB117_10
; %bb.9:                                ;   in Loop: Header=BB117_4 Depth=2
	v_bcnt_u32_b32 v2, v21, 0
	v_bcnt_u32_b32 v2, v22, v2
	s_waitcnt lgkmcnt(0)
	v_add_u32_e32 v2, v30, v2
	ds_write_b32 v32, v2 offset:12
.LBB117_10:                             ;   in Loop: Header=BB117_4 Depth=2
	s_or_b64 exec, exec, s[34:35]
	v_lshrrev_b64 v[21:22], v7, v[3:4]
	v_and_b32_e32 v2, 0xff, v21
	v_mul_u32_u24_e32 v23, 12, v2
	v_mad_u32_u24 v2, v2, 12, v45
	; wave barrier
	ds_read_b32 v33, v2 offset:12
	v_and_b32_e32 v2, 1, v21
	v_add_co_u32_e32 v22, vcc, -1, v2
	v_addc_co_u32_e64 v24, s[34:35], 0, -1, vcc
	v_cmp_ne_u32_e32 vcc, 0, v2
	v_xor_b32_e32 v2, vcc_hi, v24
	v_and_b32_e32 v24, exec_hi, v2
	v_lshlrev_b32_e32 v2, 30, v21
	v_xor_b32_e32 v22, vcc_lo, v22
	v_cmp_gt_i64_e32 vcc, 0, v[1:2]
	v_not_b32_e32 v2, v2
	v_ashrrev_i32_e32 v2, 31, v2
	v_and_b32_e32 v22, exec_lo, v22
	v_xor_b32_e32 v34, vcc_hi, v2
	v_xor_b32_e32 v2, vcc_lo, v2
	v_and_b32_e32 v22, v22, v2
	v_lshlrev_b32_e32 v2, 29, v21
	v_cmp_gt_i64_e32 vcc, 0, v[1:2]
	v_not_b32_e32 v2, v2
	v_ashrrev_i32_e32 v2, 31, v2
	v_and_b32_e32 v24, v24, v34
	v_xor_b32_e32 v34, vcc_hi, v2
	v_xor_b32_e32 v2, vcc_lo, v2
	v_and_b32_e32 v22, v22, v2
	v_lshlrev_b32_e32 v2, 28, v21
	v_cmp_gt_i64_e32 vcc, 0, v[1:2]
	v_not_b32_e32 v2, v2
	v_ashrrev_i32_e32 v2, 31, v2
	v_and_b32_e32 v24, v24, v34
	;; [unrolled: 8-line block ×5, first 2 shown]
	v_xor_b32_e32 v34, vcc_hi, v2
	v_xor_b32_e32 v2, vcc_lo, v2
	v_and_b32_e32 v24, v24, v34
	v_and_b32_e32 v34, v22, v2
	v_lshlrev_b32_e32 v2, 24, v21
	v_cmp_gt_i64_e32 vcc, 0, v[1:2]
	v_not_b32_e32 v2, v2
	v_ashrrev_i32_e32 v2, 31, v2
	v_xor_b32_e32 v21, vcc_hi, v2
	v_xor_b32_e32 v2, vcc_lo, v2
	v_and_b32_e32 v22, v24, v21
	v_and_b32_e32 v21, v34, v2
	v_mbcnt_lo_u32_b32 v2, v21, 0
	v_mbcnt_hi_u32_b32 v2, v22, v2
	v_cmp_ne_u64_e32 vcc, 0, v[21:22]
	v_cmp_eq_u32_e64 s[34:35], 0, v2
	s_and_b64 s[36:37], vcc, s[34:35]
	v_add_u32_e32 v34, v45, v23
	; wave barrier
	s_and_saveexec_b64 s[34:35], s[36:37]
	s_cbranch_execz .LBB117_12
; %bb.11:                               ;   in Loop: Header=BB117_4 Depth=2
	v_bcnt_u32_b32 v21, v21, 0
	v_bcnt_u32_b32 v21, v22, v21
	s_waitcnt lgkmcnt(0)
	v_add_u32_e32 v21, v33, v21
	ds_write_b32 v34, v21 offset:12
.LBB117_12:                             ;   in Loop: Header=BB117_4 Depth=2
	s_or_b64 exec, exec, s[34:35]
	; wave barrier
	s_waitcnt lgkmcnt(0)
	s_barrier
	ds_read2_b32 v[23:24], v47 offset0:3 offset1:4
	ds_read2_b32 v[21:22], v47 offset0:5 offset1:6
	s_waitcnt lgkmcnt(1)
	v_add_u32_e32 v35, v24, v23
	s_waitcnt lgkmcnt(0)
	v_add3_u32 v22, v35, v21, v22
	s_nop 1
	v_mov_b32_dpp v35, v22 row_shr:1 row_mask:0xf bank_mask:0xf
	v_cndmask_b32_e64 v35, v35, 0, s[18:19]
	v_add_u32_e32 v22, v35, v22
	s_nop 1
	v_mov_b32_dpp v35, v22 row_shr:2 row_mask:0xf bank_mask:0xf
	v_cndmask_b32_e64 v35, 0, v35, s[20:21]
	v_add_u32_e32 v22, v22, v35
	;; [unrolled: 4-line block ×4, first 2 shown]
	s_nop 1
	v_mov_b32_dpp v35, v22 row_bcast:15 row_mask:0xf bank_mask:0xf
	v_cndmask_b32_e64 v35, v35, 0, s[26:27]
	v_add_u32_e32 v22, v22, v35
	s_nop 1
	v_mov_b32_dpp v35, v22 row_bcast:31 row_mask:0xf bank_mask:0xf
	v_cndmask_b32_e64 v35, 0, v35, s[6:7]
	v_add_u32_e32 v22, v22, v35
	s_and_saveexec_b64 s[34:35], s[30:31]
; %bb.13:                               ;   in Loop: Header=BB117_4 Depth=2
	ds_write_b32 v44, v22
; %bb.14:                               ;   in Loop: Header=BB117_4 Depth=2
	s_or_b64 exec, exec, s[34:35]
	s_waitcnt lgkmcnt(0)
	s_barrier
	s_and_saveexec_b64 s[34:35], s[0:1]
	s_cbranch_execz .LBB117_16
; %bb.15:                               ;   in Loop: Header=BB117_4 Depth=2
	ds_read_b32 v35, v48
	s_waitcnt lgkmcnt(0)
	s_nop 0
	v_mov_b32_dpp v36, v35 row_shr:1 row_mask:0xf bank_mask:0xf
	v_cndmask_b32_e64 v36, v36, 0, s[16:17]
	v_add_u32_e32 v35, v36, v35
	s_nop 1
	v_mov_b32_dpp v36, v35 row_shr:2 row_mask:0xf bank_mask:0xf
	v_cndmask_b32_e64 v36, 0, v36, s[28:29]
	v_add_u32_e32 v35, v35, v36
	ds_write_b32 v48, v35
.LBB117_16:                             ;   in Loop: Header=BB117_4 Depth=2
	s_or_b64 exec, exec, s[34:35]
	v_mov_b32_e32 v35, 0
	s_waitcnt lgkmcnt(0)
	s_barrier
	s_and_saveexec_b64 s[34:35], s[2:3]
; %bb.17:                               ;   in Loop: Header=BB117_4 Depth=2
	ds_read_b32 v35, v51
; %bb.18:                               ;   in Loop: Header=BB117_4 Depth=2
	s_or_b64 exec, exec, s[34:35]
	s_waitcnt lgkmcnt(0)
	v_add_u32_e32 v22, v35, v22
	ds_bpermute_b32 v22, v38, v22
	v_cmp_lt_u32_e32 vcc, 55, v7
	s_and_b64 vcc, exec, vcc
	s_mov_b64 s[34:35], -1
	s_waitcnt lgkmcnt(0)
	v_cndmask_b32_e64 v22, v22, v35, s[8:9]
	v_cndmask_b32_e64 v22, v22, 0, s[4:5]
	v_add_u32_e32 v23, v22, v23
	v_add_u32_e32 v24, v23, v24
	;; [unrolled: 1-line block ×3, first 2 shown]
	ds_write2_b32 v47, v22, v23 offset0:3 offset1:4
	ds_write2_b32 v47, v24, v21 offset0:5 offset1:6
	s_waitcnt lgkmcnt(0)
	s_barrier
	ds_read_b32 v21, v26 offset:12
	ds_read_b32 v22, v29 offset:12
	;; [unrolled: 1-line block ×4, first 2 shown]
                                        ; implicit-def: $vgpr35_vgpr36
	s_waitcnt lgkmcnt(3)
	v_add_u32_e32 v55, v21, v25
	s_waitcnt lgkmcnt(2)
	v_add3_u32 v54, v28, v27, v22
	s_waitcnt lgkmcnt(1)
	v_add3_u32 v53, v31, v30, v23
	;; [unrolled: 2-line block ×3, first 2 shown]
                                        ; implicit-def: $vgpr27_vgpr28
                                        ; implicit-def: $vgpr25_vgpr26
                                        ; implicit-def: $vgpr23_vgpr24
                                        ; implicit-def: $vgpr21_vgpr22
                                        ; implicit-def: $vgpr29_vgpr30
                                        ; implicit-def: $vgpr31_vgpr32
                                        ; implicit-def: $vgpr33_vgpr34
	s_cbranch_vccnz .LBB117_3
; %bb.19:                               ;   in Loop: Header=BB117_4 Depth=2
	v_lshrrev_b32_e32 v21, 2, v55
	v_and_b32_e32 v21, 0x3ffffff8, v21
	v_lshl_add_u32 v29, v55, 3, v21
	v_lshrrev_b32_e32 v21, 2, v54
	v_and_b32_e32 v21, 0x3ffffff8, v21
	v_lshl_add_u32 v30, v54, 3, v21
	;; [unrolled: 3-line block ×4, first 2 shown]
	s_barrier
	ds_write_b64 v29, v[19:20]
	ds_write_b64 v30, v[9:10]
	;; [unrolled: 1-line block ×4, first 2 shown]
	s_waitcnt lgkmcnt(0)
	s_barrier
	ds_read_b64 v[21:22], v40
	ds_read_b64 v[23:24], v41 offset:512
	ds_read_b64 v[25:26], v42 offset:1024
	;; [unrolled: 1-line block ×3, first 2 shown]
	s_waitcnt lgkmcnt(0)
	s_barrier
	ds_write_b64 v29, v[17:18]
	ds_write_b64 v30, v[15:16]
	;; [unrolled: 1-line block ×4, first 2 shown]
	s_waitcnt lgkmcnt(0)
	s_barrier
	ds_read_b64 v[29:30], v40
	ds_read_b64 v[31:32], v41 offset:512
	ds_read_b64 v[33:34], v42 offset:1024
	;; [unrolled: 1-line block ×3, first 2 shown]
	v_add_co_u32_e32 v7, vcc, 8, v7
	v_addc_co_u32_e32 v8, vcc, 0, v8, vcc
	s_mov_b64 s[34:35], 0
	s_waitcnt lgkmcnt(0)
	s_barrier
	s_branch .LBB117_3
.LBB117_20:
	s_waitcnt lgkmcnt(1)
	v_add_co_u32_e32 v1, vcc, v15, v7
	v_addc_co_u32_e32 v2, vcc, v16, v8, vcc
	v_add_co_u32_e32 v7, vcc, v17, v9
	v_addc_co_u32_e32 v8, vcc, v18, v10, vcc
	s_waitcnt lgkmcnt(0)
	v_add_co_u32_e32 v3, vcc, v11, v3
	v_addc_co_u32_e32 v4, vcc, v12, v4, vcc
	v_add_co_u32_e32 v5, vcc, v13, v5
	s_add_u32 s0, s38, s40
	v_addc_co_u32_e32 v6, vcc, v14, v6, vcc
	s_addc_u32 s1, s39, s41
	v_lshlrev_b32_e32 v0, 3, v0
	v_mov_b32_e32 v9, s1
	v_add_co_u32_e32 v10, vcc, s0, v0
	v_addc_co_u32_e32 v9, vcc, 0, v9, vcc
	global_store_dwordx2 v0, v[1:2], s[0:1]
	global_store_dwordx2 v0, v[7:8], s[0:1] offset:1536
	global_store_dwordx2 v0, v[3:4], s[0:1] offset:3072
	v_add_co_u32_e32 v0, vcc, 0x1000, v10
	v_addc_co_u32_e32 v1, vcc, 0, v9, vcc
	global_store_dwordx2 v[0:1], v[5:6], off offset:512
	s_endpgm
	.section	.rodata,"a",@progbits
	.p2align	6, 0x0
	.amdhsa_kernel _Z17sort_pairs_kernelI22helper_blocked_blockedxLj192ELj4ELj10EEvPKT0_PS1_
		.amdhsa_group_segment_fixed_size 6336
		.amdhsa_private_segment_fixed_size 0
		.amdhsa_kernarg_size 272
		.amdhsa_user_sgpr_count 6
		.amdhsa_user_sgpr_private_segment_buffer 1
		.amdhsa_user_sgpr_dispatch_ptr 0
		.amdhsa_user_sgpr_queue_ptr 0
		.amdhsa_user_sgpr_kernarg_segment_ptr 1
		.amdhsa_user_sgpr_dispatch_id 0
		.amdhsa_user_sgpr_flat_scratch_init 0
		.amdhsa_user_sgpr_private_segment_size 0
		.amdhsa_uses_dynamic_stack 0
		.amdhsa_system_sgpr_private_segment_wavefront_offset 0
		.amdhsa_system_sgpr_workgroup_id_x 1
		.amdhsa_system_sgpr_workgroup_id_y 0
		.amdhsa_system_sgpr_workgroup_id_z 0
		.amdhsa_system_sgpr_workgroup_info 0
		.amdhsa_system_vgpr_workitem_id 2
		.amdhsa_next_free_vgpr 56
		.amdhsa_next_free_sgpr 61
		.amdhsa_reserve_vcc 1
		.amdhsa_reserve_flat_scratch 0
		.amdhsa_float_round_mode_32 0
		.amdhsa_float_round_mode_16_64 0
		.amdhsa_float_denorm_mode_32 3
		.amdhsa_float_denorm_mode_16_64 3
		.amdhsa_dx10_clamp 1
		.amdhsa_ieee_mode 1
		.amdhsa_fp16_overflow 0
		.amdhsa_exception_fp_ieee_invalid_op 0
		.amdhsa_exception_fp_denorm_src 0
		.amdhsa_exception_fp_ieee_div_zero 0
		.amdhsa_exception_fp_ieee_overflow 0
		.amdhsa_exception_fp_ieee_underflow 0
		.amdhsa_exception_fp_ieee_inexact 0
		.amdhsa_exception_int_div_zero 0
	.end_amdhsa_kernel
	.section	.text._Z17sort_pairs_kernelI22helper_blocked_blockedxLj192ELj4ELj10EEvPKT0_PS1_,"axG",@progbits,_Z17sort_pairs_kernelI22helper_blocked_blockedxLj192ELj4ELj10EEvPKT0_PS1_,comdat
.Lfunc_end117:
	.size	_Z17sort_pairs_kernelI22helper_blocked_blockedxLj192ELj4ELj10EEvPKT0_PS1_, .Lfunc_end117-_Z17sort_pairs_kernelI22helper_blocked_blockedxLj192ELj4ELj10EEvPKT0_PS1_
                                        ; -- End function
	.set _Z17sort_pairs_kernelI22helper_blocked_blockedxLj192ELj4ELj10EEvPKT0_PS1_.num_vgpr, 56
	.set _Z17sort_pairs_kernelI22helper_blocked_blockedxLj192ELj4ELj10EEvPKT0_PS1_.num_agpr, 0
	.set _Z17sort_pairs_kernelI22helper_blocked_blockedxLj192ELj4ELj10EEvPKT0_PS1_.numbered_sgpr, 44
	.set _Z17sort_pairs_kernelI22helper_blocked_blockedxLj192ELj4ELj10EEvPKT0_PS1_.num_named_barrier, 0
	.set _Z17sort_pairs_kernelI22helper_blocked_blockedxLj192ELj4ELj10EEvPKT0_PS1_.private_seg_size, 0
	.set _Z17sort_pairs_kernelI22helper_blocked_blockedxLj192ELj4ELj10EEvPKT0_PS1_.uses_vcc, 1
	.set _Z17sort_pairs_kernelI22helper_blocked_blockedxLj192ELj4ELj10EEvPKT0_PS1_.uses_flat_scratch, 0
	.set _Z17sort_pairs_kernelI22helper_blocked_blockedxLj192ELj4ELj10EEvPKT0_PS1_.has_dyn_sized_stack, 0
	.set _Z17sort_pairs_kernelI22helper_blocked_blockedxLj192ELj4ELj10EEvPKT0_PS1_.has_recursion, 0
	.set _Z17sort_pairs_kernelI22helper_blocked_blockedxLj192ELj4ELj10EEvPKT0_PS1_.has_indirect_call, 0
	.section	.AMDGPU.csdata,"",@progbits
; Kernel info:
; codeLenInByte = 4572
; TotalNumSgprs: 48
; NumVgprs: 56
; ScratchSize: 0
; MemoryBound: 0
; FloatMode: 240
; IeeeMode: 1
; LDSByteSize: 6336 bytes/workgroup (compile time only)
; SGPRBlocks: 8
; VGPRBlocks: 13
; NumSGPRsForWavesPerEU: 65
; NumVGPRsForWavesPerEU: 56
; Occupancy: 4
; WaveLimiterHint : 1
; COMPUTE_PGM_RSRC2:SCRATCH_EN: 0
; COMPUTE_PGM_RSRC2:USER_SGPR: 6
; COMPUTE_PGM_RSRC2:TRAP_HANDLER: 0
; COMPUTE_PGM_RSRC2:TGID_X_EN: 1
; COMPUTE_PGM_RSRC2:TGID_Y_EN: 0
; COMPUTE_PGM_RSRC2:TGID_Z_EN: 0
; COMPUTE_PGM_RSRC2:TIDIG_COMP_CNT: 2
	.section	.text._Z16sort_keys_kernelI22helper_blocked_blockedxLj192ELj8ELj10EEvPKT0_PS1_,"axG",@progbits,_Z16sort_keys_kernelI22helper_blocked_blockedxLj192ELj8ELj10EEvPKT0_PS1_,comdat
	.protected	_Z16sort_keys_kernelI22helper_blocked_blockedxLj192ELj8ELj10EEvPKT0_PS1_ ; -- Begin function _Z16sort_keys_kernelI22helper_blocked_blockedxLj192ELj8ELj10EEvPKT0_PS1_
	.globl	_Z16sort_keys_kernelI22helper_blocked_blockedxLj192ELj8ELj10EEvPKT0_PS1_
	.p2align	8
	.type	_Z16sort_keys_kernelI22helper_blocked_blockedxLj192ELj8ELj10EEvPKT0_PS1_,@function
_Z16sort_keys_kernelI22helper_blocked_blockedxLj192ELj8ELj10EEvPKT0_PS1_: ; @_Z16sort_keys_kernelI22helper_blocked_blockedxLj192ELj8ELj10EEvPKT0_PS1_
; %bb.0:
	s_load_dwordx4 s[28:31], s[4:5], 0x0
	s_load_dword s2, s[4:5], 0x1c
	s_mul_i32 s34, s6, 0x600
	s_mov_b32 s35, 0
	s_lshl_b64 s[36:37], s[34:35], 3
	s_waitcnt lgkmcnt(0)
	s_add_u32 s0, s28, s36
	s_addc_u32 s1, s29, s37
	v_lshlrev_b32_e32 v24, 3, v0
	v_mov_b32_e32 v3, s1
	v_add_co_u32_e32 v4, vcc, s0, v24
	v_addc_co_u32_e32 v3, vcc, 0, v3, vcc
	s_movk_i32 s4, 0x1000
	v_add_co_u32_e32 v20, vcc, s4, v4
	v_addc_co_u32_e32 v21, vcc, 0, v3, vcc
	global_load_dwordx2 v[15:16], v24, s[0:1]
	global_load_dwordx2 v[17:18], v24, s[0:1] offset:1536
	global_load_dwordx2 v[7:8], v24, s[0:1] offset:3072
	global_load_dwordx2 v[9:10], v[20:21], off offset:512
	s_movk_i32 s0, 0x2000
	v_add_co_u32_e32 v22, vcc, s0, v4
	v_addc_co_u32_e32 v23, vcc, 0, v3, vcc
	global_load_dwordx2 v[11:12], v[20:21], off offset:2048
	global_load_dwordx2 v[13:14], v[20:21], off offset:3584
	;; [unrolled: 1-line block ×4, first 2 shown]
	v_mbcnt_lo_u32_b32 v20, -1, 0
	v_mbcnt_hi_u32_b32 v20, -1, v20
	v_and_b32_e32 v21, 0xc0, v0
	v_add_u32_e32 v22, v20, v21
	v_lshlrev_b32_e32 v23, 1, v22
	s_movk_i32 s3, 0x600
	v_and_b32_e32 v23, 0x3f8, v23
	v_lshl_add_u32 v36, v22, 6, v23
	v_and_or_b32 v22, v24, s3, v20
	v_lshrrev_b32_e32 v23, 2, v22
	v_and_b32_e32 v23, 0x198, v23
	v_lshlrev_b32_e32 v24, 3, v22
	v_add_u32_e32 v37, v23, v24
	v_add_u32_e32 v23, 64, v22
	v_lshrrev_b32_e32 v23, 2, v23
	v_and_b32_e32 v23, 0x1b8, v23
	v_add_u32_e32 v38, v23, v24
	v_or_b32_e32 v23, 0x80, v22
	v_lshrrev_b32_e32 v23, 2, v23
	v_and_b32_e32 v23, 0x1b8, v23
	v_add_u32_e32 v39, v23, v24
	v_add_u32_e32 v23, 0xc0, v22
	s_lshr_b32 s0, s2, 16
	v_lshrrev_b32_e32 v23, 2, v23
	s_and_b32 s1, s2, 0xffff
	v_mad_u32_u24 v1, v2, s0, v1
	v_and_b32_e32 v23, 0x1f8, v23
	v_mad_u64_u32 v[1:2], s[0:1], v1, s1, v[0:1]
	v_add_u32_e32 v40, v23, v24
	v_or_b32_e32 v23, 0x100, v22
	v_and_b32_e32 v2, 15, v20
	v_lshrrev_b32_e32 v23, 2, v23
	v_cmp_eq_u32_e64 s[0:1], 0, v2
	v_cmp_lt_u32_e64 s[2:3], 1, v2
	v_cmp_lt_u32_e64 s[4:5], 3, v2
	;; [unrolled: 1-line block ×3, first 2 shown]
	v_and_b32_e32 v2, 16, v20
	v_and_b32_e32 v23, 0x1d8, v23
	v_cmp_eq_u32_e64 s[8:9], 0, v2
	v_min_u32_e32 v2, 0x80, v21
	v_add_u32_e32 v41, v23, v24
	v_add_u32_e32 v23, 0x140, v22
	v_or_b32_e32 v2, 63, v2
	v_lshrrev_b32_e32 v23, 2, v23
	v_cmp_eq_u32_e64 s[12:13], v0, v2
	v_subrev_co_u32_e64 v2, s[18:19], 1, v20
	v_and_b32_e32 v21, 64, v20
	v_and_b32_e32 v23, 0x1f8, v23
	v_cmp_lt_i32_e32 vcc, v2, v21
	v_add_u32_e32 v42, v23, v24
	v_or_b32_e32 v23, 0x180, v22
	v_add_u32_e32 v22, 0x1c0, v22
	v_cndmask_b32_e32 v2, v2, v20, vcc
	v_lshrrev_b32_e32 v1, 4, v1
	v_lshrrev_b32_e32 v23, 2, v23
	;; [unrolled: 1-line block ×3, first 2 shown]
	v_lshlrev_b32_e32 v46, 2, v2
	v_lshrrev_b32_e32 v2, 4, v0
	v_and_b32_e32 v49, 0xffffffc, v1
	v_lshlrev_b32_e32 v1, 1, v0
	v_and_b32_e32 v23, 0x1f8, v23
	v_and_b32_e32 v22, 0x3f8, v22
	v_lshlrev_b32_e32 v45, 4, v0
	v_cmp_lt_u32_e64 s[10:11], 31, v20
	v_and_b32_e32 v47, 12, v2
	v_mul_i32_i24_e32 v2, -12, v0
	v_and_b32_e32 v20, 3, v20
	v_and_b32_e32 v1, 0x1f8, v1
	v_mov_b32_e32 v19, 0
	v_add_u32_e32 v43, v23, v24
	v_add_u32_e32 v44, v22, v24
	v_cmp_gt_u32_e64 s[14:15], 3, v0
	v_cmp_lt_u32_e64 s[16:17], 63, v0
	v_cmp_eq_u32_e64 s[20:21], 0, v0
	v_cmp_eq_u32_e64 s[22:23], 0, v20
	v_cmp_lt_u32_e64 s[24:25], 1, v20
	v_add_u32_e32 v48, -4, v47
	v_lshl_add_u32 v50, v0, 6, v1
	v_add_u32_e32 v51, v45, v2
	v_mov_b32_e32 v52, 12
	s_branch .LBB118_2
.LBB118_1:                              ;   in Loop: Header=BB118_2 Depth=1
	v_lshrrev_b32_e32 v11, 2, v64
	v_and_b32_e32 v11, 0x3ffffff8, v11
	v_lshl_add_u32 v11, v64, 3, v11
	s_barrier
	ds_write_b64 v11, v[17:18]
	v_lshrrev_b32_e32 v11, 2, v63
	v_and_b32_e32 v11, 0x3ffffff8, v11
	v_lshl_add_u32 v11, v63, 3, v11
	ds_write_b64 v11, v[15:16]
	v_lshrrev_b32_e32 v11, 2, v62
	v_and_b32_e32 v11, 0x3ffffff8, v11
	v_lshl_add_u32 v11, v62, 3, v11
	;; [unrolled: 4-line block ×7, first 2 shown]
	ds_write_b64 v3, v[1:2]
	s_waitcnt lgkmcnt(0)
	s_barrier
	ds_read2_b64 v[15:18], v50 offset1:1
	ds_read2_b64 v[7:10], v50 offset0:2 offset1:3
	ds_read2_b64 v[11:14], v50 offset0:4 offset1:5
	;; [unrolled: 1-line block ×3, first 2 shown]
	s_add_i32 s35, s35, 1
	s_waitcnt lgkmcnt(3)
	v_xor_b32_e32 v16, 0x80000000, v16
	v_xor_b32_e32 v18, 0x80000000, v18
	s_waitcnt lgkmcnt(2)
	v_xor_b32_e32 v8, 0x80000000, v8
	v_xor_b32_e32 v10, 0x80000000, v10
	;; [unrolled: 3-line block ×3, first 2 shown]
	s_waitcnt lgkmcnt(0)
	v_xor_b32_e32 v4, 0x80000000, v4
	s_cmp_eq_u32 s35, 10
	v_xor_b32_e32 v6, 0x80000000, v6
	s_cbranch_scc1 .LBB118_28
.LBB118_2:                              ; =>This Loop Header: Depth=1
                                        ;     Child Loop BB118_4 Depth 2
	s_waitcnt vmcnt(7)
	v_xor_b32_e32 v16, 0x80000000, v16
	s_waitcnt vmcnt(6)
	v_xor_b32_e32 v18, 0x80000000, v18
	;; [unrolled: 2-line block ×8, first 2 shown]
	ds_write2_b64 v36, v[15:16], v[17:18] offset1:1
	ds_write2_b64 v36, v[7:8], v[9:10] offset0:2 offset1:3
	ds_write2_b64 v36, v[11:12], v[13:14] offset0:4 offset1:5
	;; [unrolled: 1-line block ×3, first 2 shown]
	; wave barrier
	ds_read_b64 v[20:21], v37
	ds_read_b64 v[22:23], v38 offset:512
	ds_read_b64 v[24:25], v39 offset:1024
	;; [unrolled: 1-line block ×7, first 2 shown]
	v_mov_b32_e32 v11, 0
	v_mov_b32_e32 v12, 0
	s_waitcnt lgkmcnt(0)
	s_barrier
	; wave barrier
	s_barrier
	s_branch .LBB118_4
.LBB118_3:                              ;   in Loop: Header=BB118_4 Depth=2
	s_andn2_b64 vcc, exec, s[26:27]
	s_cbranch_vccz .LBB118_1
.LBB118_4:                              ;   Parent Loop BB118_2 Depth=1
                                        ; =>  This Inner Loop Header: Depth=2
	v_mov_b32_e32 v17, v20
	v_mov_b32_e32 v15, v22
	;; [unrolled: 1-line block ×4, first 2 shown]
	v_lshrrev_b64 v[21:22], v11, v[17:18]
	v_mov_b32_e32 v13, v24
	v_and_b32_e32 v20, 1, v21
	v_add_co_u32_e32 v23, vcc, -1, v20
	v_mov_b32_e32 v14, v25
	v_addc_co_u32_e64 v24, s[26:27], 0, -1, vcc
	v_cmp_ne_u32_e32 vcc, 0, v20
	v_xor_b32_e32 v20, vcc_hi, v24
	v_and_b32_e32 v24, exec_hi, v20
	v_lshlrev_b32_e32 v20, 30, v21
	v_xor_b32_e32 v23, vcc_lo, v23
	v_cmp_gt_i64_e32 vcc, 0, v[19:20]
	v_not_b32_e32 v20, v20
	v_ashrrev_i32_e32 v20, 31, v20
	v_and_b32_e32 v23, exec_lo, v23
	v_xor_b32_e32 v25, vcc_hi, v20
	v_xor_b32_e32 v20, vcc_lo, v20
	v_and_b32_e32 v23, v23, v20
	v_lshlrev_b32_e32 v20, 29, v21
	v_cmp_gt_i64_e32 vcc, 0, v[19:20]
	v_not_b32_e32 v20, v20
	v_ashrrev_i32_e32 v20, 31, v20
	v_and_b32_e32 v24, v24, v25
	v_xor_b32_e32 v25, vcc_hi, v20
	v_xor_b32_e32 v20, vcc_lo, v20
	v_and_b32_e32 v23, v23, v20
	v_lshlrev_b32_e32 v20, 28, v21
	v_cmp_gt_i64_e32 vcc, 0, v[19:20]
	v_not_b32_e32 v20, v20
	v_ashrrev_i32_e32 v20, 31, v20
	v_and_b32_e32 v24, v24, v25
	;; [unrolled: 8-line block ×5, first 2 shown]
	v_xor_b32_e32 v25, vcc_hi, v20
	v_xor_b32_e32 v20, vcc_lo, v20
	v_and_b32_e32 v23, v23, v20
	v_lshlrev_b32_e32 v20, 24, v21
	v_cmp_gt_i64_e32 vcc, 0, v[19:20]
	v_not_b32_e32 v20, v20
	v_ashrrev_i32_e32 v20, 31, v20
	v_mul_u32_u24_sdwa v22, v21, v52 dst_sel:DWORD dst_unused:UNUSED_PAD src0_sel:BYTE_0 src1_sel:DWORD
	v_xor_b32_e32 v21, vcc_hi, v20
	v_xor_b32_e32 v20, vcc_lo, v20
	v_and_b32_e32 v24, v24, v25
	v_and_b32_e32 v20, v23, v20
	;; [unrolled: 1-line block ×3, first 2 shown]
	v_mbcnt_lo_u32_b32 v23, v20, 0
	v_mbcnt_hi_u32_b32 v24, v21, v23
	v_cmp_ne_u64_e32 vcc, 0, v[20:21]
	v_mov_b32_e32 v1, v34
	v_mov_b32_e32 v3, v32
	v_mov_b32_e32 v5, v30
	v_mov_b32_e32 v7, v28
	v_mov_b32_e32 v9, v26
	v_cmp_eq_u32_e64 s[26:27], 0, v24
	v_mov_b32_e32 v2, v35
	v_mov_b32_e32 v4, v33
	;; [unrolled: 1-line block ×5, first 2 shown]
	s_and_b64 s[28:29], vcc, s[26:27]
	v_add_u32_e32 v25, v49, v22
	ds_write2_b32 v45, v19, v19 offset0:3 offset1:4
	ds_write2_b32 v45, v19, v19 offset0:5 offset1:6
	s_waitcnt lgkmcnt(0)
	s_barrier
	; wave barrier
	s_and_saveexec_b64 s[26:27], s[28:29]
; %bb.5:                                ;   in Loop: Header=BB118_4 Depth=2
	v_bcnt_u32_b32 v20, v20, 0
	v_bcnt_u32_b32 v20, v21, v20
	ds_write_b32 v25, v20 offset:12
; %bb.6:                                ;   in Loop: Header=BB118_4 Depth=2
	s_or_b64 exec, exec, s[26:27]
	v_lshrrev_b64 v[21:22], v11, v[15:16]
	v_and_b32_e32 v20, 0xff, v21
	v_mul_u32_u24_e32 v22, 12, v20
	v_mad_u32_u24 v20, v20, 12, v49
	; wave barrier
	ds_read_b32 v26, v20 offset:12
	v_and_b32_e32 v20, 1, v21
	v_add_co_u32_e32 v23, vcc, -1, v20
	v_addc_co_u32_e64 v27, s[26:27], 0, -1, vcc
	v_cmp_ne_u32_e32 vcc, 0, v20
	v_xor_b32_e32 v20, vcc_hi, v27
	v_and_b32_e32 v27, exec_hi, v20
	v_lshlrev_b32_e32 v20, 30, v21
	v_xor_b32_e32 v23, vcc_lo, v23
	v_cmp_gt_i64_e32 vcc, 0, v[19:20]
	v_not_b32_e32 v20, v20
	v_ashrrev_i32_e32 v20, 31, v20
	v_and_b32_e32 v23, exec_lo, v23
	v_xor_b32_e32 v28, vcc_hi, v20
	v_xor_b32_e32 v20, vcc_lo, v20
	v_and_b32_e32 v23, v23, v20
	v_lshlrev_b32_e32 v20, 29, v21
	v_cmp_gt_i64_e32 vcc, 0, v[19:20]
	v_not_b32_e32 v20, v20
	v_ashrrev_i32_e32 v20, 31, v20
	v_and_b32_e32 v27, v27, v28
	v_xor_b32_e32 v28, vcc_hi, v20
	v_xor_b32_e32 v20, vcc_lo, v20
	v_and_b32_e32 v23, v23, v20
	v_lshlrev_b32_e32 v20, 28, v21
	v_cmp_gt_i64_e32 vcc, 0, v[19:20]
	v_not_b32_e32 v20, v20
	v_ashrrev_i32_e32 v20, 31, v20
	v_and_b32_e32 v27, v27, v28
	;; [unrolled: 8-line block ×5, first 2 shown]
	v_xor_b32_e32 v28, vcc_hi, v20
	v_xor_b32_e32 v20, vcc_lo, v20
	v_and_b32_e32 v23, v23, v20
	v_lshlrev_b32_e32 v20, 24, v21
	v_cmp_gt_i64_e32 vcc, 0, v[19:20]
	v_not_b32_e32 v20, v20
	v_ashrrev_i32_e32 v20, 31, v20
	v_xor_b32_e32 v21, vcc_hi, v20
	v_xor_b32_e32 v20, vcc_lo, v20
	v_and_b32_e32 v27, v27, v28
	v_and_b32_e32 v20, v23, v20
	;; [unrolled: 1-line block ×3, first 2 shown]
	v_mbcnt_lo_u32_b32 v23, v20, 0
	v_mbcnt_hi_u32_b32 v27, v21, v23
	v_cmp_ne_u64_e32 vcc, 0, v[20:21]
	v_cmp_eq_u32_e64 s[26:27], 0, v27
	s_and_b64 s[28:29], vcc, s[26:27]
	v_add_u32_e32 v28, v49, v22
	; wave barrier
	s_and_saveexec_b64 s[26:27], s[28:29]
	s_cbranch_execz .LBB118_8
; %bb.7:                                ;   in Loop: Header=BB118_4 Depth=2
	v_bcnt_u32_b32 v20, v20, 0
	v_bcnt_u32_b32 v20, v21, v20
	s_waitcnt lgkmcnt(0)
	v_add_u32_e32 v20, v26, v20
	ds_write_b32 v28, v20 offset:12
.LBB118_8:                              ;   in Loop: Header=BB118_4 Depth=2
	s_or_b64 exec, exec, s[26:27]
	v_lshrrev_b64 v[21:22], v11, v[13:14]
	v_and_b32_e32 v20, 0xff, v21
	v_mul_u32_u24_e32 v22, 12, v20
	v_mad_u32_u24 v20, v20, 12, v49
	; wave barrier
	ds_read_b32 v29, v20 offset:12
	v_and_b32_e32 v20, 1, v21
	v_add_co_u32_e32 v23, vcc, -1, v20
	v_addc_co_u32_e64 v30, s[26:27], 0, -1, vcc
	v_cmp_ne_u32_e32 vcc, 0, v20
	v_xor_b32_e32 v20, vcc_hi, v30
	v_and_b32_e32 v30, exec_hi, v20
	v_lshlrev_b32_e32 v20, 30, v21
	v_xor_b32_e32 v23, vcc_lo, v23
	v_cmp_gt_i64_e32 vcc, 0, v[19:20]
	v_not_b32_e32 v20, v20
	v_ashrrev_i32_e32 v20, 31, v20
	v_and_b32_e32 v23, exec_lo, v23
	v_xor_b32_e32 v31, vcc_hi, v20
	v_xor_b32_e32 v20, vcc_lo, v20
	v_and_b32_e32 v23, v23, v20
	v_lshlrev_b32_e32 v20, 29, v21
	v_cmp_gt_i64_e32 vcc, 0, v[19:20]
	v_not_b32_e32 v20, v20
	v_ashrrev_i32_e32 v20, 31, v20
	v_and_b32_e32 v30, v30, v31
	v_xor_b32_e32 v31, vcc_hi, v20
	v_xor_b32_e32 v20, vcc_lo, v20
	v_and_b32_e32 v23, v23, v20
	v_lshlrev_b32_e32 v20, 28, v21
	v_cmp_gt_i64_e32 vcc, 0, v[19:20]
	v_not_b32_e32 v20, v20
	v_ashrrev_i32_e32 v20, 31, v20
	v_and_b32_e32 v30, v30, v31
	;; [unrolled: 8-line block ×5, first 2 shown]
	v_xor_b32_e32 v31, vcc_hi, v20
	v_xor_b32_e32 v20, vcc_lo, v20
	v_and_b32_e32 v23, v23, v20
	v_lshlrev_b32_e32 v20, 24, v21
	v_cmp_gt_i64_e32 vcc, 0, v[19:20]
	v_not_b32_e32 v20, v20
	v_ashrrev_i32_e32 v20, 31, v20
	v_xor_b32_e32 v21, vcc_hi, v20
	v_xor_b32_e32 v20, vcc_lo, v20
	v_and_b32_e32 v30, v30, v31
	v_and_b32_e32 v20, v23, v20
	;; [unrolled: 1-line block ×3, first 2 shown]
	v_mbcnt_lo_u32_b32 v23, v20, 0
	v_mbcnt_hi_u32_b32 v30, v21, v23
	v_cmp_ne_u64_e32 vcc, 0, v[20:21]
	v_cmp_eq_u32_e64 s[26:27], 0, v30
	s_and_b64 s[28:29], vcc, s[26:27]
	v_add_u32_e32 v31, v49, v22
	; wave barrier
	s_and_saveexec_b64 s[26:27], s[28:29]
	s_cbranch_execz .LBB118_10
; %bb.9:                                ;   in Loop: Header=BB118_4 Depth=2
	v_bcnt_u32_b32 v20, v20, 0
	v_bcnt_u32_b32 v20, v21, v20
	s_waitcnt lgkmcnt(0)
	v_add_u32_e32 v20, v29, v20
	ds_write_b32 v31, v20 offset:12
.LBB118_10:                             ;   in Loop: Header=BB118_4 Depth=2
	s_or_b64 exec, exec, s[26:27]
	v_lshrrev_b64 v[21:22], v11, v[9:10]
	v_and_b32_e32 v20, 0xff, v21
	v_mul_u32_u24_e32 v22, 12, v20
	v_mad_u32_u24 v20, v20, 12, v49
	; wave barrier
	ds_read_b32 v32, v20 offset:12
	v_and_b32_e32 v20, 1, v21
	v_add_co_u32_e32 v23, vcc, -1, v20
	v_addc_co_u32_e64 v33, s[26:27], 0, -1, vcc
	v_cmp_ne_u32_e32 vcc, 0, v20
	v_xor_b32_e32 v20, vcc_hi, v33
	v_and_b32_e32 v33, exec_hi, v20
	v_lshlrev_b32_e32 v20, 30, v21
	v_xor_b32_e32 v23, vcc_lo, v23
	v_cmp_gt_i64_e32 vcc, 0, v[19:20]
	v_not_b32_e32 v20, v20
	v_ashrrev_i32_e32 v20, 31, v20
	v_and_b32_e32 v23, exec_lo, v23
	v_xor_b32_e32 v34, vcc_hi, v20
	v_xor_b32_e32 v20, vcc_lo, v20
	v_and_b32_e32 v23, v23, v20
	v_lshlrev_b32_e32 v20, 29, v21
	v_cmp_gt_i64_e32 vcc, 0, v[19:20]
	v_not_b32_e32 v20, v20
	v_ashrrev_i32_e32 v20, 31, v20
	v_and_b32_e32 v33, v33, v34
	v_xor_b32_e32 v34, vcc_hi, v20
	v_xor_b32_e32 v20, vcc_lo, v20
	v_and_b32_e32 v23, v23, v20
	v_lshlrev_b32_e32 v20, 28, v21
	v_cmp_gt_i64_e32 vcc, 0, v[19:20]
	v_not_b32_e32 v20, v20
	v_ashrrev_i32_e32 v20, 31, v20
	v_and_b32_e32 v33, v33, v34
	;; [unrolled: 8-line block ×5, first 2 shown]
	v_xor_b32_e32 v34, vcc_hi, v20
	v_xor_b32_e32 v20, vcc_lo, v20
	v_and_b32_e32 v23, v23, v20
	v_lshlrev_b32_e32 v20, 24, v21
	v_cmp_gt_i64_e32 vcc, 0, v[19:20]
	v_not_b32_e32 v20, v20
	v_ashrrev_i32_e32 v20, 31, v20
	v_xor_b32_e32 v21, vcc_hi, v20
	v_xor_b32_e32 v20, vcc_lo, v20
	v_and_b32_e32 v33, v33, v34
	v_and_b32_e32 v20, v23, v20
	;; [unrolled: 1-line block ×3, first 2 shown]
	v_mbcnt_lo_u32_b32 v23, v20, 0
	v_mbcnt_hi_u32_b32 v33, v21, v23
	v_cmp_ne_u64_e32 vcc, 0, v[20:21]
	v_cmp_eq_u32_e64 s[26:27], 0, v33
	s_and_b64 s[28:29], vcc, s[26:27]
	v_add_u32_e32 v34, v49, v22
	; wave barrier
	s_and_saveexec_b64 s[26:27], s[28:29]
	s_cbranch_execz .LBB118_12
; %bb.11:                               ;   in Loop: Header=BB118_4 Depth=2
	v_bcnt_u32_b32 v20, v20, 0
	v_bcnt_u32_b32 v20, v21, v20
	s_waitcnt lgkmcnt(0)
	v_add_u32_e32 v20, v32, v20
	ds_write_b32 v34, v20 offset:12
.LBB118_12:                             ;   in Loop: Header=BB118_4 Depth=2
	s_or_b64 exec, exec, s[26:27]
	v_lshrrev_b64 v[21:22], v11, v[7:8]
	v_and_b32_e32 v20, 0xff, v21
	v_mul_u32_u24_e32 v22, 12, v20
	v_mad_u32_u24 v20, v20, 12, v49
	; wave barrier
	ds_read_b32 v35, v20 offset:12
	v_and_b32_e32 v20, 1, v21
	v_add_co_u32_e32 v23, vcc, -1, v20
	v_addc_co_u32_e64 v53, s[26:27], 0, -1, vcc
	v_cmp_ne_u32_e32 vcc, 0, v20
	v_xor_b32_e32 v20, vcc_hi, v53
	v_and_b32_e32 v53, exec_hi, v20
	v_lshlrev_b32_e32 v20, 30, v21
	v_xor_b32_e32 v23, vcc_lo, v23
	v_cmp_gt_i64_e32 vcc, 0, v[19:20]
	v_not_b32_e32 v20, v20
	v_ashrrev_i32_e32 v20, 31, v20
	v_and_b32_e32 v23, exec_lo, v23
	v_xor_b32_e32 v54, vcc_hi, v20
	v_xor_b32_e32 v20, vcc_lo, v20
	v_and_b32_e32 v23, v23, v20
	v_lshlrev_b32_e32 v20, 29, v21
	v_cmp_gt_i64_e32 vcc, 0, v[19:20]
	v_not_b32_e32 v20, v20
	v_ashrrev_i32_e32 v20, 31, v20
	v_and_b32_e32 v53, v53, v54
	v_xor_b32_e32 v54, vcc_hi, v20
	v_xor_b32_e32 v20, vcc_lo, v20
	v_and_b32_e32 v23, v23, v20
	v_lshlrev_b32_e32 v20, 28, v21
	v_cmp_gt_i64_e32 vcc, 0, v[19:20]
	v_not_b32_e32 v20, v20
	v_ashrrev_i32_e32 v20, 31, v20
	v_and_b32_e32 v53, v53, v54
	;; [unrolled: 8-line block ×5, first 2 shown]
	v_xor_b32_e32 v54, vcc_hi, v20
	v_xor_b32_e32 v20, vcc_lo, v20
	v_and_b32_e32 v23, v23, v20
	v_lshlrev_b32_e32 v20, 24, v21
	v_cmp_gt_i64_e32 vcc, 0, v[19:20]
	v_not_b32_e32 v20, v20
	v_ashrrev_i32_e32 v20, 31, v20
	v_xor_b32_e32 v21, vcc_hi, v20
	v_xor_b32_e32 v20, vcc_lo, v20
	v_and_b32_e32 v53, v53, v54
	v_and_b32_e32 v20, v23, v20
	;; [unrolled: 1-line block ×3, first 2 shown]
	v_mbcnt_lo_u32_b32 v23, v20, 0
	v_mbcnt_hi_u32_b32 v53, v21, v23
	v_cmp_ne_u64_e32 vcc, 0, v[20:21]
	v_cmp_eq_u32_e64 s[26:27], 0, v53
	s_and_b64 s[28:29], vcc, s[26:27]
	v_add_u32_e32 v54, v49, v22
	; wave barrier
	s_and_saveexec_b64 s[26:27], s[28:29]
	s_cbranch_execz .LBB118_14
; %bb.13:                               ;   in Loop: Header=BB118_4 Depth=2
	v_bcnt_u32_b32 v20, v20, 0
	v_bcnt_u32_b32 v20, v21, v20
	s_waitcnt lgkmcnt(0)
	v_add_u32_e32 v20, v35, v20
	ds_write_b32 v54, v20 offset:12
.LBB118_14:                             ;   in Loop: Header=BB118_4 Depth=2
	s_or_b64 exec, exec, s[26:27]
	v_lshrrev_b64 v[21:22], v11, v[5:6]
	v_and_b32_e32 v20, 0xff, v21
	v_mul_u32_u24_e32 v22, 12, v20
	v_mad_u32_u24 v20, v20, 12, v49
	; wave barrier
	ds_read_b32 v55, v20 offset:12
	v_and_b32_e32 v20, 1, v21
	v_add_co_u32_e32 v23, vcc, -1, v20
	v_addc_co_u32_e64 v56, s[26:27], 0, -1, vcc
	v_cmp_ne_u32_e32 vcc, 0, v20
	v_xor_b32_e32 v20, vcc_hi, v56
	v_and_b32_e32 v56, exec_hi, v20
	v_lshlrev_b32_e32 v20, 30, v21
	v_xor_b32_e32 v23, vcc_lo, v23
	v_cmp_gt_i64_e32 vcc, 0, v[19:20]
	v_not_b32_e32 v20, v20
	v_ashrrev_i32_e32 v20, 31, v20
	v_and_b32_e32 v23, exec_lo, v23
	v_xor_b32_e32 v57, vcc_hi, v20
	v_xor_b32_e32 v20, vcc_lo, v20
	v_and_b32_e32 v23, v23, v20
	v_lshlrev_b32_e32 v20, 29, v21
	v_cmp_gt_i64_e32 vcc, 0, v[19:20]
	v_not_b32_e32 v20, v20
	v_ashrrev_i32_e32 v20, 31, v20
	v_and_b32_e32 v56, v56, v57
	v_xor_b32_e32 v57, vcc_hi, v20
	v_xor_b32_e32 v20, vcc_lo, v20
	v_and_b32_e32 v23, v23, v20
	v_lshlrev_b32_e32 v20, 28, v21
	v_cmp_gt_i64_e32 vcc, 0, v[19:20]
	v_not_b32_e32 v20, v20
	v_ashrrev_i32_e32 v20, 31, v20
	v_and_b32_e32 v56, v56, v57
	;; [unrolled: 8-line block ×5, first 2 shown]
	v_xor_b32_e32 v57, vcc_hi, v20
	v_xor_b32_e32 v20, vcc_lo, v20
	v_and_b32_e32 v23, v23, v20
	v_lshlrev_b32_e32 v20, 24, v21
	v_cmp_gt_i64_e32 vcc, 0, v[19:20]
	v_not_b32_e32 v20, v20
	v_ashrrev_i32_e32 v20, 31, v20
	v_xor_b32_e32 v21, vcc_hi, v20
	v_xor_b32_e32 v20, vcc_lo, v20
	v_and_b32_e32 v56, v56, v57
	v_and_b32_e32 v20, v23, v20
	;; [unrolled: 1-line block ×3, first 2 shown]
	v_mbcnt_lo_u32_b32 v23, v20, 0
	v_mbcnt_hi_u32_b32 v56, v21, v23
	v_cmp_ne_u64_e32 vcc, 0, v[20:21]
	v_cmp_eq_u32_e64 s[26:27], 0, v56
	s_and_b64 s[28:29], vcc, s[26:27]
	v_add_u32_e32 v57, v49, v22
	; wave barrier
	s_and_saveexec_b64 s[26:27], s[28:29]
	s_cbranch_execz .LBB118_16
; %bb.15:                               ;   in Loop: Header=BB118_4 Depth=2
	v_bcnt_u32_b32 v20, v20, 0
	v_bcnt_u32_b32 v20, v21, v20
	s_waitcnt lgkmcnt(0)
	v_add_u32_e32 v20, v55, v20
	ds_write_b32 v57, v20 offset:12
.LBB118_16:                             ;   in Loop: Header=BB118_4 Depth=2
	s_or_b64 exec, exec, s[26:27]
	v_lshrrev_b64 v[21:22], v11, v[3:4]
	v_and_b32_e32 v20, 0xff, v21
	v_mul_u32_u24_e32 v22, 12, v20
	v_mad_u32_u24 v20, v20, 12, v49
	; wave barrier
	ds_read_b32 v58, v20 offset:12
	v_and_b32_e32 v20, 1, v21
	v_add_co_u32_e32 v23, vcc, -1, v20
	v_addc_co_u32_e64 v59, s[26:27], 0, -1, vcc
	v_cmp_ne_u32_e32 vcc, 0, v20
	v_xor_b32_e32 v20, vcc_hi, v59
	v_and_b32_e32 v59, exec_hi, v20
	v_lshlrev_b32_e32 v20, 30, v21
	v_xor_b32_e32 v23, vcc_lo, v23
	v_cmp_gt_i64_e32 vcc, 0, v[19:20]
	v_not_b32_e32 v20, v20
	v_ashrrev_i32_e32 v20, 31, v20
	v_and_b32_e32 v23, exec_lo, v23
	v_xor_b32_e32 v60, vcc_hi, v20
	v_xor_b32_e32 v20, vcc_lo, v20
	v_and_b32_e32 v23, v23, v20
	v_lshlrev_b32_e32 v20, 29, v21
	v_cmp_gt_i64_e32 vcc, 0, v[19:20]
	v_not_b32_e32 v20, v20
	v_ashrrev_i32_e32 v20, 31, v20
	v_and_b32_e32 v59, v59, v60
	v_xor_b32_e32 v60, vcc_hi, v20
	v_xor_b32_e32 v20, vcc_lo, v20
	v_and_b32_e32 v23, v23, v20
	v_lshlrev_b32_e32 v20, 28, v21
	v_cmp_gt_i64_e32 vcc, 0, v[19:20]
	v_not_b32_e32 v20, v20
	v_ashrrev_i32_e32 v20, 31, v20
	v_and_b32_e32 v59, v59, v60
	;; [unrolled: 8-line block ×5, first 2 shown]
	v_xor_b32_e32 v60, vcc_hi, v20
	v_xor_b32_e32 v20, vcc_lo, v20
	v_and_b32_e32 v23, v23, v20
	v_lshlrev_b32_e32 v20, 24, v21
	v_cmp_gt_i64_e32 vcc, 0, v[19:20]
	v_not_b32_e32 v20, v20
	v_ashrrev_i32_e32 v20, 31, v20
	v_xor_b32_e32 v21, vcc_hi, v20
	v_xor_b32_e32 v20, vcc_lo, v20
	v_and_b32_e32 v59, v59, v60
	v_and_b32_e32 v20, v23, v20
	;; [unrolled: 1-line block ×3, first 2 shown]
	v_mbcnt_lo_u32_b32 v23, v20, 0
	v_mbcnt_hi_u32_b32 v59, v21, v23
	v_cmp_ne_u64_e32 vcc, 0, v[20:21]
	v_cmp_eq_u32_e64 s[26:27], 0, v59
	s_and_b64 s[28:29], vcc, s[26:27]
	v_add_u32_e32 v60, v49, v22
	; wave barrier
	s_and_saveexec_b64 s[26:27], s[28:29]
	s_cbranch_execz .LBB118_18
; %bb.17:                               ;   in Loop: Header=BB118_4 Depth=2
	v_bcnt_u32_b32 v20, v20, 0
	v_bcnt_u32_b32 v20, v21, v20
	s_waitcnt lgkmcnt(0)
	v_add_u32_e32 v20, v58, v20
	ds_write_b32 v60, v20 offset:12
.LBB118_18:                             ;   in Loop: Header=BB118_4 Depth=2
	s_or_b64 exec, exec, s[26:27]
	v_lshrrev_b64 v[21:22], v11, v[1:2]
	v_and_b32_e32 v20, 0xff, v21
	v_mul_u32_u24_e32 v22, 12, v20
	v_mad_u32_u24 v20, v20, 12, v49
	; wave barrier
	ds_read_b32 v61, v20 offset:12
	v_and_b32_e32 v20, 1, v21
	v_add_co_u32_e32 v23, vcc, -1, v20
	v_addc_co_u32_e64 v62, s[26:27], 0, -1, vcc
	v_cmp_ne_u32_e32 vcc, 0, v20
	v_xor_b32_e32 v20, vcc_hi, v62
	v_and_b32_e32 v62, exec_hi, v20
	v_lshlrev_b32_e32 v20, 30, v21
	v_xor_b32_e32 v23, vcc_lo, v23
	v_cmp_gt_i64_e32 vcc, 0, v[19:20]
	v_not_b32_e32 v20, v20
	v_ashrrev_i32_e32 v20, 31, v20
	v_and_b32_e32 v23, exec_lo, v23
	v_xor_b32_e32 v63, vcc_hi, v20
	v_xor_b32_e32 v20, vcc_lo, v20
	v_and_b32_e32 v23, v23, v20
	v_lshlrev_b32_e32 v20, 29, v21
	v_cmp_gt_i64_e32 vcc, 0, v[19:20]
	v_not_b32_e32 v20, v20
	v_ashrrev_i32_e32 v20, 31, v20
	v_and_b32_e32 v62, v62, v63
	v_xor_b32_e32 v63, vcc_hi, v20
	v_xor_b32_e32 v20, vcc_lo, v20
	v_and_b32_e32 v23, v23, v20
	v_lshlrev_b32_e32 v20, 28, v21
	v_cmp_gt_i64_e32 vcc, 0, v[19:20]
	v_not_b32_e32 v20, v20
	v_ashrrev_i32_e32 v20, 31, v20
	v_and_b32_e32 v62, v62, v63
	;; [unrolled: 8-line block ×5, first 2 shown]
	v_xor_b32_e32 v63, vcc_hi, v20
	v_xor_b32_e32 v20, vcc_lo, v20
	v_and_b32_e32 v23, v23, v20
	v_lshlrev_b32_e32 v20, 24, v21
	v_cmp_gt_i64_e32 vcc, 0, v[19:20]
	v_not_b32_e32 v20, v20
	v_ashrrev_i32_e32 v20, 31, v20
	v_xor_b32_e32 v21, vcc_hi, v20
	v_xor_b32_e32 v20, vcc_lo, v20
	v_and_b32_e32 v62, v62, v63
	v_and_b32_e32 v20, v23, v20
	v_and_b32_e32 v21, v62, v21
	v_mbcnt_lo_u32_b32 v23, v20, 0
	v_mbcnt_hi_u32_b32 v65, v21, v23
	v_cmp_ne_u64_e32 vcc, 0, v[20:21]
	v_cmp_eq_u32_e64 s[26:27], 0, v65
	s_and_b64 s[28:29], vcc, s[26:27]
	v_add_u32_e32 v66, v49, v22
	; wave barrier
	s_and_saveexec_b64 s[26:27], s[28:29]
	s_cbranch_execz .LBB118_20
; %bb.19:                               ;   in Loop: Header=BB118_4 Depth=2
	v_bcnt_u32_b32 v20, v20, 0
	v_bcnt_u32_b32 v20, v21, v20
	s_waitcnt lgkmcnt(0)
	v_add_u32_e32 v20, v61, v20
	ds_write_b32 v66, v20 offset:12
.LBB118_20:                             ;   in Loop: Header=BB118_4 Depth=2
	s_or_b64 exec, exec, s[26:27]
	; wave barrier
	s_waitcnt lgkmcnt(0)
	s_barrier
	ds_read2_b32 v[22:23], v45 offset0:3 offset1:4
	ds_read2_b32 v[20:21], v45 offset0:5 offset1:6
	s_waitcnt lgkmcnt(1)
	v_add_u32_e32 v62, v23, v22
	s_waitcnt lgkmcnt(0)
	v_add3_u32 v21, v62, v20, v21
	s_nop 1
	v_mov_b32_dpp v62, v21 row_shr:1 row_mask:0xf bank_mask:0xf
	v_cndmask_b32_e64 v62, v62, 0, s[0:1]
	v_add_u32_e32 v21, v62, v21
	s_nop 1
	v_mov_b32_dpp v62, v21 row_shr:2 row_mask:0xf bank_mask:0xf
	v_cndmask_b32_e64 v62, 0, v62, s[2:3]
	v_add_u32_e32 v21, v21, v62
	;; [unrolled: 4-line block ×4, first 2 shown]
	s_nop 1
	v_mov_b32_dpp v62, v21 row_bcast:15 row_mask:0xf bank_mask:0xf
	v_cndmask_b32_e64 v62, v62, 0, s[8:9]
	v_add_u32_e32 v21, v21, v62
	s_nop 1
	v_mov_b32_dpp v62, v21 row_bcast:31 row_mask:0xf bank_mask:0xf
	v_cndmask_b32_e64 v62, 0, v62, s[10:11]
	v_add_u32_e32 v21, v21, v62
	s_and_saveexec_b64 s[26:27], s[12:13]
; %bb.21:                               ;   in Loop: Header=BB118_4 Depth=2
	ds_write_b32 v47, v21
; %bb.22:                               ;   in Loop: Header=BB118_4 Depth=2
	s_or_b64 exec, exec, s[26:27]
	s_waitcnt lgkmcnt(0)
	s_barrier
	s_and_saveexec_b64 s[26:27], s[14:15]
	s_cbranch_execz .LBB118_24
; %bb.23:                               ;   in Loop: Header=BB118_4 Depth=2
	ds_read_b32 v62, v51
	s_waitcnt lgkmcnt(0)
	s_nop 0
	v_mov_b32_dpp v63, v62 row_shr:1 row_mask:0xf bank_mask:0xf
	v_cndmask_b32_e64 v63, v63, 0, s[22:23]
	v_add_u32_e32 v62, v63, v62
	s_nop 1
	v_mov_b32_dpp v63, v62 row_shr:2 row_mask:0xf bank_mask:0xf
	v_cndmask_b32_e64 v63, 0, v63, s[24:25]
	v_add_u32_e32 v62, v62, v63
	ds_write_b32 v51, v62
.LBB118_24:                             ;   in Loop: Header=BB118_4 Depth=2
	s_or_b64 exec, exec, s[26:27]
	v_mov_b32_e32 v62, 0
	s_waitcnt lgkmcnt(0)
	s_barrier
	s_and_saveexec_b64 s[26:27], s[16:17]
; %bb.25:                               ;   in Loop: Header=BB118_4 Depth=2
	ds_read_b32 v62, v48
; %bb.26:                               ;   in Loop: Header=BB118_4 Depth=2
	s_or_b64 exec, exec, s[26:27]
	s_waitcnt lgkmcnt(0)
	v_add_u32_e32 v21, v62, v21
	ds_bpermute_b32 v21, v46, v21
	v_cmp_lt_u32_e32 vcc, 55, v11
	s_and_b64 vcc, exec, vcc
	s_mov_b64 s[26:27], -1
	s_waitcnt lgkmcnt(0)
	v_cndmask_b32_e64 v21, v21, v62, s[18:19]
	v_cndmask_b32_e64 v21, v21, 0, s[20:21]
	v_add_u32_e32 v22, v21, v22
	v_add_u32_e32 v23, v22, v23
	;; [unrolled: 1-line block ×3, first 2 shown]
	ds_write2_b32 v45, v21, v22 offset0:3 offset1:4
	ds_write2_b32 v45, v23, v20 offset0:5 offset1:6
	s_waitcnt lgkmcnt(0)
	s_barrier
	ds_read_b32 v20, v25 offset:12
	ds_read_b32 v21, v28 offset:12
	;; [unrolled: 1-line block ×3, first 2 shown]
	s_waitcnt lgkmcnt(2)
	v_add_u32_e32 v64, v20, v24
	s_waitcnt lgkmcnt(1)
	v_add3_u32 v63, v27, v26, v21
	ds_read_b32 v20, v34 offset:12
	s_waitcnt lgkmcnt(1)
	v_add3_u32 v62, v30, v29, v22
	ds_read_b32 v21, v54 offset:12
	ds_read_b32 v22, v57 offset:12
	;; [unrolled: 1-line block ×4, first 2 shown]
                                        ; implicit-def: $vgpr30_vgpr31
                                        ; implicit-def: $vgpr28_vgpr29
                                        ; implicit-def: $vgpr26_vgpr27
	s_waitcnt lgkmcnt(3)
	v_add3_u32 v57, v53, v35, v21
	v_add3_u32 v60, v33, v32, v20
	s_waitcnt lgkmcnt(2)
	v_add3_u32 v55, v56, v55, v22
	s_waitcnt lgkmcnt(1)
	;; [unrolled: 2-line block ×3, first 2 shown]
	v_add3_u32 v53, v65, v61, v24
                                        ; implicit-def: $vgpr34_vgpr35
                                        ; implicit-def: $vgpr32_vgpr33
                                        ; implicit-def: $vgpr24_vgpr25
                                        ; implicit-def: $vgpr22_vgpr23
                                        ; implicit-def: $vgpr20_vgpr21
	s_cbranch_vccnz .LBB118_3
; %bb.27:                               ;   in Loop: Header=BB118_4 Depth=2
	v_lshrrev_b32_e32 v20, 2, v64
	v_and_b32_e32 v20, 0x3ffffff8, v20
	v_lshl_add_u32 v20, v64, 3, v20
	s_barrier
	ds_write_b64 v20, v[17:18]
	v_lshrrev_b32_e32 v20, 2, v63
	v_and_b32_e32 v20, 0x3ffffff8, v20
	v_lshl_add_u32 v20, v63, 3, v20
	ds_write_b64 v20, v[15:16]
	v_lshrrev_b32_e32 v20, 2, v62
	v_and_b32_e32 v20, 0x3ffffff8, v20
	v_lshl_add_u32 v20, v62, 3, v20
	;; [unrolled: 4-line block ×7, first 2 shown]
	ds_write_b64 v20, v[1:2]
	s_waitcnt lgkmcnt(0)
	s_barrier
	ds_read_b64 v[20:21], v37
	ds_read_b64 v[22:23], v38 offset:512
	ds_read_b64 v[24:25], v39 offset:1024
	;; [unrolled: 1-line block ×7, first 2 shown]
	v_add_co_u32_e32 v11, vcc, 8, v11
	v_addc_co_u32_e32 v12, vcc, 0, v12, vcc
	s_mov_b64 s[26:27], 0
	s_waitcnt lgkmcnt(0)
	s_barrier
	s_branch .LBB118_3
.LBB118_28:
	s_add_u32 s0, s30, s36
	s_addc_u32 s1, s31, s37
	v_lshlrev_b32_e32 v0, 3, v0
	v_mov_b32_e32 v1, s1
	v_add_co_u32_e32 v2, vcc, s0, v0
	v_addc_co_u32_e32 v19, vcc, 0, v1, vcc
	global_store_dwordx2 v0, v[15:16], s[0:1]
	global_store_dwordx2 v0, v[17:18], s[0:1] offset:1536
	global_store_dwordx2 v0, v[7:8], s[0:1] offset:3072
	v_add_co_u32_e32 v0, vcc, 0x1000, v2
	v_addc_co_u32_e32 v1, vcc, 0, v19, vcc
	global_store_dwordx2 v[0:1], v[9:10], off offset:512
	global_store_dwordx2 v[0:1], v[11:12], off offset:2048
	;; [unrolled: 1-line block ×3, first 2 shown]
	v_add_co_u32_e32 v0, vcc, 0x2000, v2
	v_addc_co_u32_e32 v1, vcc, 0, v19, vcc
	global_store_dwordx2 v[0:1], v[3:4], off offset:1024
	global_store_dwordx2 v[0:1], v[5:6], off offset:2560
	s_endpgm
	.section	.rodata,"a",@progbits
	.p2align	6, 0x0
	.amdhsa_kernel _Z16sort_keys_kernelI22helper_blocked_blockedxLj192ELj8ELj10EEvPKT0_PS1_
		.amdhsa_group_segment_fixed_size 12672
		.amdhsa_private_segment_fixed_size 0
		.amdhsa_kernarg_size 272
		.amdhsa_user_sgpr_count 6
		.amdhsa_user_sgpr_private_segment_buffer 1
		.amdhsa_user_sgpr_dispatch_ptr 0
		.amdhsa_user_sgpr_queue_ptr 0
		.amdhsa_user_sgpr_kernarg_segment_ptr 1
		.amdhsa_user_sgpr_dispatch_id 0
		.amdhsa_user_sgpr_flat_scratch_init 0
		.amdhsa_user_sgpr_private_segment_size 0
		.amdhsa_uses_dynamic_stack 0
		.amdhsa_system_sgpr_private_segment_wavefront_offset 0
		.amdhsa_system_sgpr_workgroup_id_x 1
		.amdhsa_system_sgpr_workgroup_id_y 0
		.amdhsa_system_sgpr_workgroup_id_z 0
		.amdhsa_system_sgpr_workgroup_info 0
		.amdhsa_system_vgpr_workitem_id 2
		.amdhsa_next_free_vgpr 67
		.amdhsa_next_free_sgpr 98
		.amdhsa_reserve_vcc 1
		.amdhsa_reserve_flat_scratch 0
		.amdhsa_float_round_mode_32 0
		.amdhsa_float_round_mode_16_64 0
		.amdhsa_float_denorm_mode_32 3
		.amdhsa_float_denorm_mode_16_64 3
		.amdhsa_dx10_clamp 1
		.amdhsa_ieee_mode 1
		.amdhsa_fp16_overflow 0
		.amdhsa_exception_fp_ieee_invalid_op 0
		.amdhsa_exception_fp_denorm_src 0
		.amdhsa_exception_fp_ieee_div_zero 0
		.amdhsa_exception_fp_ieee_overflow 0
		.amdhsa_exception_fp_ieee_underflow 0
		.amdhsa_exception_fp_ieee_inexact 0
		.amdhsa_exception_int_div_zero 0
	.end_amdhsa_kernel
	.section	.text._Z16sort_keys_kernelI22helper_blocked_blockedxLj192ELj8ELj10EEvPKT0_PS1_,"axG",@progbits,_Z16sort_keys_kernelI22helper_blocked_blockedxLj192ELj8ELj10EEvPKT0_PS1_,comdat
.Lfunc_end118:
	.size	_Z16sort_keys_kernelI22helper_blocked_blockedxLj192ELj8ELj10EEvPKT0_PS1_, .Lfunc_end118-_Z16sort_keys_kernelI22helper_blocked_blockedxLj192ELj8ELj10EEvPKT0_PS1_
                                        ; -- End function
	.set _Z16sort_keys_kernelI22helper_blocked_blockedxLj192ELj8ELj10EEvPKT0_PS1_.num_vgpr, 67
	.set _Z16sort_keys_kernelI22helper_blocked_blockedxLj192ELj8ELj10EEvPKT0_PS1_.num_agpr, 0
	.set _Z16sort_keys_kernelI22helper_blocked_blockedxLj192ELj8ELj10EEvPKT0_PS1_.numbered_sgpr, 38
	.set _Z16sort_keys_kernelI22helper_blocked_blockedxLj192ELj8ELj10EEvPKT0_PS1_.num_named_barrier, 0
	.set _Z16sort_keys_kernelI22helper_blocked_blockedxLj192ELj8ELj10EEvPKT0_PS1_.private_seg_size, 0
	.set _Z16sort_keys_kernelI22helper_blocked_blockedxLj192ELj8ELj10EEvPKT0_PS1_.uses_vcc, 1
	.set _Z16sort_keys_kernelI22helper_blocked_blockedxLj192ELj8ELj10EEvPKT0_PS1_.uses_flat_scratch, 0
	.set _Z16sort_keys_kernelI22helper_blocked_blockedxLj192ELj8ELj10EEvPKT0_PS1_.has_dyn_sized_stack, 0
	.set _Z16sort_keys_kernelI22helper_blocked_blockedxLj192ELj8ELj10EEvPKT0_PS1_.has_recursion, 0
	.set _Z16sort_keys_kernelI22helper_blocked_blockedxLj192ELj8ELj10EEvPKT0_PS1_.has_indirect_call, 0
	.section	.AMDGPU.csdata,"",@progbits
; Kernel info:
; codeLenInByte = 5280
; TotalNumSgprs: 42
; NumVgprs: 67
; ScratchSize: 0
; MemoryBound: 0
; FloatMode: 240
; IeeeMode: 1
; LDSByteSize: 12672 bytes/workgroup (compile time only)
; SGPRBlocks: 12
; VGPRBlocks: 16
; NumSGPRsForWavesPerEU: 102
; NumVGPRsForWavesPerEU: 67
; Occupancy: 3
; WaveLimiterHint : 1
; COMPUTE_PGM_RSRC2:SCRATCH_EN: 0
; COMPUTE_PGM_RSRC2:USER_SGPR: 6
; COMPUTE_PGM_RSRC2:TRAP_HANDLER: 0
; COMPUTE_PGM_RSRC2:TGID_X_EN: 1
; COMPUTE_PGM_RSRC2:TGID_Y_EN: 0
; COMPUTE_PGM_RSRC2:TGID_Z_EN: 0
; COMPUTE_PGM_RSRC2:TIDIG_COMP_CNT: 2
	.section	.text._Z17sort_pairs_kernelI22helper_blocked_blockedxLj192ELj8ELj10EEvPKT0_PS1_,"axG",@progbits,_Z17sort_pairs_kernelI22helper_blocked_blockedxLj192ELj8ELj10EEvPKT0_PS1_,comdat
	.protected	_Z17sort_pairs_kernelI22helper_blocked_blockedxLj192ELj8ELj10EEvPKT0_PS1_ ; -- Begin function _Z17sort_pairs_kernelI22helper_blocked_blockedxLj192ELj8ELj10EEvPKT0_PS1_
	.globl	_Z17sort_pairs_kernelI22helper_blocked_blockedxLj192ELj8ELj10EEvPKT0_PS1_
	.p2align	8
	.type	_Z17sort_pairs_kernelI22helper_blocked_blockedxLj192ELj8ELj10EEvPKT0_PS1_,@function
_Z17sort_pairs_kernelI22helper_blocked_blockedxLj192ELj8ELj10EEvPKT0_PS1_: ; @_Z17sort_pairs_kernelI22helper_blocked_blockedxLj192ELj8ELj10EEvPKT0_PS1_
; %bb.0:
	s_load_dwordx4 s[28:31], s[4:5], 0x0
	s_load_dword s2, s[4:5], 0x1c
	s_mul_i32 s36, s6, 0x600
	s_mov_b32 s37, 0
	s_lshl_b64 s[34:35], s[36:37], 3
	s_waitcnt lgkmcnt(0)
	s_add_u32 s0, s28, s34
	s_addc_u32 s1, s29, s35
	v_lshlrev_b32_e32 v21, 3, v0
	global_load_dwordx2 v[15:16], v21, s[0:1]
	global_load_dwordx2 v[17:18], v21, s[0:1] offset:1536
	v_mov_b32_e32 v3, s1
	v_add_co_u32_e32 v5, vcc, s0, v21
	global_load_dwordx2 v[11:12], v21, s[0:1] offset:3072
	v_addc_co_u32_e32 v6, vcc, 0, v3, vcc
	s_movk_i32 s0, 0x1000
	v_add_co_u32_e32 v3, vcc, s0, v5
	v_addc_co_u32_e32 v4, vcc, 0, v6, vcc
	global_load_dwordx2 v[13:14], v[3:4], off offset:512
	global_load_dwordx2 v[7:8], v[3:4], off offset:2048
	;; [unrolled: 1-line block ×3, first 2 shown]
	s_movk_i32 s0, 0x2000
	v_add_co_u32_e32 v19, vcc, s0, v5
	v_addc_co_u32_e32 v20, vcc, 0, v6, vcc
	global_load_dwordx2 v[3:4], v[19:20], off offset:1024
	global_load_dwordx2 v[5:6], v[19:20], off offset:2560
	v_mbcnt_lo_u32_b32 v19, -1, 0
	s_movk_i32 s0, 0x600
	v_mbcnt_hi_u32_b32 v36, -1, v19
	v_and_b32_e32 v37, 0xc0, v0
	v_add_u32_e32 v19, v36, v37
	v_and_or_b32 v38, v21, s0, v36
	v_lshlrev_b32_e32 v20, 1, v19
	v_or_b32_e32 v23, 0x80, v38
	v_and_b32_e32 v20, 0x3f8, v20
	v_lshrrev_b32_e32 v23, 2, v23
	v_add_u32_e32 v24, 0xc0, v38
	v_lshl_add_u32 v68, v19, 6, v20
	v_and_b32_e32 v20, 0x1b8, v23
	s_lshr_b32 s0, s2, 16
	v_add_u32_e32 v22, 64, v38
	v_lshrrev_b32_e32 v40, 2, v24
	s_and_b32 s1, s2, 0xffff
	v_mad_u32_u24 v1, v2, s0, v1
	v_lshlrev_b32_e32 v39, 3, v38
	v_lshrrev_b32_e32 v22, 2, v22
	v_and_b32_e32 v40, 0x1f8, v40
	v_mad_u64_u32 v[1:2], s[0:1], v1, s1, v[0:1]
	v_and_b32_e32 v19, 0x1b8, v22
	v_add_u32_e32 v72, v40, v39
	v_or_b32_e32 v40, 0x100, v38
	v_and_b32_e32 v2, 15, v36
	v_lshrrev_b32_e32 v21, 2, v38
	v_add_u32_e32 v70, v19, v39
	v_lshrrev_b32_e32 v40, 2, v40
	v_cmp_eq_u32_e64 s[0:1], 0, v2
	v_cmp_lt_u32_e64 s[2:3], 1, v2
	v_cmp_lt_u32_e64 s[4:5], 3, v2
	;; [unrolled: 1-line block ×3, first 2 shown]
	v_and_b32_e32 v2, 16, v36
	v_and_b32_e32 v21, 0x198, v21
	v_add_u32_e32 v71, v20, v39
	v_and_b32_e32 v40, 0x1d8, v40
	v_cmp_eq_u32_e64 s[8:9], 0, v2
	v_min_u32_e32 v2, 0x80, v37
	v_add_u32_e32 v69, v21, v39
	v_add_u32_e32 v73, v40, v39
	;; [unrolled: 1-line block ×3, first 2 shown]
	v_or_b32_e32 v2, 63, v2
	v_lshrrev_b32_e32 v40, 2, v40
	v_cmp_eq_u32_e64 s[12:13], v0, v2
	v_subrev_co_u32_e64 v2, s[18:19], 1, v36
	v_and_b32_e32 v37, 64, v36
	v_and_b32_e32 v40, 0x1f8, v40
	v_add_u32_e32 v74, v40, v39
	v_or_b32_e32 v40, 0x180, v38
	v_add_u32_e32 v38, 0x1c0, v38
	v_lshrrev_b32_e32 v1, 4, v1
	v_lshrrev_b32_e32 v40, 2, v40
	;; [unrolled: 1-line block ×3, first 2 shown]
	v_and_b32_e32 v81, 0xffffffc, v1
	v_lshlrev_b32_e32 v1, 1, v0
	v_and_b32_e32 v40, 0x1f8, v40
	v_and_b32_e32 v38, 0x3f8, v38
	s_waitcnt vmcnt(7)
	v_add_co_u32_e32 v31, vcc, 1, v15
	v_addc_co_u32_e32 v32, vcc, 0, v16, vcc
	s_waitcnt vmcnt(6)
	v_add_co_u32_e32 v33, vcc, 1, v17
	v_addc_co_u32_e32 v34, vcc, 0, v18, vcc
	;; [unrolled: 3-line block ×8, first 2 shown]
	v_cmp_lt_i32_e32 vcc, v2, v37
	v_cndmask_b32_e32 v2, v2, v36, vcc
	v_lshlrev_b32_e32 v78, 2, v2
	v_lshrrev_b32_e32 v2, 4, v0
	v_lshlrev_b32_e32 v77, 4, v0
	v_cmp_lt_u32_e64 s[10:11], 31, v36
	v_and_b32_e32 v79, 12, v2
	v_mul_i32_i24_e32 v2, -12, v0
	v_and_b32_e32 v36, 3, v36
	v_and_b32_e32 v1, 0x1f8, v1
	v_mov_b32_e32 v35, 0
	v_add_u32_e32 v75, v40, v39
	v_add_u32_e32 v76, v38, v39
	v_cmp_gt_u32_e64 s[14:15], 3, v0
	v_cmp_lt_u32_e64 s[16:17], 63, v0
	v_cmp_eq_u32_e64 s[20:21], 0, v0
	v_cmp_eq_u32_e64 s[22:23], 0, v36
	v_cmp_lt_u32_e64 s[24:25], 1, v36
	v_add_u32_e32 v80, -4, v79
	v_lshl_add_u32 v82, v0, 6, v1
	v_add_u32_e32 v83, v77, v2
	v_mov_b32_e32 v84, 12
	s_branch .LBB119_2
.LBB119_1:                              ;   in Loop: Header=BB119_2 Depth=1
	v_lshrrev_b32_e32 v11, 2, v91
	v_and_b32_e32 v11, 0x3ffffff8, v11
	v_lshl_add_u32 v36, v91, 3, v11
	v_lshrrev_b32_e32 v11, 2, v89
	v_and_b32_e32 v11, 0x3ffffff8, v11
	s_barrier
	ds_write_b64 v36, v[33:34]
	v_lshl_add_u32 v33, v89, 3, v11
	v_lshrrev_b32_e32 v11, 2, v88
	v_and_b32_e32 v11, 0x3ffffff8, v11
	v_lshl_add_u32 v34, v88, 3, v11
	v_lshrrev_b32_e32 v11, 2, v92
	v_and_b32_e32 v11, 0x3ffffff8, v11
	;; [unrolled: 3-line block ×3, first 2 shown]
	v_lshl_add_u32 v38, v90, 3, v11
	ds_write_b64 v33, v[17:18]
	ds_write_b64 v34, v[15:16]
	;; [unrolled: 1-line block ×4, first 2 shown]
	v_lshrrev_b32_e32 v9, 2, v87
	v_and_b32_e32 v9, 0x3ffffff8, v9
	v_lshl_add_u32 v39, v87, 3, v9
	ds_write_b64 v39, v[7:8]
	v_lshrrev_b32_e32 v7, 2, v86
	v_and_b32_e32 v7, 0x3ffffff8, v7
	v_lshl_add_u32 v40, v86, 3, v7
	ds_write_b64 v40, v[5:6]
	;; [unrolled: 4-line block ×3, first 2 shown]
	s_waitcnt lgkmcnt(0)
	s_barrier
	ds_read2_b64 v[15:18], v82 offset1:1
	ds_read2_b64 v[11:14], v82 offset0:2 offset1:3
	ds_read2_b64 v[7:10], v82 offset0:4 offset1:5
	;; [unrolled: 1-line block ×3, first 2 shown]
	s_waitcnt lgkmcnt(0)
	s_barrier
	ds_write_b64 v36, v[31:32]
	ds_write_b64 v33, v[29:30]
	;; [unrolled: 1-line block ×8, first 2 shown]
	s_waitcnt lgkmcnt(0)
	s_barrier
	ds_read2_b64 v[31:34], v82 offset1:1
	ds_read2_b64 v[27:30], v82 offset0:2 offset1:3
	ds_read2_b64 v[23:26], v82 offset0:4 offset1:5
	;; [unrolled: 1-line block ×3, first 2 shown]
	s_add_i32 s37, s37, 1
	v_xor_b32_e32 v16, 0x80000000, v16
	v_xor_b32_e32 v18, 0x80000000, v18
	;; [unrolled: 1-line block ×7, first 2 shown]
	s_cmp_eq_u32 s37, 10
	v_xor_b32_e32 v6, 0x80000000, v6
	s_cbranch_scc1 .LBB119_28
.LBB119_2:                              ; =>This Loop Header: Depth=1
                                        ;     Child Loop BB119_4 Depth 2
	v_xor_b32_e32 v16, 0x80000000, v16
	v_xor_b32_e32 v18, 0x80000000, v18
	;; [unrolled: 1-line block ×8, first 2 shown]
	ds_write2_b64 v68, v[15:16], v[17:18] offset1:1
	ds_write2_b64 v68, v[11:12], v[13:14] offset0:2 offset1:3
	ds_write2_b64 v68, v[7:8], v[9:10] offset0:4 offset1:5
	ds_write2_b64 v68, v[3:4], v[5:6] offset0:6 offset1:7
	; wave barrier
	ds_read_b64 v[36:37], v69
	ds_read_b64 v[38:39], v70 offset:512
	ds_read_b64 v[40:41], v71 offset:1024
	ds_read_b64 v[42:43], v72 offset:1536
	ds_read_b64 v[44:45], v73 offset:2048
	ds_read_b64 v[46:47], v74 offset:2560
	ds_read_b64 v[48:49], v75 offset:3072
	ds_read_b64 v[50:51], v76 offset:3584
	; wave barrier
	s_waitcnt lgkmcnt(14)
	ds_write2_b64 v68, v[31:32], v[33:34] offset1:1
	ds_write2_b64 v68, v[27:28], v[29:30] offset0:2 offset1:3
	s_waitcnt lgkmcnt(14)
	ds_write2_b64 v68, v[23:24], v[25:26] offset0:4 offset1:5
	ds_write2_b64 v68, v[19:20], v[21:22] offset0:6 offset1:7
	; wave barrier
	ds_read_b64 v[52:53], v69
	ds_read_b64 v[54:55], v70 offset:512
	ds_read_b64 v[56:57], v71 offset:1024
	;; [unrolled: 1-line block ×7, first 2 shown]
	v_mov_b32_e32 v11, 0
	v_mov_b32_e32 v12, 0
	s_waitcnt lgkmcnt(0)
	s_barrier
	s_branch .LBB119_4
.LBB119_3:                              ;   in Loop: Header=BB119_4 Depth=2
	s_andn2_b64 vcc, exec, s[26:27]
	s_cbranch_vccz .LBB119_1
.LBB119_4:                              ;   Parent Loop BB119_2 Depth=1
                                        ; =>  This Inner Loop Header: Depth=2
	v_mov_b32_e32 v33, v36
	v_mov_b32_e32 v17, v38
	;; [unrolled: 1-line block ×4, first 2 shown]
	v_lshrrev_b64 v[37:38], v11, v[33:34]
	v_mov_b32_e32 v15, v40
	v_and_b32_e32 v36, 1, v37
	v_add_co_u32_e32 v39, vcc, -1, v36
	v_mov_b32_e32 v16, v41
	v_addc_co_u32_e64 v40, s[26:27], 0, -1, vcc
	v_cmp_ne_u32_e32 vcc, 0, v36
	v_xor_b32_e32 v36, vcc_hi, v40
	v_and_b32_e32 v40, exec_hi, v36
	v_lshlrev_b32_e32 v36, 30, v37
	v_xor_b32_e32 v39, vcc_lo, v39
	v_cmp_gt_i64_e32 vcc, 0, v[35:36]
	v_not_b32_e32 v36, v36
	v_ashrrev_i32_e32 v36, 31, v36
	v_and_b32_e32 v39, exec_lo, v39
	v_xor_b32_e32 v41, vcc_hi, v36
	v_xor_b32_e32 v36, vcc_lo, v36
	v_and_b32_e32 v39, v39, v36
	v_lshlrev_b32_e32 v36, 29, v37
	v_cmp_gt_i64_e32 vcc, 0, v[35:36]
	v_not_b32_e32 v36, v36
	v_ashrrev_i32_e32 v36, 31, v36
	v_and_b32_e32 v40, v40, v41
	v_xor_b32_e32 v41, vcc_hi, v36
	v_xor_b32_e32 v36, vcc_lo, v36
	v_and_b32_e32 v39, v39, v36
	v_lshlrev_b32_e32 v36, 28, v37
	v_cmp_gt_i64_e32 vcc, 0, v[35:36]
	v_not_b32_e32 v36, v36
	v_ashrrev_i32_e32 v36, 31, v36
	v_and_b32_e32 v40, v40, v41
	;; [unrolled: 8-line block ×5, first 2 shown]
	v_xor_b32_e32 v41, vcc_hi, v36
	v_xor_b32_e32 v36, vcc_lo, v36
	v_and_b32_e32 v39, v39, v36
	v_lshlrev_b32_e32 v36, 24, v37
	v_cmp_gt_i64_e32 vcc, 0, v[35:36]
	v_not_b32_e32 v36, v36
	v_ashrrev_i32_e32 v36, 31, v36
	v_mul_u32_u24_sdwa v38, v37, v84 dst_sel:DWORD dst_unused:UNUSED_PAD src0_sel:BYTE_0 src1_sel:DWORD
	v_xor_b32_e32 v37, vcc_hi, v36
	v_xor_b32_e32 v36, vcc_lo, v36
	v_and_b32_e32 v40, v40, v41
	v_and_b32_e32 v36, v39, v36
	;; [unrolled: 1-line block ×3, first 2 shown]
	v_mbcnt_lo_u32_b32 v39, v36, 0
	v_mbcnt_hi_u32_b32 v40, v37, v39
	v_cmp_ne_u64_e32 vcc, 0, v[36:37]
	v_mov_b32_e32 v3, v50
	v_mov_b32_e32 v5, v48
	;; [unrolled: 1-line block ×13, first 2 shown]
	v_cmp_eq_u32_e64 s[26:27], 0, v40
	v_mov_b32_e32 v4, v51
	v_mov_b32_e32 v6, v49
	;; [unrolled: 1-line block ×13, first 2 shown]
	s_and_b64 s[28:29], vcc, s[26:27]
	v_add_u32_e32 v41, v81, v38
	ds_write2_b32 v77, v35, v35 offset0:3 offset1:4
	ds_write2_b32 v77, v35, v35 offset0:5 offset1:6
	s_waitcnt lgkmcnt(0)
	s_barrier
	; wave barrier
	s_and_saveexec_b64 s[26:27], s[28:29]
; %bb.5:                                ;   in Loop: Header=BB119_4 Depth=2
	v_bcnt_u32_b32 v36, v36, 0
	v_bcnt_u32_b32 v36, v37, v36
	ds_write_b32 v41, v36 offset:12
; %bb.6:                                ;   in Loop: Header=BB119_4 Depth=2
	s_or_b64 exec, exec, s[26:27]
	v_lshrrev_b64 v[37:38], v11, v[17:18]
	v_and_b32_e32 v36, 0xff, v37
	v_mul_u32_u24_e32 v38, 12, v36
	v_mad_u32_u24 v36, v36, 12, v81
	; wave barrier
	ds_read_b32 v42, v36 offset:12
	v_and_b32_e32 v36, 1, v37
	v_add_co_u32_e32 v39, vcc, -1, v36
	v_addc_co_u32_e64 v43, s[26:27], 0, -1, vcc
	v_cmp_ne_u32_e32 vcc, 0, v36
	v_xor_b32_e32 v36, vcc_hi, v43
	v_and_b32_e32 v43, exec_hi, v36
	v_lshlrev_b32_e32 v36, 30, v37
	v_xor_b32_e32 v39, vcc_lo, v39
	v_cmp_gt_i64_e32 vcc, 0, v[35:36]
	v_not_b32_e32 v36, v36
	v_ashrrev_i32_e32 v36, 31, v36
	v_and_b32_e32 v39, exec_lo, v39
	v_xor_b32_e32 v44, vcc_hi, v36
	v_xor_b32_e32 v36, vcc_lo, v36
	v_and_b32_e32 v39, v39, v36
	v_lshlrev_b32_e32 v36, 29, v37
	v_cmp_gt_i64_e32 vcc, 0, v[35:36]
	v_not_b32_e32 v36, v36
	v_ashrrev_i32_e32 v36, 31, v36
	v_and_b32_e32 v43, v43, v44
	v_xor_b32_e32 v44, vcc_hi, v36
	v_xor_b32_e32 v36, vcc_lo, v36
	v_and_b32_e32 v39, v39, v36
	v_lshlrev_b32_e32 v36, 28, v37
	v_cmp_gt_i64_e32 vcc, 0, v[35:36]
	v_not_b32_e32 v36, v36
	v_ashrrev_i32_e32 v36, 31, v36
	v_and_b32_e32 v43, v43, v44
	;; [unrolled: 8-line block ×5, first 2 shown]
	v_xor_b32_e32 v44, vcc_hi, v36
	v_xor_b32_e32 v36, vcc_lo, v36
	v_and_b32_e32 v39, v39, v36
	v_lshlrev_b32_e32 v36, 24, v37
	v_cmp_gt_i64_e32 vcc, 0, v[35:36]
	v_not_b32_e32 v36, v36
	v_ashrrev_i32_e32 v36, 31, v36
	v_xor_b32_e32 v37, vcc_hi, v36
	v_xor_b32_e32 v36, vcc_lo, v36
	v_and_b32_e32 v43, v43, v44
	v_and_b32_e32 v36, v39, v36
	;; [unrolled: 1-line block ×3, first 2 shown]
	v_mbcnt_lo_u32_b32 v39, v36, 0
	v_mbcnt_hi_u32_b32 v43, v37, v39
	v_cmp_ne_u64_e32 vcc, 0, v[36:37]
	v_cmp_eq_u32_e64 s[26:27], 0, v43
	s_and_b64 s[28:29], vcc, s[26:27]
	v_add_u32_e32 v44, v81, v38
	; wave barrier
	s_and_saveexec_b64 s[26:27], s[28:29]
	s_cbranch_execz .LBB119_8
; %bb.7:                                ;   in Loop: Header=BB119_4 Depth=2
	v_bcnt_u32_b32 v36, v36, 0
	v_bcnt_u32_b32 v36, v37, v36
	s_waitcnt lgkmcnt(0)
	v_add_u32_e32 v36, v42, v36
	ds_write_b32 v44, v36 offset:12
.LBB119_8:                              ;   in Loop: Header=BB119_4 Depth=2
	s_or_b64 exec, exec, s[26:27]
	v_lshrrev_b64 v[37:38], v11, v[15:16]
	v_and_b32_e32 v36, 0xff, v37
	v_mul_u32_u24_e32 v38, 12, v36
	v_mad_u32_u24 v36, v36, 12, v81
	; wave barrier
	ds_read_b32 v45, v36 offset:12
	v_and_b32_e32 v36, 1, v37
	v_add_co_u32_e32 v39, vcc, -1, v36
	v_addc_co_u32_e64 v46, s[26:27], 0, -1, vcc
	v_cmp_ne_u32_e32 vcc, 0, v36
	v_xor_b32_e32 v36, vcc_hi, v46
	v_and_b32_e32 v46, exec_hi, v36
	v_lshlrev_b32_e32 v36, 30, v37
	v_xor_b32_e32 v39, vcc_lo, v39
	v_cmp_gt_i64_e32 vcc, 0, v[35:36]
	v_not_b32_e32 v36, v36
	v_ashrrev_i32_e32 v36, 31, v36
	v_and_b32_e32 v39, exec_lo, v39
	v_xor_b32_e32 v47, vcc_hi, v36
	v_xor_b32_e32 v36, vcc_lo, v36
	v_and_b32_e32 v39, v39, v36
	v_lshlrev_b32_e32 v36, 29, v37
	v_cmp_gt_i64_e32 vcc, 0, v[35:36]
	v_not_b32_e32 v36, v36
	v_ashrrev_i32_e32 v36, 31, v36
	v_and_b32_e32 v46, v46, v47
	v_xor_b32_e32 v47, vcc_hi, v36
	v_xor_b32_e32 v36, vcc_lo, v36
	v_and_b32_e32 v39, v39, v36
	v_lshlrev_b32_e32 v36, 28, v37
	v_cmp_gt_i64_e32 vcc, 0, v[35:36]
	v_not_b32_e32 v36, v36
	v_ashrrev_i32_e32 v36, 31, v36
	v_and_b32_e32 v46, v46, v47
	;; [unrolled: 8-line block ×5, first 2 shown]
	v_xor_b32_e32 v47, vcc_hi, v36
	v_xor_b32_e32 v36, vcc_lo, v36
	v_and_b32_e32 v39, v39, v36
	v_lshlrev_b32_e32 v36, 24, v37
	v_cmp_gt_i64_e32 vcc, 0, v[35:36]
	v_not_b32_e32 v36, v36
	v_ashrrev_i32_e32 v36, 31, v36
	v_xor_b32_e32 v37, vcc_hi, v36
	v_xor_b32_e32 v36, vcc_lo, v36
	v_and_b32_e32 v46, v46, v47
	v_and_b32_e32 v36, v39, v36
	;; [unrolled: 1-line block ×3, first 2 shown]
	v_mbcnt_lo_u32_b32 v39, v36, 0
	v_mbcnt_hi_u32_b32 v46, v37, v39
	v_cmp_ne_u64_e32 vcc, 0, v[36:37]
	v_cmp_eq_u32_e64 s[26:27], 0, v46
	s_and_b64 s[28:29], vcc, s[26:27]
	v_add_u32_e32 v47, v81, v38
	; wave barrier
	s_and_saveexec_b64 s[26:27], s[28:29]
	s_cbranch_execz .LBB119_10
; %bb.9:                                ;   in Loop: Header=BB119_4 Depth=2
	v_bcnt_u32_b32 v36, v36, 0
	v_bcnt_u32_b32 v36, v37, v36
	s_waitcnt lgkmcnt(0)
	v_add_u32_e32 v36, v45, v36
	ds_write_b32 v47, v36 offset:12
.LBB119_10:                             ;   in Loop: Header=BB119_4 Depth=2
	s_or_b64 exec, exec, s[26:27]
	v_lshrrev_b64 v[37:38], v11, v[13:14]
	v_and_b32_e32 v36, 0xff, v37
	v_mul_u32_u24_e32 v38, 12, v36
	v_mad_u32_u24 v36, v36, 12, v81
	; wave barrier
	ds_read_b32 v48, v36 offset:12
	v_and_b32_e32 v36, 1, v37
	v_add_co_u32_e32 v39, vcc, -1, v36
	v_addc_co_u32_e64 v49, s[26:27], 0, -1, vcc
	v_cmp_ne_u32_e32 vcc, 0, v36
	v_xor_b32_e32 v36, vcc_hi, v49
	v_and_b32_e32 v49, exec_hi, v36
	v_lshlrev_b32_e32 v36, 30, v37
	v_xor_b32_e32 v39, vcc_lo, v39
	v_cmp_gt_i64_e32 vcc, 0, v[35:36]
	v_not_b32_e32 v36, v36
	v_ashrrev_i32_e32 v36, 31, v36
	v_and_b32_e32 v39, exec_lo, v39
	v_xor_b32_e32 v50, vcc_hi, v36
	v_xor_b32_e32 v36, vcc_lo, v36
	v_and_b32_e32 v39, v39, v36
	v_lshlrev_b32_e32 v36, 29, v37
	v_cmp_gt_i64_e32 vcc, 0, v[35:36]
	v_not_b32_e32 v36, v36
	v_ashrrev_i32_e32 v36, 31, v36
	v_and_b32_e32 v49, v49, v50
	v_xor_b32_e32 v50, vcc_hi, v36
	v_xor_b32_e32 v36, vcc_lo, v36
	v_and_b32_e32 v39, v39, v36
	v_lshlrev_b32_e32 v36, 28, v37
	v_cmp_gt_i64_e32 vcc, 0, v[35:36]
	v_not_b32_e32 v36, v36
	v_ashrrev_i32_e32 v36, 31, v36
	v_and_b32_e32 v49, v49, v50
	;; [unrolled: 8-line block ×5, first 2 shown]
	v_xor_b32_e32 v50, vcc_hi, v36
	v_xor_b32_e32 v36, vcc_lo, v36
	v_and_b32_e32 v39, v39, v36
	v_lshlrev_b32_e32 v36, 24, v37
	v_cmp_gt_i64_e32 vcc, 0, v[35:36]
	v_not_b32_e32 v36, v36
	v_ashrrev_i32_e32 v36, 31, v36
	v_xor_b32_e32 v37, vcc_hi, v36
	v_xor_b32_e32 v36, vcc_lo, v36
	v_and_b32_e32 v49, v49, v50
	v_and_b32_e32 v36, v39, v36
	;; [unrolled: 1-line block ×3, first 2 shown]
	v_mbcnt_lo_u32_b32 v39, v36, 0
	v_mbcnt_hi_u32_b32 v49, v37, v39
	v_cmp_ne_u64_e32 vcc, 0, v[36:37]
	v_cmp_eq_u32_e64 s[26:27], 0, v49
	s_and_b64 s[28:29], vcc, s[26:27]
	v_add_u32_e32 v50, v81, v38
	; wave barrier
	s_and_saveexec_b64 s[26:27], s[28:29]
	s_cbranch_execz .LBB119_12
; %bb.11:                               ;   in Loop: Header=BB119_4 Depth=2
	v_bcnt_u32_b32 v36, v36, 0
	v_bcnt_u32_b32 v36, v37, v36
	s_waitcnt lgkmcnt(0)
	v_add_u32_e32 v36, v48, v36
	ds_write_b32 v50, v36 offset:12
.LBB119_12:                             ;   in Loop: Header=BB119_4 Depth=2
	s_or_b64 exec, exec, s[26:27]
	v_lshrrev_b64 v[37:38], v11, v[9:10]
	v_and_b32_e32 v36, 0xff, v37
	v_mul_u32_u24_e32 v38, 12, v36
	v_mad_u32_u24 v36, v36, 12, v81
	; wave barrier
	ds_read_b32 v51, v36 offset:12
	v_and_b32_e32 v36, 1, v37
	v_add_co_u32_e32 v39, vcc, -1, v36
	v_addc_co_u32_e64 v52, s[26:27], 0, -1, vcc
	v_cmp_ne_u32_e32 vcc, 0, v36
	v_xor_b32_e32 v36, vcc_hi, v52
	v_and_b32_e32 v52, exec_hi, v36
	v_lshlrev_b32_e32 v36, 30, v37
	v_xor_b32_e32 v39, vcc_lo, v39
	v_cmp_gt_i64_e32 vcc, 0, v[35:36]
	v_not_b32_e32 v36, v36
	v_ashrrev_i32_e32 v36, 31, v36
	v_and_b32_e32 v39, exec_lo, v39
	v_xor_b32_e32 v53, vcc_hi, v36
	v_xor_b32_e32 v36, vcc_lo, v36
	v_and_b32_e32 v39, v39, v36
	v_lshlrev_b32_e32 v36, 29, v37
	v_cmp_gt_i64_e32 vcc, 0, v[35:36]
	v_not_b32_e32 v36, v36
	v_ashrrev_i32_e32 v36, 31, v36
	v_and_b32_e32 v52, v52, v53
	v_xor_b32_e32 v53, vcc_hi, v36
	v_xor_b32_e32 v36, vcc_lo, v36
	v_and_b32_e32 v39, v39, v36
	v_lshlrev_b32_e32 v36, 28, v37
	v_cmp_gt_i64_e32 vcc, 0, v[35:36]
	v_not_b32_e32 v36, v36
	v_ashrrev_i32_e32 v36, 31, v36
	v_and_b32_e32 v52, v52, v53
	;; [unrolled: 8-line block ×5, first 2 shown]
	v_xor_b32_e32 v53, vcc_hi, v36
	v_xor_b32_e32 v36, vcc_lo, v36
	v_and_b32_e32 v39, v39, v36
	v_lshlrev_b32_e32 v36, 24, v37
	v_cmp_gt_i64_e32 vcc, 0, v[35:36]
	v_not_b32_e32 v36, v36
	v_ashrrev_i32_e32 v36, 31, v36
	v_xor_b32_e32 v37, vcc_hi, v36
	v_xor_b32_e32 v36, vcc_lo, v36
	v_and_b32_e32 v52, v52, v53
	v_and_b32_e32 v36, v39, v36
	;; [unrolled: 1-line block ×3, first 2 shown]
	v_mbcnt_lo_u32_b32 v39, v36, 0
	v_mbcnt_hi_u32_b32 v52, v37, v39
	v_cmp_ne_u64_e32 vcc, 0, v[36:37]
	v_cmp_eq_u32_e64 s[26:27], 0, v52
	s_and_b64 s[28:29], vcc, s[26:27]
	v_add_u32_e32 v53, v81, v38
	; wave barrier
	s_and_saveexec_b64 s[26:27], s[28:29]
	s_cbranch_execz .LBB119_14
; %bb.13:                               ;   in Loop: Header=BB119_4 Depth=2
	v_bcnt_u32_b32 v36, v36, 0
	v_bcnt_u32_b32 v36, v37, v36
	s_waitcnt lgkmcnt(0)
	v_add_u32_e32 v36, v51, v36
	ds_write_b32 v53, v36 offset:12
.LBB119_14:                             ;   in Loop: Header=BB119_4 Depth=2
	s_or_b64 exec, exec, s[26:27]
	v_lshrrev_b64 v[37:38], v11, v[7:8]
	v_and_b32_e32 v36, 0xff, v37
	v_mul_u32_u24_e32 v38, 12, v36
	v_mad_u32_u24 v36, v36, 12, v81
	; wave barrier
	ds_read_b32 v54, v36 offset:12
	v_and_b32_e32 v36, 1, v37
	v_add_co_u32_e32 v39, vcc, -1, v36
	v_addc_co_u32_e64 v55, s[26:27], 0, -1, vcc
	v_cmp_ne_u32_e32 vcc, 0, v36
	v_xor_b32_e32 v36, vcc_hi, v55
	v_and_b32_e32 v55, exec_hi, v36
	v_lshlrev_b32_e32 v36, 30, v37
	v_xor_b32_e32 v39, vcc_lo, v39
	v_cmp_gt_i64_e32 vcc, 0, v[35:36]
	v_not_b32_e32 v36, v36
	v_ashrrev_i32_e32 v36, 31, v36
	v_and_b32_e32 v39, exec_lo, v39
	v_xor_b32_e32 v56, vcc_hi, v36
	v_xor_b32_e32 v36, vcc_lo, v36
	v_and_b32_e32 v39, v39, v36
	v_lshlrev_b32_e32 v36, 29, v37
	v_cmp_gt_i64_e32 vcc, 0, v[35:36]
	v_not_b32_e32 v36, v36
	v_ashrrev_i32_e32 v36, 31, v36
	v_and_b32_e32 v55, v55, v56
	v_xor_b32_e32 v56, vcc_hi, v36
	v_xor_b32_e32 v36, vcc_lo, v36
	v_and_b32_e32 v39, v39, v36
	v_lshlrev_b32_e32 v36, 28, v37
	v_cmp_gt_i64_e32 vcc, 0, v[35:36]
	v_not_b32_e32 v36, v36
	v_ashrrev_i32_e32 v36, 31, v36
	v_and_b32_e32 v55, v55, v56
	;; [unrolled: 8-line block ×5, first 2 shown]
	v_xor_b32_e32 v56, vcc_hi, v36
	v_xor_b32_e32 v36, vcc_lo, v36
	v_and_b32_e32 v39, v39, v36
	v_lshlrev_b32_e32 v36, 24, v37
	v_cmp_gt_i64_e32 vcc, 0, v[35:36]
	v_not_b32_e32 v36, v36
	v_ashrrev_i32_e32 v36, 31, v36
	v_xor_b32_e32 v37, vcc_hi, v36
	v_xor_b32_e32 v36, vcc_lo, v36
	v_and_b32_e32 v55, v55, v56
	v_and_b32_e32 v36, v39, v36
	;; [unrolled: 1-line block ×3, first 2 shown]
	v_mbcnt_lo_u32_b32 v39, v36, 0
	v_mbcnt_hi_u32_b32 v55, v37, v39
	v_cmp_ne_u64_e32 vcc, 0, v[36:37]
	v_cmp_eq_u32_e64 s[26:27], 0, v55
	s_and_b64 s[28:29], vcc, s[26:27]
	v_add_u32_e32 v56, v81, v38
	; wave barrier
	s_and_saveexec_b64 s[26:27], s[28:29]
	s_cbranch_execz .LBB119_16
; %bb.15:                               ;   in Loop: Header=BB119_4 Depth=2
	v_bcnt_u32_b32 v36, v36, 0
	v_bcnt_u32_b32 v36, v37, v36
	s_waitcnt lgkmcnt(0)
	v_add_u32_e32 v36, v54, v36
	ds_write_b32 v56, v36 offset:12
.LBB119_16:                             ;   in Loop: Header=BB119_4 Depth=2
	s_or_b64 exec, exec, s[26:27]
	v_lshrrev_b64 v[37:38], v11, v[5:6]
	v_and_b32_e32 v36, 0xff, v37
	v_mul_u32_u24_e32 v38, 12, v36
	v_mad_u32_u24 v36, v36, 12, v81
	; wave barrier
	ds_read_b32 v57, v36 offset:12
	v_and_b32_e32 v36, 1, v37
	v_add_co_u32_e32 v39, vcc, -1, v36
	v_addc_co_u32_e64 v58, s[26:27], 0, -1, vcc
	v_cmp_ne_u32_e32 vcc, 0, v36
	v_xor_b32_e32 v36, vcc_hi, v58
	v_and_b32_e32 v58, exec_hi, v36
	v_lshlrev_b32_e32 v36, 30, v37
	v_xor_b32_e32 v39, vcc_lo, v39
	v_cmp_gt_i64_e32 vcc, 0, v[35:36]
	v_not_b32_e32 v36, v36
	v_ashrrev_i32_e32 v36, 31, v36
	v_and_b32_e32 v39, exec_lo, v39
	v_xor_b32_e32 v59, vcc_hi, v36
	v_xor_b32_e32 v36, vcc_lo, v36
	v_and_b32_e32 v39, v39, v36
	v_lshlrev_b32_e32 v36, 29, v37
	v_cmp_gt_i64_e32 vcc, 0, v[35:36]
	v_not_b32_e32 v36, v36
	v_ashrrev_i32_e32 v36, 31, v36
	v_and_b32_e32 v58, v58, v59
	v_xor_b32_e32 v59, vcc_hi, v36
	v_xor_b32_e32 v36, vcc_lo, v36
	v_and_b32_e32 v39, v39, v36
	v_lshlrev_b32_e32 v36, 28, v37
	v_cmp_gt_i64_e32 vcc, 0, v[35:36]
	v_not_b32_e32 v36, v36
	v_ashrrev_i32_e32 v36, 31, v36
	v_and_b32_e32 v58, v58, v59
	v_xor_b32_e32 v59, vcc_hi, v36
	v_xor_b32_e32 v36, vcc_lo, v36
	v_and_b32_e32 v39, v39, v36
	v_lshlrev_b32_e32 v36, 27, v37
	v_cmp_gt_i64_e32 vcc, 0, v[35:36]
	v_not_b32_e32 v36, v36
	v_ashrrev_i32_e32 v36, 31, v36
	v_and_b32_e32 v58, v58, v59
	v_xor_b32_e32 v59, vcc_hi, v36
	v_xor_b32_e32 v36, vcc_lo, v36
	v_and_b32_e32 v39, v39, v36
	v_lshlrev_b32_e32 v36, 26, v37
	v_cmp_gt_i64_e32 vcc, 0, v[35:36]
	v_not_b32_e32 v36, v36
	v_ashrrev_i32_e32 v36, 31, v36
	v_and_b32_e32 v58, v58, v59
	v_xor_b32_e32 v59, vcc_hi, v36
	v_xor_b32_e32 v36, vcc_lo, v36
	v_and_b32_e32 v39, v39, v36
	v_lshlrev_b32_e32 v36, 25, v37
	v_cmp_gt_i64_e32 vcc, 0, v[35:36]
	v_not_b32_e32 v36, v36
	v_ashrrev_i32_e32 v36, 31, v36
	v_and_b32_e32 v58, v58, v59
	v_xor_b32_e32 v59, vcc_hi, v36
	v_xor_b32_e32 v36, vcc_lo, v36
	v_and_b32_e32 v39, v39, v36
	v_lshlrev_b32_e32 v36, 24, v37
	v_cmp_gt_i64_e32 vcc, 0, v[35:36]
	v_not_b32_e32 v36, v36
	v_ashrrev_i32_e32 v36, 31, v36
	v_xor_b32_e32 v37, vcc_hi, v36
	v_xor_b32_e32 v36, vcc_lo, v36
	v_and_b32_e32 v58, v58, v59
	v_and_b32_e32 v36, v39, v36
	;; [unrolled: 1-line block ×3, first 2 shown]
	v_mbcnt_lo_u32_b32 v39, v36, 0
	v_mbcnt_hi_u32_b32 v58, v37, v39
	v_cmp_ne_u64_e32 vcc, 0, v[36:37]
	v_cmp_eq_u32_e64 s[26:27], 0, v58
	s_and_b64 s[28:29], vcc, s[26:27]
	v_add_u32_e32 v59, v81, v38
	; wave barrier
	s_and_saveexec_b64 s[26:27], s[28:29]
	s_cbranch_execz .LBB119_18
; %bb.17:                               ;   in Loop: Header=BB119_4 Depth=2
	v_bcnt_u32_b32 v36, v36, 0
	v_bcnt_u32_b32 v36, v37, v36
	s_waitcnt lgkmcnt(0)
	v_add_u32_e32 v36, v57, v36
	ds_write_b32 v59, v36 offset:12
.LBB119_18:                             ;   in Loop: Header=BB119_4 Depth=2
	s_or_b64 exec, exec, s[26:27]
	v_lshrrev_b64 v[37:38], v11, v[3:4]
	v_and_b32_e32 v36, 0xff, v37
	v_mul_u32_u24_e32 v38, 12, v36
	v_mad_u32_u24 v36, v36, 12, v81
	; wave barrier
	ds_read_b32 v60, v36 offset:12
	v_and_b32_e32 v36, 1, v37
	v_add_co_u32_e32 v39, vcc, -1, v36
	v_addc_co_u32_e64 v61, s[26:27], 0, -1, vcc
	v_cmp_ne_u32_e32 vcc, 0, v36
	v_xor_b32_e32 v36, vcc_hi, v61
	v_and_b32_e32 v61, exec_hi, v36
	v_lshlrev_b32_e32 v36, 30, v37
	v_xor_b32_e32 v39, vcc_lo, v39
	v_cmp_gt_i64_e32 vcc, 0, v[35:36]
	v_not_b32_e32 v36, v36
	v_ashrrev_i32_e32 v36, 31, v36
	v_and_b32_e32 v39, exec_lo, v39
	v_xor_b32_e32 v62, vcc_hi, v36
	v_xor_b32_e32 v36, vcc_lo, v36
	v_and_b32_e32 v39, v39, v36
	v_lshlrev_b32_e32 v36, 29, v37
	v_cmp_gt_i64_e32 vcc, 0, v[35:36]
	v_not_b32_e32 v36, v36
	v_ashrrev_i32_e32 v36, 31, v36
	v_and_b32_e32 v61, v61, v62
	v_xor_b32_e32 v62, vcc_hi, v36
	v_xor_b32_e32 v36, vcc_lo, v36
	v_and_b32_e32 v39, v39, v36
	v_lshlrev_b32_e32 v36, 28, v37
	v_cmp_gt_i64_e32 vcc, 0, v[35:36]
	v_not_b32_e32 v36, v36
	v_ashrrev_i32_e32 v36, 31, v36
	v_and_b32_e32 v61, v61, v62
	;; [unrolled: 8-line block ×5, first 2 shown]
	v_xor_b32_e32 v62, vcc_hi, v36
	v_xor_b32_e32 v36, vcc_lo, v36
	v_and_b32_e32 v39, v39, v36
	v_lshlrev_b32_e32 v36, 24, v37
	v_cmp_gt_i64_e32 vcc, 0, v[35:36]
	v_not_b32_e32 v36, v36
	v_ashrrev_i32_e32 v36, 31, v36
	v_xor_b32_e32 v37, vcc_hi, v36
	v_xor_b32_e32 v36, vcc_lo, v36
	v_and_b32_e32 v61, v61, v62
	v_and_b32_e32 v36, v39, v36
	v_and_b32_e32 v37, v61, v37
	v_mbcnt_lo_u32_b32 v39, v36, 0
	v_mbcnt_hi_u32_b32 v61, v37, v39
	v_cmp_ne_u64_e32 vcc, 0, v[36:37]
	v_cmp_eq_u32_e64 s[26:27], 0, v61
	s_and_b64 s[28:29], vcc, s[26:27]
	v_add_u32_e32 v62, v81, v38
	; wave barrier
	s_and_saveexec_b64 s[26:27], s[28:29]
	s_cbranch_execz .LBB119_20
; %bb.19:                               ;   in Loop: Header=BB119_4 Depth=2
	v_bcnt_u32_b32 v36, v36, 0
	v_bcnt_u32_b32 v36, v37, v36
	s_waitcnt lgkmcnt(0)
	v_add_u32_e32 v36, v60, v36
	ds_write_b32 v62, v36 offset:12
.LBB119_20:                             ;   in Loop: Header=BB119_4 Depth=2
	s_or_b64 exec, exec, s[26:27]
	; wave barrier
	s_waitcnt lgkmcnt(0)
	s_barrier
	ds_read2_b32 v[38:39], v77 offset0:3 offset1:4
	ds_read2_b32 v[36:37], v77 offset0:5 offset1:6
	s_waitcnt lgkmcnt(1)
	v_add_u32_e32 v63, v39, v38
	s_waitcnt lgkmcnt(0)
	v_add3_u32 v37, v63, v36, v37
	s_nop 1
	v_mov_b32_dpp v63, v37 row_shr:1 row_mask:0xf bank_mask:0xf
	v_cndmask_b32_e64 v63, v63, 0, s[0:1]
	v_add_u32_e32 v37, v63, v37
	s_nop 1
	v_mov_b32_dpp v63, v37 row_shr:2 row_mask:0xf bank_mask:0xf
	v_cndmask_b32_e64 v63, 0, v63, s[2:3]
	v_add_u32_e32 v37, v37, v63
	;; [unrolled: 4-line block ×4, first 2 shown]
	s_nop 1
	v_mov_b32_dpp v63, v37 row_bcast:15 row_mask:0xf bank_mask:0xf
	v_cndmask_b32_e64 v63, v63, 0, s[8:9]
	v_add_u32_e32 v37, v37, v63
	s_nop 1
	v_mov_b32_dpp v63, v37 row_bcast:31 row_mask:0xf bank_mask:0xf
	v_cndmask_b32_e64 v63, 0, v63, s[10:11]
	v_add_u32_e32 v37, v37, v63
	s_and_saveexec_b64 s[26:27], s[12:13]
; %bb.21:                               ;   in Loop: Header=BB119_4 Depth=2
	ds_write_b32 v79, v37
; %bb.22:                               ;   in Loop: Header=BB119_4 Depth=2
	s_or_b64 exec, exec, s[26:27]
	s_waitcnt lgkmcnt(0)
	s_barrier
	s_and_saveexec_b64 s[26:27], s[14:15]
	s_cbranch_execz .LBB119_24
; %bb.23:                               ;   in Loop: Header=BB119_4 Depth=2
	ds_read_b32 v63, v83
	s_waitcnt lgkmcnt(0)
	s_nop 0
	v_mov_b32_dpp v64, v63 row_shr:1 row_mask:0xf bank_mask:0xf
	v_cndmask_b32_e64 v64, v64, 0, s[22:23]
	v_add_u32_e32 v63, v64, v63
	s_nop 1
	v_mov_b32_dpp v64, v63 row_shr:2 row_mask:0xf bank_mask:0xf
	v_cndmask_b32_e64 v64, 0, v64, s[24:25]
	v_add_u32_e32 v63, v63, v64
	ds_write_b32 v83, v63
.LBB119_24:                             ;   in Loop: Header=BB119_4 Depth=2
	s_or_b64 exec, exec, s[26:27]
	v_mov_b32_e32 v63, 0
	s_waitcnt lgkmcnt(0)
	s_barrier
	s_and_saveexec_b64 s[26:27], s[16:17]
; %bb.25:                               ;   in Loop: Header=BB119_4 Depth=2
	ds_read_b32 v63, v80
; %bb.26:                               ;   in Loop: Header=BB119_4 Depth=2
	s_or_b64 exec, exec, s[26:27]
	s_waitcnt lgkmcnt(0)
	v_add_u32_e32 v37, v63, v37
	ds_bpermute_b32 v37, v78, v37
	v_cmp_lt_u32_e32 vcc, 55, v11
	s_and_b64 vcc, exec, vcc
	s_mov_b64 s[26:27], -1
                                        ; implicit-def: $vgpr66_vgpr67
                                        ; implicit-def: $vgpr64_vgpr65
	s_waitcnt lgkmcnt(0)
	v_cndmask_b32_e64 v37, v37, v63, s[18:19]
	v_cndmask_b32_e64 v37, v37, 0, s[20:21]
	v_add_u32_e32 v38, v37, v38
	v_add_u32_e32 v39, v38, v39
	;; [unrolled: 1-line block ×3, first 2 shown]
	ds_write2_b32 v77, v37, v38 offset0:3 offset1:4
	ds_write2_b32 v77, v39, v36 offset0:5 offset1:6
	s_waitcnt lgkmcnt(0)
	s_barrier
	ds_read_b32 v36, v41 offset:12
	ds_read_b32 v37, v44 offset:12
	;; [unrolled: 1-line block ×3, first 2 shown]
	s_waitcnt lgkmcnt(2)
	v_add_u32_e32 v91, v36, v40
	s_waitcnt lgkmcnt(1)
	v_add3_u32 v89, v43, v42, v37
	ds_read_b32 v36, v50 offset:12
	s_waitcnt lgkmcnt(1)
	v_add3_u32 v88, v46, v45, v38
	ds_read_b32 v37, v53 offset:12
	ds_read_b32 v38, v56 offset:12
	;; [unrolled: 1-line block ×4, first 2 shown]
                                        ; implicit-def: $vgpr46_vgpr47
                                        ; implicit-def: $vgpr44_vgpr45
                                        ; implicit-def: $vgpr42_vgpr43
                                        ; implicit-def: $vgpr62_vgpr63
	s_waitcnt lgkmcnt(3)
	v_add3_u32 v90, v52, v51, v37
	v_add3_u32 v92, v49, v48, v36
	s_waitcnt lgkmcnt(2)
	v_add3_u32 v87, v55, v54, v38
	s_waitcnt lgkmcnt(1)
	;; [unrolled: 2-line block ×3, first 2 shown]
	v_add3_u32 v85, v61, v60, v40
                                        ; implicit-def: $vgpr50_vgpr51
                                        ; implicit-def: $vgpr48_vgpr49
                                        ; implicit-def: $vgpr40_vgpr41
                                        ; implicit-def: $vgpr38_vgpr39
                                        ; implicit-def: $vgpr36_vgpr37
                                        ; implicit-def: $vgpr60_vgpr61
                                        ; implicit-def: $vgpr58_vgpr59
                                        ; implicit-def: $vgpr56_vgpr57
                                        ; implicit-def: $vgpr54_vgpr55
                                        ; implicit-def: $vgpr52_vgpr53
	s_cbranch_vccnz .LBB119_3
; %bb.27:                               ;   in Loop: Header=BB119_4 Depth=2
	v_lshrrev_b32_e32 v36, 2, v91
	v_and_b32_e32 v36, 0x3ffffff8, v36
	v_lshl_add_u32 v52, v91, 3, v36
	v_lshrrev_b32_e32 v36, 2, v89
	v_and_b32_e32 v36, 0x3ffffff8, v36
	v_lshl_add_u32 v53, v89, 3, v36
	;; [unrolled: 3-line block ×8, first 2 shown]
	s_barrier
	ds_write_b64 v52, v[33:34]
	ds_write_b64 v53, v[17:18]
	ds_write_b64 v54, v[15:16]
	ds_write_b64 v55, v[13:14]
	ds_write_b64 v56, v[9:10]
	ds_write_b64 v57, v[7:8]
	ds_write_b64 v58, v[5:6]
	ds_write_b64 v59, v[3:4]
	s_waitcnt lgkmcnt(0)
	s_barrier
	ds_read_b64 v[36:37], v69
	ds_read_b64 v[38:39], v70 offset:512
	ds_read_b64 v[40:41], v71 offset:1024
	;; [unrolled: 1-line block ×7, first 2 shown]
	s_waitcnt lgkmcnt(0)
	s_barrier
	ds_write_b64 v52, v[31:32]
	ds_write_b64 v53, v[29:30]
	;; [unrolled: 1-line block ×8, first 2 shown]
	s_waitcnt lgkmcnt(0)
	s_barrier
	ds_read_b64 v[52:53], v69
	ds_read_b64 v[54:55], v70 offset:512
	ds_read_b64 v[56:57], v71 offset:1024
	;; [unrolled: 1-line block ×7, first 2 shown]
	v_add_co_u32_e32 v11, vcc, 8, v11
	v_addc_co_u32_e32 v12, vcc, 0, v12, vcc
	s_mov_b64 s[26:27], 0
	s_waitcnt lgkmcnt(0)
	s_barrier
	s_branch .LBB119_3
.LBB119_28:
	s_waitcnt lgkmcnt(3)
	v_add_co_u32_e32 v1, vcc, v15, v31
	v_addc_co_u32_e32 v2, vcc, v16, v32, vcc
	v_add_co_u32_e32 v15, vcc, v17, v33
	v_addc_co_u32_e32 v16, vcc, v18, v34, vcc
	s_waitcnt lgkmcnt(2)
	v_add_co_u32_e32 v11, vcc, v11, v27
	v_addc_co_u32_e32 v12, vcc, v12, v28, vcc
	v_add_co_u32_e32 v13, vcc, v13, v29
	v_addc_co_u32_e32 v14, vcc, v14, v30, vcc
	;; [unrolled: 5-line block ×3, first 2 shown]
	s_waitcnt lgkmcnt(0)
	v_add_co_u32_e32 v3, vcc, v3, v19
	v_addc_co_u32_e32 v4, vcc, v4, v20, vcc
	v_add_co_u32_e32 v5, vcc, v5, v21
	s_add_u32 s0, s30, s34
	v_addc_co_u32_e32 v6, vcc, v6, v22, vcc
	s_addc_u32 s1, s31, s35
	v_lshlrev_b32_e32 v0, 3, v0
	v_mov_b32_e32 v17, s1
	v_add_co_u32_e32 v18, vcc, s0, v0
	v_addc_co_u32_e32 v17, vcc, 0, v17, vcc
	global_store_dwordx2 v0, v[1:2], s[0:1]
	global_store_dwordx2 v0, v[15:16], s[0:1] offset:1536
	global_store_dwordx2 v0, v[11:12], s[0:1] offset:3072
	v_add_co_u32_e32 v0, vcc, 0x1000, v18
	v_addc_co_u32_e32 v1, vcc, 0, v17, vcc
	global_store_dwordx2 v[0:1], v[13:14], off offset:512
	global_store_dwordx2 v[0:1], v[7:8], off offset:2048
	;; [unrolled: 1-line block ×3, first 2 shown]
	v_add_co_u32_e32 v0, vcc, 0x2000, v18
	v_addc_co_u32_e32 v1, vcc, 0, v17, vcc
	global_store_dwordx2 v[0:1], v[3:4], off offset:1024
	global_store_dwordx2 v[0:1], v[5:6], off offset:2560
	s_endpgm
	.section	.rodata,"a",@progbits
	.p2align	6, 0x0
	.amdhsa_kernel _Z17sort_pairs_kernelI22helper_blocked_blockedxLj192ELj8ELj10EEvPKT0_PS1_
		.amdhsa_group_segment_fixed_size 12672
		.amdhsa_private_segment_fixed_size 0
		.amdhsa_kernarg_size 272
		.amdhsa_user_sgpr_count 6
		.amdhsa_user_sgpr_private_segment_buffer 1
		.amdhsa_user_sgpr_dispatch_ptr 0
		.amdhsa_user_sgpr_queue_ptr 0
		.amdhsa_user_sgpr_kernarg_segment_ptr 1
		.amdhsa_user_sgpr_dispatch_id 0
		.amdhsa_user_sgpr_flat_scratch_init 0
		.amdhsa_user_sgpr_private_segment_size 0
		.amdhsa_uses_dynamic_stack 0
		.amdhsa_system_sgpr_private_segment_wavefront_offset 0
		.amdhsa_system_sgpr_workgroup_id_x 1
		.amdhsa_system_sgpr_workgroup_id_y 0
		.amdhsa_system_sgpr_workgroup_id_z 0
		.amdhsa_system_sgpr_workgroup_info 0
		.amdhsa_system_vgpr_workitem_id 2
		.amdhsa_next_free_vgpr 93
		.amdhsa_next_free_sgpr 98
		.amdhsa_reserve_vcc 1
		.amdhsa_reserve_flat_scratch 0
		.amdhsa_float_round_mode_32 0
		.amdhsa_float_round_mode_16_64 0
		.amdhsa_float_denorm_mode_32 3
		.amdhsa_float_denorm_mode_16_64 3
		.amdhsa_dx10_clamp 1
		.amdhsa_ieee_mode 1
		.amdhsa_fp16_overflow 0
		.amdhsa_exception_fp_ieee_invalid_op 0
		.amdhsa_exception_fp_denorm_src 0
		.amdhsa_exception_fp_ieee_div_zero 0
		.amdhsa_exception_fp_ieee_overflow 0
		.amdhsa_exception_fp_ieee_underflow 0
		.amdhsa_exception_fp_ieee_inexact 0
		.amdhsa_exception_int_div_zero 0
	.end_amdhsa_kernel
	.section	.text._Z17sort_pairs_kernelI22helper_blocked_blockedxLj192ELj8ELj10EEvPKT0_PS1_,"axG",@progbits,_Z17sort_pairs_kernelI22helper_blocked_blockedxLj192ELj8ELj10EEvPKT0_PS1_,comdat
.Lfunc_end119:
	.size	_Z17sort_pairs_kernelI22helper_blocked_blockedxLj192ELj8ELj10EEvPKT0_PS1_, .Lfunc_end119-_Z17sort_pairs_kernelI22helper_blocked_blockedxLj192ELj8ELj10EEvPKT0_PS1_
                                        ; -- End function
	.set _Z17sort_pairs_kernelI22helper_blocked_blockedxLj192ELj8ELj10EEvPKT0_PS1_.num_vgpr, 93
	.set _Z17sort_pairs_kernelI22helper_blocked_blockedxLj192ELj8ELj10EEvPKT0_PS1_.num_agpr, 0
	.set _Z17sort_pairs_kernelI22helper_blocked_blockedxLj192ELj8ELj10EEvPKT0_PS1_.numbered_sgpr, 38
	.set _Z17sort_pairs_kernelI22helper_blocked_blockedxLj192ELj8ELj10EEvPKT0_PS1_.num_named_barrier, 0
	.set _Z17sort_pairs_kernelI22helper_blocked_blockedxLj192ELj8ELj10EEvPKT0_PS1_.private_seg_size, 0
	.set _Z17sort_pairs_kernelI22helper_blocked_blockedxLj192ELj8ELj10EEvPKT0_PS1_.uses_vcc, 1
	.set _Z17sort_pairs_kernelI22helper_blocked_blockedxLj192ELj8ELj10EEvPKT0_PS1_.uses_flat_scratch, 0
	.set _Z17sort_pairs_kernelI22helper_blocked_blockedxLj192ELj8ELj10EEvPKT0_PS1_.has_dyn_sized_stack, 0
	.set _Z17sort_pairs_kernelI22helper_blocked_blockedxLj192ELj8ELj10EEvPKT0_PS1_.has_recursion, 0
	.set _Z17sort_pairs_kernelI22helper_blocked_blockedxLj192ELj8ELj10EEvPKT0_PS1_.has_indirect_call, 0
	.section	.AMDGPU.csdata,"",@progbits
; Kernel info:
; codeLenInByte = 5828
; TotalNumSgprs: 42
; NumVgprs: 93
; ScratchSize: 0
; MemoryBound: 0
; FloatMode: 240
; IeeeMode: 1
; LDSByteSize: 12672 bytes/workgroup (compile time only)
; SGPRBlocks: 12
; VGPRBlocks: 23
; NumSGPRsForWavesPerEU: 102
; NumVGPRsForWavesPerEU: 93
; Occupancy: 2
; WaveLimiterHint : 1
; COMPUTE_PGM_RSRC2:SCRATCH_EN: 0
; COMPUTE_PGM_RSRC2:USER_SGPR: 6
; COMPUTE_PGM_RSRC2:TRAP_HANDLER: 0
; COMPUTE_PGM_RSRC2:TGID_X_EN: 1
; COMPUTE_PGM_RSRC2:TGID_Y_EN: 0
; COMPUTE_PGM_RSRC2:TGID_Z_EN: 0
; COMPUTE_PGM_RSRC2:TIDIG_COMP_CNT: 2
	.section	.text._Z16sort_keys_kernelI22helper_blocked_blockedxLj256ELj1ELj10EEvPKT0_PS1_,"axG",@progbits,_Z16sort_keys_kernelI22helper_blocked_blockedxLj256ELj1ELj10EEvPKT0_PS1_,comdat
	.protected	_Z16sort_keys_kernelI22helper_blocked_blockedxLj256ELj1ELj10EEvPKT0_PS1_ ; -- Begin function _Z16sort_keys_kernelI22helper_blocked_blockedxLj256ELj1ELj10EEvPKT0_PS1_
	.globl	_Z16sort_keys_kernelI22helper_blocked_blockedxLj256ELj1ELj10EEvPKT0_PS1_
	.p2align	8
	.type	_Z16sort_keys_kernelI22helper_blocked_blockedxLj256ELj1ELj10EEvPKT0_PS1_,@function
_Z16sort_keys_kernelI22helper_blocked_blockedxLj256ELj1ELj10EEvPKT0_PS1_: ; @_Z16sort_keys_kernelI22helper_blocked_blockedxLj256ELj1ELj10EEvPKT0_PS1_
; %bb.0:
	s_load_dwordx4 s[28:31], s[4:5], 0x0
	s_load_dword s26, s[4:5], 0x1c
	s_lshl_b32 s36, s6, 8
	s_mov_b32 s37, 0
	s_lshl_b64 s[34:35], s[36:37], 3
	s_waitcnt lgkmcnt(0)
	s_add_u32 s0, s28, s34
	s_addc_u32 s1, s29, s35
	v_lshlrev_b32_e32 v3, 3, v0
	global_load_dwordx2 v[3:4], v3, s[0:1]
	s_lshr_b32 s27, s26, 16
	s_and_b32 s26, s26, 0xffff
	v_mad_u32_u24 v1, v2, s27, v1
	v_mbcnt_lo_u32_b32 v6, -1, 0
	v_mad_u64_u32 v[1:2], s[26:27], v1, s26, v[0:1]
	v_mbcnt_hi_u32_b32 v6, -1, v6
	v_and_b32_e32 v7, 0xc0, v0
	v_lshrrev_b32_e32 v8, 4, v0
	s_mov_b32 s10, s37
	v_subrev_co_u32_e64 v13, s[8:9], 1, v6
	v_and_b32_e32 v14, 64, v6
	v_lshlrev_b32_e32 v15, 4, v0
	s_mov_b32 s11, s37
	v_and_b32_e32 v9, 15, v6
	v_and_b32_e32 v10, 16, v6
	v_or_b32_e32 v12, 63, v7
	v_and_b32_e32 v16, 12, v8
	v_lshlrev_b32_e32 v19, 3, v7
	s_mov_b32 s36, s37
	v_mov_b32_e32 v7, s10
	v_cmp_lt_i32_e32 vcc, v13, v14
	v_lshlrev_b32_e32 v11, 2, v0
	v_mad_i32_i24 v17, v0, -12, v15
	v_and_b32_e32 v18, 3, v6
	v_mov_b32_e32 v8, s11
	v_cmp_eq_u32_e64 s[10:11], 0, v9
	v_cmp_lt_u32_e64 s[12:13], 1, v9
	v_cmp_lt_u32_e64 s[14:15], 3, v9
	;; [unrolled: 1-line block ×3, first 2 shown]
	v_cmp_eq_u32_e64 s[18:19], 0, v10
	v_cmp_eq_u32_e64 s[20:21], v0, v12
	v_cndmask_b32_e32 v12, v13, v6, vcc
	v_mov_b32_e32 v9, s36
	v_lshrrev_b32_e32 v1, 4, v1
	v_mov_b32_e32 v5, 0
	v_cmp_gt_u32_e64 s[0:1], 4, v0
	v_cmp_lt_u32_e64 s[2:3], 63, v0
	v_cmp_eq_u32_e64 s[4:5], 0, v0
	v_cmp_lt_u32_e64 s[6:7], 31, v6
	v_cmp_eq_u32_e64 s[22:23], 0, v18
	v_cmp_lt_u32_e64 s[24:25], 1, v18
	v_add_u32_e32 v18, -4, v16
	v_lshl_add_u32 v19, v6, 3, v19
	v_mov_b32_e32 v10, s37
	v_lshlrev_b32_e32 v20, 2, v12
	v_and_b32_e32 v21, 0xffffffc, v1
	v_add_u32_e32 v22, v17, v11
	s_waitcnt vmcnt(0)
	v_xor_b32_e32 v4, 0x80000000, v4
	s_branch .LBB120_2
.LBB120_1:                              ;   in Loop: Header=BB120_2 Depth=1
	v_lshlrev_b32_e32 v1, 3, v1
	s_barrier
	ds_write_b64 v1, v[13:14]
	s_waitcnt lgkmcnt(0)
	s_barrier
	ds_read_b64 v[3:4], v22
	s_add_i32 s37, s37, 1
	s_cmp_eq_u32 s37, 10
	s_cbranch_scc1 .LBB120_14
.LBB120_2:                              ; =>This Loop Header: Depth=1
                                        ;     Child Loop BB120_4 Depth 2
	v_mov_b32_e32 v11, 0
	v_mov_b32_e32 v12, 0
	s_branch .LBB120_4
.LBB120_3:                              ;   in Loop: Header=BB120_4 Depth=2
	s_andn2_b64 vcc, exec, s[26:27]
	s_cbranch_vccz .LBB120_1
.LBB120_4:                              ;   Parent Loop BB120_2 Depth=1
                                        ; =>  This Inner Loop Header: Depth=2
	s_waitcnt lgkmcnt(0)
	v_mov_b32_e32 v14, v4
	v_mov_b32_e32 v13, v3
	v_lshrrev_b64 v[3:4], v11, v[13:14]
	ds_write2_b64 v15, v[9:10], v[7:8] offset0:2 offset1:3
	v_and_b32_e32 v1, 1, v3
	v_cmp_ne_u32_e32 vcc, 0, v1
	v_add_co_u32_e64 v1, s[26:27], -1, v1
	v_addc_co_u32_e64 v2, s[26:27], 0, -1, s[26:27]
	v_lshlrev_b32_e32 v6, 30, v3
	v_cmp_gt_i64_e64 s[26:27], 0, v[5:6]
	v_not_b32_e32 v4, v6
	v_xor_b32_e32 v2, vcc_hi, v2
	v_ashrrev_i32_e32 v4, 31, v4
	v_and_b32_e32 v2, exec_hi, v2
	v_xor_b32_e32 v6, s27, v4
	v_xor_b32_e32 v1, vcc_lo, v1
	v_and_b32_e32 v2, v2, v6
	v_and_b32_e32 v1, exec_lo, v1
	v_xor_b32_e32 v4, s26, v4
	v_lshlrev_b32_e32 v6, 29, v3
	v_and_b32_e32 v1, v1, v4
	v_cmp_gt_i64_e32 vcc, 0, v[5:6]
	v_not_b32_e32 v4, v6
	v_ashrrev_i32_e32 v4, 31, v4
	v_xor_b32_e32 v6, vcc_hi, v4
	v_and_b32_e32 v2, v2, v6
	v_xor_b32_e32 v4, vcc_lo, v4
	v_lshlrev_b32_e32 v6, 28, v3
	v_and_b32_e32 v1, v1, v4
	v_cmp_gt_i64_e32 vcc, 0, v[5:6]
	v_not_b32_e32 v4, v6
	v_ashrrev_i32_e32 v4, 31, v4
	v_xor_b32_e32 v6, vcc_hi, v4
	v_and_b32_e32 v2, v2, v6
	v_xor_b32_e32 v4, vcc_lo, v4
	;; [unrolled: 8-line block ×5, first 2 shown]
	v_lshlrev_b32_e32 v6, 24, v3
	v_and_b32_e32 v1, v1, v4
	v_cmp_gt_i64_e32 vcc, 0, v[5:6]
	v_not_b32_e32 v4, v6
	v_ashrrev_i32_e32 v4, 31, v4
	v_xor_b32_e32 v6, vcc_hi, v4
	v_xor_b32_e32 v4, vcc_lo, v4
	v_lshlrev_b32_e32 v3, 4, v3
	v_and_b32_e32 v1, v1, v4
	v_and_b32_e32 v3, 0xff0, v3
	;; [unrolled: 1-line block ×3, first 2 shown]
	v_add_u32_e32 v6, v21, v3
	v_mbcnt_lo_u32_b32 v3, v1, 0
	v_mbcnt_hi_u32_b32 v23, v2, v3
	v_cmp_ne_u64_e32 vcc, 0, v[1:2]
	v_cmp_eq_u32_e64 s[26:27], 0, v23
	s_and_b64 s[28:29], vcc, s[26:27]
	s_waitcnt lgkmcnt(0)
	s_barrier
	; wave barrier
	s_and_saveexec_b64 s[26:27], s[28:29]
; %bb.5:                                ;   in Loop: Header=BB120_4 Depth=2
	v_bcnt_u32_b32 v1, v1, 0
	v_bcnt_u32_b32 v1, v2, v1
	ds_write_b32 v6, v1 offset:16
; %bb.6:                                ;   in Loop: Header=BB120_4 Depth=2
	s_or_b64 exec, exec, s[26:27]
	; wave barrier
	s_waitcnt lgkmcnt(0)
	s_barrier
	ds_read2_b64 v[1:4], v15 offset0:2 offset1:3
	s_waitcnt lgkmcnt(0)
	v_add_u32_e32 v24, v2, v1
	v_add3_u32 v4, v24, v3, v4
	s_nop 1
	v_mov_b32_dpp v24, v4 row_shr:1 row_mask:0xf bank_mask:0xf
	v_cndmask_b32_e64 v24, v24, 0, s[10:11]
	v_add_u32_e32 v4, v24, v4
	s_nop 1
	v_mov_b32_dpp v24, v4 row_shr:2 row_mask:0xf bank_mask:0xf
	v_cndmask_b32_e64 v24, 0, v24, s[12:13]
	v_add_u32_e32 v4, v4, v24
	;; [unrolled: 4-line block ×4, first 2 shown]
	s_nop 1
	v_mov_b32_dpp v24, v4 row_bcast:15 row_mask:0xf bank_mask:0xf
	v_cndmask_b32_e64 v24, v24, 0, s[18:19]
	v_add_u32_e32 v4, v4, v24
	s_nop 1
	v_mov_b32_dpp v24, v4 row_bcast:31 row_mask:0xf bank_mask:0xf
	v_cndmask_b32_e64 v24, 0, v24, s[6:7]
	v_add_u32_e32 v4, v4, v24
	s_and_saveexec_b64 s[26:27], s[20:21]
; %bb.7:                                ;   in Loop: Header=BB120_4 Depth=2
	ds_write_b32 v16, v4
; %bb.8:                                ;   in Loop: Header=BB120_4 Depth=2
	s_or_b64 exec, exec, s[26:27]
	s_waitcnt lgkmcnt(0)
	s_barrier
	s_and_saveexec_b64 s[26:27], s[0:1]
	s_cbranch_execz .LBB120_10
; %bb.9:                                ;   in Loop: Header=BB120_4 Depth=2
	ds_read_b32 v24, v17
	s_waitcnt lgkmcnt(0)
	s_nop 0
	v_mov_b32_dpp v25, v24 row_shr:1 row_mask:0xf bank_mask:0xf
	v_cndmask_b32_e64 v25, v25, 0, s[22:23]
	v_add_u32_e32 v24, v25, v24
	s_nop 1
	v_mov_b32_dpp v25, v24 row_shr:2 row_mask:0xf bank_mask:0xf
	v_cndmask_b32_e64 v25, 0, v25, s[24:25]
	v_add_u32_e32 v24, v24, v25
	ds_write_b32 v17, v24
.LBB120_10:                             ;   in Loop: Header=BB120_4 Depth=2
	s_or_b64 exec, exec, s[26:27]
	v_mov_b32_e32 v24, 0
	s_waitcnt lgkmcnt(0)
	s_barrier
	s_and_saveexec_b64 s[26:27], s[2:3]
; %bb.11:                               ;   in Loop: Header=BB120_4 Depth=2
	ds_read_b32 v24, v18
; %bb.12:                               ;   in Loop: Header=BB120_4 Depth=2
	s_or_b64 exec, exec, s[26:27]
	s_waitcnt lgkmcnt(0)
	v_add_u32_e32 v4, v24, v4
	ds_bpermute_b32 v4, v20, v4
	v_cmp_lt_u32_e32 vcc, 55, v11
	s_and_b64 vcc, exec, vcc
	s_mov_b64 s[26:27], -1
	s_waitcnt lgkmcnt(0)
	v_cndmask_b32_e64 v4, v4, v24, s[8:9]
	v_cndmask_b32_e64 v24, v4, 0, s[4:5]
	v_add_u32_e32 v25, v24, v1
	v_add_u32_e32 v1, v25, v2
	;; [unrolled: 1-line block ×3, first 2 shown]
	ds_write2_b64 v15, v[24:25], v[1:2] offset0:2 offset1:3
	s_waitcnt lgkmcnt(0)
	s_barrier
	ds_read_b32 v1, v6 offset:16
                                        ; implicit-def: $vgpr3_vgpr4
	s_waitcnt lgkmcnt(0)
	v_add_u32_e32 v1, v1, v23
	s_cbranch_vccnz .LBB120_3
; %bb.13:                               ;   in Loop: Header=BB120_4 Depth=2
	v_lshlrev_b32_e32 v2, 3, v1
	s_barrier
	ds_write_b64 v2, v[13:14]
	s_waitcnt lgkmcnt(0)
	s_barrier
	ds_read_b64 v[3:4], v19
	v_add_co_u32_e32 v11, vcc, 8, v11
	v_addc_co_u32_e32 v12, vcc, 0, v12, vcc
	s_mov_b64 s[26:27], 0
	s_waitcnt lgkmcnt(0)
	s_barrier
	s_branch .LBB120_3
.LBB120_14:
	s_add_u32 s0, s30, s34
	s_waitcnt lgkmcnt(0)
	v_xor_b32_e32 v4, 0x80000000, v4
	s_addc_u32 s1, s31, s35
	v_lshlrev_b32_e32 v0, 3, v0
	global_store_dwordx2 v0, v[3:4], s[0:1]
	s_endpgm
	.section	.rodata,"a",@progbits
	.p2align	6, 0x0
	.amdhsa_kernel _Z16sort_keys_kernelI22helper_blocked_blockedxLj256ELj1ELj10EEvPKT0_PS1_
		.amdhsa_group_segment_fixed_size 4112
		.amdhsa_private_segment_fixed_size 0
		.amdhsa_kernarg_size 272
		.amdhsa_user_sgpr_count 6
		.amdhsa_user_sgpr_private_segment_buffer 1
		.amdhsa_user_sgpr_dispatch_ptr 0
		.amdhsa_user_sgpr_queue_ptr 0
		.amdhsa_user_sgpr_kernarg_segment_ptr 1
		.amdhsa_user_sgpr_dispatch_id 0
		.amdhsa_user_sgpr_flat_scratch_init 0
		.amdhsa_user_sgpr_private_segment_size 0
		.amdhsa_uses_dynamic_stack 0
		.amdhsa_system_sgpr_private_segment_wavefront_offset 0
		.amdhsa_system_sgpr_workgroup_id_x 1
		.amdhsa_system_sgpr_workgroup_id_y 0
		.amdhsa_system_sgpr_workgroup_id_z 0
		.amdhsa_system_sgpr_workgroup_info 0
		.amdhsa_system_vgpr_workitem_id 2
		.amdhsa_next_free_vgpr 26
		.amdhsa_next_free_sgpr 38
		.amdhsa_reserve_vcc 1
		.amdhsa_reserve_flat_scratch 0
		.amdhsa_float_round_mode_32 0
		.amdhsa_float_round_mode_16_64 0
		.amdhsa_float_denorm_mode_32 3
		.amdhsa_float_denorm_mode_16_64 3
		.amdhsa_dx10_clamp 1
		.amdhsa_ieee_mode 1
		.amdhsa_fp16_overflow 0
		.amdhsa_exception_fp_ieee_invalid_op 0
		.amdhsa_exception_fp_denorm_src 0
		.amdhsa_exception_fp_ieee_div_zero 0
		.amdhsa_exception_fp_ieee_overflow 0
		.amdhsa_exception_fp_ieee_underflow 0
		.amdhsa_exception_fp_ieee_inexact 0
		.amdhsa_exception_int_div_zero 0
	.end_amdhsa_kernel
	.section	.text._Z16sort_keys_kernelI22helper_blocked_blockedxLj256ELj1ELj10EEvPKT0_PS1_,"axG",@progbits,_Z16sort_keys_kernelI22helper_blocked_blockedxLj256ELj1ELj10EEvPKT0_PS1_,comdat
.Lfunc_end120:
	.size	_Z16sort_keys_kernelI22helper_blocked_blockedxLj256ELj1ELj10EEvPKT0_PS1_, .Lfunc_end120-_Z16sort_keys_kernelI22helper_blocked_blockedxLj256ELj1ELj10EEvPKT0_PS1_
                                        ; -- End function
	.set _Z16sort_keys_kernelI22helper_blocked_blockedxLj256ELj1ELj10EEvPKT0_PS1_.num_vgpr, 26
	.set _Z16sort_keys_kernelI22helper_blocked_blockedxLj256ELj1ELj10EEvPKT0_PS1_.num_agpr, 0
	.set _Z16sort_keys_kernelI22helper_blocked_blockedxLj256ELj1ELj10EEvPKT0_PS1_.numbered_sgpr, 38
	.set _Z16sort_keys_kernelI22helper_blocked_blockedxLj256ELj1ELj10EEvPKT0_PS1_.num_named_barrier, 0
	.set _Z16sort_keys_kernelI22helper_blocked_blockedxLj256ELj1ELj10EEvPKT0_PS1_.private_seg_size, 0
	.set _Z16sort_keys_kernelI22helper_blocked_blockedxLj256ELj1ELj10EEvPKT0_PS1_.uses_vcc, 1
	.set _Z16sort_keys_kernelI22helper_blocked_blockedxLj256ELj1ELj10EEvPKT0_PS1_.uses_flat_scratch, 0
	.set _Z16sort_keys_kernelI22helper_blocked_blockedxLj256ELj1ELj10EEvPKT0_PS1_.has_dyn_sized_stack, 0
	.set _Z16sort_keys_kernelI22helper_blocked_blockedxLj256ELj1ELj10EEvPKT0_PS1_.has_recursion, 0
	.set _Z16sort_keys_kernelI22helper_blocked_blockedxLj256ELj1ELj10EEvPKT0_PS1_.has_indirect_call, 0
	.section	.AMDGPU.csdata,"",@progbits
; Kernel info:
; codeLenInByte = 1288
; TotalNumSgprs: 42
; NumVgprs: 26
; ScratchSize: 0
; MemoryBound: 0
; FloatMode: 240
; IeeeMode: 1
; LDSByteSize: 4112 bytes/workgroup (compile time only)
; SGPRBlocks: 5
; VGPRBlocks: 6
; NumSGPRsForWavesPerEU: 42
; NumVGPRsForWavesPerEU: 26
; Occupancy: 9
; WaveLimiterHint : 0
; COMPUTE_PGM_RSRC2:SCRATCH_EN: 0
; COMPUTE_PGM_RSRC2:USER_SGPR: 6
; COMPUTE_PGM_RSRC2:TRAP_HANDLER: 0
; COMPUTE_PGM_RSRC2:TGID_X_EN: 1
; COMPUTE_PGM_RSRC2:TGID_Y_EN: 0
; COMPUTE_PGM_RSRC2:TGID_Z_EN: 0
; COMPUTE_PGM_RSRC2:TIDIG_COMP_CNT: 2
	.section	.text._Z17sort_pairs_kernelI22helper_blocked_blockedxLj256ELj1ELj10EEvPKT0_PS1_,"axG",@progbits,_Z17sort_pairs_kernelI22helper_blocked_blockedxLj256ELj1ELj10EEvPKT0_PS1_,comdat
	.protected	_Z17sort_pairs_kernelI22helper_blocked_blockedxLj256ELj1ELj10EEvPKT0_PS1_ ; -- Begin function _Z17sort_pairs_kernelI22helper_blocked_blockedxLj256ELj1ELj10EEvPKT0_PS1_
	.globl	_Z17sort_pairs_kernelI22helper_blocked_blockedxLj256ELj1ELj10EEvPKT0_PS1_
	.p2align	8
	.type	_Z17sort_pairs_kernelI22helper_blocked_blockedxLj256ELj1ELj10EEvPKT0_PS1_,@function
_Z17sort_pairs_kernelI22helper_blocked_blockedxLj256ELj1ELj10EEvPKT0_PS1_: ; @_Z17sort_pairs_kernelI22helper_blocked_blockedxLj256ELj1ELj10EEvPKT0_PS1_
; %bb.0:
	s_load_dwordx4 s[28:31], s[4:5], 0x0
	s_load_dword s26, s[4:5], 0x1c
	s_lshl_b32 s36, s6, 8
	s_mov_b32 s37, 0
	s_lshl_b64 s[34:35], s[36:37], 3
	s_waitcnt lgkmcnt(0)
	s_add_u32 s0, s28, s34
	s_addc_u32 s1, s29, s35
	v_lshlrev_b32_e32 v3, 3, v0
	global_load_dwordx2 v[3:4], v3, s[0:1]
	s_lshr_b32 s27, s26, 16
	s_and_b32 s26, s26, 0xffff
	v_mad_u32_u24 v1, v2, s27, v1
	v_mad_u64_u32 v[1:2], s[26:27], v1, s26, v[0:1]
	v_mbcnt_lo_u32_b32 v6, -1, 0
	v_mbcnt_hi_u32_b32 v6, -1, v6
	v_and_b32_e32 v7, 0xc0, v0
	v_lshrrev_b32_e32 v8, 4, v0
	s_mov_b32 s20, s37
	v_subrev_co_u32_e64 v13, s[8:9], 1, v6
	v_and_b32_e32 v14, 64, v6
	v_lshlrev_b32_e32 v17, 4, v0
	s_mov_b32 s21, s37
	v_and_b32_e32 v9, 15, v6
	v_and_b32_e32 v10, 16, v6
	v_or_b32_e32 v12, 63, v7
	v_and_b32_e32 v18, 12, v8
	v_lshlrev_b32_e32 v16, 3, v7
	s_mov_b32 s36, s37
	v_mov_b32_e32 v7, s20
	v_cmp_lt_i32_e32 vcc, v13, v14
	v_lshrrev_b32_e32 v1, 4, v1
	v_lshlrev_b32_e32 v11, 2, v0
	v_mad_i32_i24 v19, v0, -12, v17
	v_and_b32_e32 v15, 3, v6
	v_cmp_eq_u32_e64 s[10:11], 0, v9
	v_cmp_lt_u32_e64 s[12:13], 1, v9
	v_cmp_lt_u32_e64 s[14:15], 3, v9
	;; [unrolled: 1-line block ×3, first 2 shown]
	v_cmp_eq_u32_e64 s[18:19], 0, v10
	v_mov_b32_e32 v8, s21
	v_cmp_eq_u32_e64 s[20:21], v0, v12
	v_cndmask_b32_e32 v12, v13, v6, vcc
	v_mov_b32_e32 v9, s36
	v_and_b32_e32 v22, 0xffffffc, v1
	v_mov_b32_e32 v5, 0
	v_cmp_gt_u32_e64 s[0:1], 4, v0
	v_cmp_lt_u32_e64 s[2:3], 63, v0
	v_cmp_eq_u32_e64 s[4:5], 0, v0
	v_cmp_lt_u32_e64 s[6:7], 31, v6
	v_cmp_eq_u32_e64 s[22:23], 0, v15
	v_cmp_lt_u32_e64 s[24:25], 1, v15
	v_lshl_add_u32 v20, v6, 3, v16
	v_mov_b32_e32 v10, s37
	v_lshlrev_b32_e32 v21, 2, v12
	v_add_u32_e32 v23, v19, v11
	s_waitcnt vmcnt(0)
	v_add_co_u32_e32 v1, vcc, 1, v3
	v_addc_co_u32_e32 v2, vcc, 0, v4, vcc
	v_xor_b32_e32 v4, 0x80000000, v4
	s_branch .LBB121_2
.LBB121_1:                              ;   in Loop: Header=BB121_2 Depth=1
	v_lshlrev_b32_e32 v1, 3, v6
	s_barrier
	ds_write_b64 v1, v[15:16]
	s_waitcnt lgkmcnt(0)
	s_barrier
	ds_read_b64 v[3:4], v23
	s_waitcnt lgkmcnt(0)
	s_barrier
	ds_write_b64 v1, v[11:12]
	s_waitcnt lgkmcnt(0)
	s_barrier
	ds_read_b64 v[1:2], v23
	s_add_i32 s37, s37, 1
	s_cmp_eq_u32 s37, 10
	s_cbranch_scc1 .LBB121_14
.LBB121_2:                              ; =>This Loop Header: Depth=1
                                        ;     Child Loop BB121_4 Depth 2
	v_mov_b32_e32 v13, 0
	v_mov_b32_e32 v14, 0
	s_branch .LBB121_4
.LBB121_3:                              ;   in Loop: Header=BB121_4 Depth=2
	s_andn2_b64 vcc, exec, s[26:27]
	s_cbranch_vccz .LBB121_1
.LBB121_4:                              ;   Parent Loop BB121_2 Depth=1
                                        ; =>  This Inner Loop Header: Depth=2
	v_mov_b32_e32 v16, v4
	s_waitcnt lgkmcnt(0)
	v_mov_b32_e32 v12, v2
	v_mov_b32_e32 v15, v3
	;; [unrolled: 1-line block ×3, first 2 shown]
	v_lshrrev_b64 v[1:2], v13, v[15:16]
	ds_write2_b64 v17, v[9:10], v[7:8] offset0:2 offset1:3
	v_and_b32_e32 v2, 1, v1
	v_add_co_u32_e32 v3, vcc, -1, v2
	v_addc_co_u32_e64 v4, s[26:27], 0, -1, vcc
	v_cmp_ne_u32_e32 vcc, 0, v2
	v_lshlrev_b32_e32 v6, 30, v1
	v_xor_b32_e32 v2, vcc_hi, v4
	v_xor_b32_e32 v3, vcc_lo, v3
	v_cmp_gt_i64_e32 vcc, 0, v[5:6]
	v_not_b32_e32 v4, v6
	v_ashrrev_i32_e32 v4, 31, v4
	v_and_b32_e32 v2, exec_hi, v2
	v_xor_b32_e32 v6, vcc_hi, v4
	v_and_b32_e32 v3, exec_lo, v3
	v_xor_b32_e32 v4, vcc_lo, v4
	v_and_b32_e32 v2, v2, v6
	v_lshlrev_b32_e32 v6, 29, v1
	v_and_b32_e32 v3, v3, v4
	v_cmp_gt_i64_e32 vcc, 0, v[5:6]
	v_not_b32_e32 v4, v6
	v_ashrrev_i32_e32 v4, 31, v4
	v_xor_b32_e32 v6, vcc_hi, v4
	v_xor_b32_e32 v4, vcc_lo, v4
	v_and_b32_e32 v2, v2, v6
	v_lshlrev_b32_e32 v6, 28, v1
	v_and_b32_e32 v3, v3, v4
	v_cmp_gt_i64_e32 vcc, 0, v[5:6]
	v_not_b32_e32 v4, v6
	v_ashrrev_i32_e32 v4, 31, v4
	v_xor_b32_e32 v6, vcc_hi, v4
	;; [unrolled: 8-line block ×5, first 2 shown]
	v_and_b32_e32 v2, v2, v6
	v_lshlrev_b32_e32 v6, 4, v1
	v_and_b32_e32 v6, 0xff0, v6
	v_add_u32_e32 v24, v22, v6
	v_lshlrev_b32_e32 v6, 24, v1
	v_xor_b32_e32 v4, vcc_lo, v4
	v_cmp_gt_i64_e32 vcc, 0, v[5:6]
	v_not_b32_e32 v1, v6
	v_ashrrev_i32_e32 v1, 31, v1
	v_and_b32_e32 v3, v3, v4
	v_xor_b32_e32 v4, vcc_hi, v1
	v_xor_b32_e32 v1, vcc_lo, v1
	v_and_b32_e32 v1, v3, v1
	v_and_b32_e32 v2, v2, v4
	v_mbcnt_lo_u32_b32 v3, v1, 0
	v_mbcnt_hi_u32_b32 v6, v2, v3
	v_cmp_ne_u64_e32 vcc, 0, v[1:2]
	v_cmp_eq_u32_e64 s[26:27], 0, v6
	s_and_b64 s[28:29], vcc, s[26:27]
	s_waitcnt lgkmcnt(0)
	s_barrier
	; wave barrier
	s_and_saveexec_b64 s[26:27], s[28:29]
; %bb.5:                                ;   in Loop: Header=BB121_4 Depth=2
	v_bcnt_u32_b32 v1, v1, 0
	v_bcnt_u32_b32 v1, v2, v1
	ds_write_b32 v24, v1 offset:16
; %bb.6:                                ;   in Loop: Header=BB121_4 Depth=2
	s_or_b64 exec, exec, s[26:27]
	; wave barrier
	s_waitcnt lgkmcnt(0)
	s_barrier
	ds_read2_b64 v[1:4], v17 offset0:2 offset1:3
	s_waitcnt lgkmcnt(0)
	v_add_u32_e32 v25, v2, v1
	v_add3_u32 v4, v25, v3, v4
	s_nop 1
	v_mov_b32_dpp v25, v4 row_shr:1 row_mask:0xf bank_mask:0xf
	v_cndmask_b32_e64 v25, v25, 0, s[10:11]
	v_add_u32_e32 v4, v25, v4
	s_nop 1
	v_mov_b32_dpp v25, v4 row_shr:2 row_mask:0xf bank_mask:0xf
	v_cndmask_b32_e64 v25, 0, v25, s[12:13]
	v_add_u32_e32 v4, v4, v25
	;; [unrolled: 4-line block ×4, first 2 shown]
	s_nop 1
	v_mov_b32_dpp v25, v4 row_bcast:15 row_mask:0xf bank_mask:0xf
	v_cndmask_b32_e64 v25, v25, 0, s[18:19]
	v_add_u32_e32 v4, v4, v25
	s_nop 1
	v_mov_b32_dpp v25, v4 row_bcast:31 row_mask:0xf bank_mask:0xf
	v_cndmask_b32_e64 v25, 0, v25, s[6:7]
	v_add_u32_e32 v4, v4, v25
	s_and_saveexec_b64 s[26:27], s[20:21]
; %bb.7:                                ;   in Loop: Header=BB121_4 Depth=2
	ds_write_b32 v18, v4
; %bb.8:                                ;   in Loop: Header=BB121_4 Depth=2
	s_or_b64 exec, exec, s[26:27]
	s_waitcnt lgkmcnt(0)
	s_barrier
	s_and_saveexec_b64 s[26:27], s[0:1]
	s_cbranch_execz .LBB121_10
; %bb.9:                                ;   in Loop: Header=BB121_4 Depth=2
	ds_read_b32 v25, v19
	s_waitcnt lgkmcnt(0)
	s_nop 0
	v_mov_b32_dpp v26, v25 row_shr:1 row_mask:0xf bank_mask:0xf
	v_cndmask_b32_e64 v26, v26, 0, s[22:23]
	v_add_u32_e32 v25, v26, v25
	s_nop 1
	v_mov_b32_dpp v26, v25 row_shr:2 row_mask:0xf bank_mask:0xf
	v_cndmask_b32_e64 v26, 0, v26, s[24:25]
	v_add_u32_e32 v25, v25, v26
	ds_write_b32 v19, v25
.LBB121_10:                             ;   in Loop: Header=BB121_4 Depth=2
	s_or_b64 exec, exec, s[26:27]
	v_mov_b32_e32 v25, 0
	s_waitcnt lgkmcnt(0)
	s_barrier
	s_and_saveexec_b64 s[26:27], s[2:3]
; %bb.11:                               ;   in Loop: Header=BB121_4 Depth=2
	v_add_u32_e32 v25, -4, v18
	ds_read_b32 v25, v25
; %bb.12:                               ;   in Loop: Header=BB121_4 Depth=2
	s_or_b64 exec, exec, s[26:27]
	s_waitcnt lgkmcnt(0)
	v_add_u32_e32 v4, v25, v4
	ds_bpermute_b32 v4, v21, v4
	v_cmp_lt_u32_e32 vcc, 55, v13
	s_and_b64 vcc, exec, vcc
	s_mov_b64 s[26:27], -1
	s_waitcnt lgkmcnt(0)
	v_cndmask_b32_e64 v4, v4, v25, s[8:9]
	v_cndmask_b32_e64 v25, v4, 0, s[4:5]
	v_add_u32_e32 v26, v25, v1
	v_add_u32_e32 v1, v26, v2
	;; [unrolled: 1-line block ×3, first 2 shown]
	ds_write2_b64 v17, v[25:26], v[1:2] offset0:2 offset1:3
	s_waitcnt lgkmcnt(0)
	s_barrier
	ds_read_b32 v1, v24 offset:16
                                        ; implicit-def: $vgpr3_vgpr4
	s_waitcnt lgkmcnt(0)
	v_add_u32_e32 v6, v1, v6
                                        ; implicit-def: $vgpr1_vgpr2
	s_cbranch_vccnz .LBB121_3
; %bb.13:                               ;   in Loop: Header=BB121_4 Depth=2
	v_lshlrev_b32_e32 v1, 3, v6
	s_barrier
	ds_write_b64 v1, v[15:16]
	s_waitcnt lgkmcnt(0)
	s_barrier
	ds_read_b64 v[3:4], v20
	s_waitcnt lgkmcnt(0)
	s_barrier
	ds_write_b64 v1, v[11:12]
	s_waitcnt lgkmcnt(0)
	s_barrier
	ds_read_b64 v[1:2], v20
	v_add_co_u32_e32 v13, vcc, 8, v13
	v_addc_co_u32_e32 v14, vcc, 0, v14, vcc
	s_mov_b64 s[26:27], 0
	s_waitcnt lgkmcnt(0)
	s_barrier
	s_branch .LBB121_3
.LBB121_14:
	s_waitcnt lgkmcnt(0)
	v_add_co_u32_e32 v1, vcc, v1, v3
	v_addc_co_u32_e32 v2, vcc, v2, v4, vcc
	s_add_u32 s0, s30, s34
	v_add_u32_e32 v2, 0x80000000, v2
	s_addc_u32 s1, s31, s35
	v_lshlrev_b32_e32 v0, 3, v0
	global_store_dwordx2 v0, v[1:2], s[0:1]
	s_endpgm
	.section	.rodata,"a",@progbits
	.p2align	6, 0x0
	.amdhsa_kernel _Z17sort_pairs_kernelI22helper_blocked_blockedxLj256ELj1ELj10EEvPKT0_PS1_
		.amdhsa_group_segment_fixed_size 4112
		.amdhsa_private_segment_fixed_size 0
		.amdhsa_kernarg_size 272
		.amdhsa_user_sgpr_count 6
		.amdhsa_user_sgpr_private_segment_buffer 1
		.amdhsa_user_sgpr_dispatch_ptr 0
		.amdhsa_user_sgpr_queue_ptr 0
		.amdhsa_user_sgpr_kernarg_segment_ptr 1
		.amdhsa_user_sgpr_dispatch_id 0
		.amdhsa_user_sgpr_flat_scratch_init 0
		.amdhsa_user_sgpr_private_segment_size 0
		.amdhsa_uses_dynamic_stack 0
		.amdhsa_system_sgpr_private_segment_wavefront_offset 0
		.amdhsa_system_sgpr_workgroup_id_x 1
		.amdhsa_system_sgpr_workgroup_id_y 0
		.amdhsa_system_sgpr_workgroup_id_z 0
		.amdhsa_system_sgpr_workgroup_info 0
		.amdhsa_system_vgpr_workitem_id 2
		.amdhsa_next_free_vgpr 27
		.amdhsa_next_free_sgpr 38
		.amdhsa_reserve_vcc 1
		.amdhsa_reserve_flat_scratch 0
		.amdhsa_float_round_mode_32 0
		.amdhsa_float_round_mode_16_64 0
		.amdhsa_float_denorm_mode_32 3
		.amdhsa_float_denorm_mode_16_64 3
		.amdhsa_dx10_clamp 1
		.amdhsa_ieee_mode 1
		.amdhsa_fp16_overflow 0
		.amdhsa_exception_fp_ieee_invalid_op 0
		.amdhsa_exception_fp_denorm_src 0
		.amdhsa_exception_fp_ieee_div_zero 0
		.amdhsa_exception_fp_ieee_overflow 0
		.amdhsa_exception_fp_ieee_underflow 0
		.amdhsa_exception_fp_ieee_inexact 0
		.amdhsa_exception_int_div_zero 0
	.end_amdhsa_kernel
	.section	.text._Z17sort_pairs_kernelI22helper_blocked_blockedxLj256ELj1ELj10EEvPKT0_PS1_,"axG",@progbits,_Z17sort_pairs_kernelI22helper_blocked_blockedxLj256ELj1ELj10EEvPKT0_PS1_,comdat
.Lfunc_end121:
	.size	_Z17sort_pairs_kernelI22helper_blocked_blockedxLj256ELj1ELj10EEvPKT0_PS1_, .Lfunc_end121-_Z17sort_pairs_kernelI22helper_blocked_blockedxLj256ELj1ELj10EEvPKT0_PS1_
                                        ; -- End function
	.set _Z17sort_pairs_kernelI22helper_blocked_blockedxLj256ELj1ELj10EEvPKT0_PS1_.num_vgpr, 27
	.set _Z17sort_pairs_kernelI22helper_blocked_blockedxLj256ELj1ELj10EEvPKT0_PS1_.num_agpr, 0
	.set _Z17sort_pairs_kernelI22helper_blocked_blockedxLj256ELj1ELj10EEvPKT0_PS1_.numbered_sgpr, 38
	.set _Z17sort_pairs_kernelI22helper_blocked_blockedxLj256ELj1ELj10EEvPKT0_PS1_.num_named_barrier, 0
	.set _Z17sort_pairs_kernelI22helper_blocked_blockedxLj256ELj1ELj10EEvPKT0_PS1_.private_seg_size, 0
	.set _Z17sort_pairs_kernelI22helper_blocked_blockedxLj256ELj1ELj10EEvPKT0_PS1_.uses_vcc, 1
	.set _Z17sort_pairs_kernelI22helper_blocked_blockedxLj256ELj1ELj10EEvPKT0_PS1_.uses_flat_scratch, 0
	.set _Z17sort_pairs_kernelI22helper_blocked_blockedxLj256ELj1ELj10EEvPKT0_PS1_.has_dyn_sized_stack, 0
	.set _Z17sort_pairs_kernelI22helper_blocked_blockedxLj256ELj1ELj10EEvPKT0_PS1_.has_recursion, 0
	.set _Z17sort_pairs_kernelI22helper_blocked_blockedxLj256ELj1ELj10EEvPKT0_PS1_.has_indirect_call, 0
	.section	.AMDGPU.csdata,"",@progbits
; Kernel info:
; codeLenInByte = 1368
; TotalNumSgprs: 42
; NumVgprs: 27
; ScratchSize: 0
; MemoryBound: 0
; FloatMode: 240
; IeeeMode: 1
; LDSByteSize: 4112 bytes/workgroup (compile time only)
; SGPRBlocks: 5
; VGPRBlocks: 6
; NumSGPRsForWavesPerEU: 42
; NumVGPRsForWavesPerEU: 27
; Occupancy: 9
; WaveLimiterHint : 0
; COMPUTE_PGM_RSRC2:SCRATCH_EN: 0
; COMPUTE_PGM_RSRC2:USER_SGPR: 6
; COMPUTE_PGM_RSRC2:TRAP_HANDLER: 0
; COMPUTE_PGM_RSRC2:TGID_X_EN: 1
; COMPUTE_PGM_RSRC2:TGID_Y_EN: 0
; COMPUTE_PGM_RSRC2:TGID_Z_EN: 0
; COMPUTE_PGM_RSRC2:TIDIG_COMP_CNT: 2
	.section	.text._Z16sort_keys_kernelI22helper_blocked_blockedxLj256ELj3ELj10EEvPKT0_PS1_,"axG",@progbits,_Z16sort_keys_kernelI22helper_blocked_blockedxLj256ELj3ELj10EEvPKT0_PS1_,comdat
	.protected	_Z16sort_keys_kernelI22helper_blocked_blockedxLj256ELj3ELj10EEvPKT0_PS1_ ; -- Begin function _Z16sort_keys_kernelI22helper_blocked_blockedxLj256ELj3ELj10EEvPKT0_PS1_
	.globl	_Z16sort_keys_kernelI22helper_blocked_blockedxLj256ELj3ELj10EEvPKT0_PS1_
	.p2align	8
	.type	_Z16sort_keys_kernelI22helper_blocked_blockedxLj256ELj3ELj10EEvPKT0_PS1_,@function
_Z16sort_keys_kernelI22helper_blocked_blockedxLj256ELj3ELj10EEvPKT0_PS1_: ; @_Z16sort_keys_kernelI22helper_blocked_blockedxLj256ELj3ELj10EEvPKT0_PS1_
; %bb.0:
	s_load_dwordx4 s[28:31], s[4:5], 0x0
	s_load_dword s2, s[4:5], 0x1c
	s_mul_i32 s34, s6, 0x300
	s_mov_b32 s35, 0
	s_lshl_b64 s[36:37], s[34:35], 3
	s_waitcnt lgkmcnt(0)
	s_add_u32 s0, s28, s36
	s_addc_u32 s1, s29, s37
	v_lshlrev_b32_e32 v9, 3, v0
	v_mov_b32_e32 v3, s1
	v_add_co_u32_e32 v4, vcc, s0, v9
	v_addc_co_u32_e32 v3, vcc, 0, v3, vcc
	s_movk_i32 s3, 0x1000
	v_add_co_u32_e32 v7, vcc, s3, v4
	v_addc_co_u32_e32 v8, vcc, 0, v3, vcc
	global_load_dwordx2 v[3:4], v9, s[0:1]
	global_load_dwordx2 v[5:6], v9, s[0:1] offset:2048
	global_load_dwordx2 v[13:14], v[7:8], off
	s_lshr_b32 s0, s2, 16
	v_mbcnt_lo_u32_b32 v8, -1, 0
	s_and_b32 s1, s2, 0xffff
	v_mad_u32_u24 v1, v2, s0, v1
	v_mbcnt_hi_u32_b32 v8, -1, v8
	v_mad_u64_u32 v[1:2], s[0:1], v1, s1, v[0:1]
	v_lshrrev_b32_e32 v9, 6, v0
	v_and_b32_e32 v2, 15, v8
	v_mul_u32_u24_e32 v10, 0xc0, v9
	v_cmp_eq_u32_e64 s[0:1], 0, v2
	v_cmp_lt_u32_e64 s[2:3], 1, v2
	v_cmp_lt_u32_e64 s[4:5], 3, v2
	;; [unrolled: 1-line block ×3, first 2 shown]
	v_and_b32_e32 v2, 16, v8
	v_lshlrev_b32_e32 v10, 3, v10
	v_lshlrev_b32_e32 v11, 3, v8
	v_cmp_eq_u32_e64 s[8:9], 0, v2
	v_and_b32_e32 v2, 0xc0, v0
	v_mad_u32_u24 v21, v8, 24, v10
	v_add_u32_e32 v22, v11, v10
	v_or_b32_e32 v10, 63, v2
	v_cmp_eq_u32_e64 s[10:11], v0, v10
	v_subrev_co_u32_e64 v10, s[12:13], 1, v8
	v_and_b32_e32 v12, 64, v8
	v_cmp_lt_i32_e32 vcc, v10, v12
	v_lshlrev_b32_e32 v23, 4, v0
	v_cndmask_b32_e32 v10, v10, v8, vcc
	v_lshrrev_b32_e32 v1, 4, v1
	v_mul_u32_u24_e32 v2, 24, v2
	s_mov_b32 s34, s35
	s_mov_b32 s26, s35
	v_cmp_lt_u32_e64 s[14:15], 31, v8
	v_lshlrev_b32_e32 v24, 2, v10
	v_lshlrev_b32_e32 v25, 2, v9
	v_and_b32_e32 v8, 3, v8
	v_mad_i32_i24 v26, v0, -12, v23
	v_and_b32_e32 v28, 0xffffffc, v1
	v_add_u32_e32 v29, v11, v2
	v_mul_u32_u24_e32 v1, 20, v0
	s_mov_b32 s27, s35
	v_mov_b32_e32 v9, s34
	v_mov_b32_e32 v11, s26
	;; [unrolled: 1-line block ×3, first 2 shown]
	v_cmp_gt_u32_e64 s[16:17], 4, v0
	v_cmp_lt_u32_e64 s[18:19], 63, v0
	v_cmp_eq_u32_e64 s[20:21], 0, v0
	v_cmp_eq_u32_e64 s[22:23], 0, v8
	v_cmp_lt_u32_e64 s[24:25], 1, v8
	v_add_u32_e32 v27, -4, v25
	v_add_u32_e32 v30, v26, v1
	v_mov_b32_e32 v10, s35
	v_mov_b32_e32 v12, s27
	s_branch .LBB122_2
.LBB122_1:                              ;   in Loop: Header=BB122_2 Depth=1
	v_lshlrev_b32_e32 v1, 3, v32
	s_barrier
	ds_write_b64 v1, v[13:14]
	v_lshlrev_b32_e32 v1, 3, v31
	ds_write_b64 v1, v[15:16]
	v_lshlrev_b32_e32 v1, 3, v8
	ds_write_b64 v1, v[17:18]
	s_waitcnt lgkmcnt(0)
	s_barrier
	ds_read2_b64 v[3:6], v30 offset1:1
	ds_read_b64 v[13:14], v30 offset:16
	s_add_i32 s35, s35, 1
	s_cmp_eq_u32 s35, 10
	s_waitcnt lgkmcnt(1)
	v_xor_b32_e32 v4, 0x80000000, v4
	v_xor_b32_e32 v6, 0x80000000, v6
	s_waitcnt lgkmcnt(0)
	v_xor_b32_e32 v14, 0x80000000, v14
	s_cbranch_scc1 .LBB122_18
.LBB122_2:                              ; =>This Loop Header: Depth=1
                                        ;     Child Loop BB122_4 Depth 2
	s_waitcnt vmcnt(2)
	v_xor_b32_e32 v4, 0x80000000, v4
	s_waitcnt vmcnt(1)
	v_xor_b32_e32 v6, 0x80000000, v6
	s_waitcnt vmcnt(0)
	v_xor_b32_e32 v14, 0x80000000, v14
	ds_write2_b64 v21, v[3:4], v[5:6] offset1:1
	ds_write_b64 v21, v[13:14] offset:16
	; wave barrier
	ds_read2st64_b64 v[1:4], v22 offset1:1
	ds_read_b64 v[19:20], v22 offset:1024
	v_mov_b32_e32 v5, 0
	v_mov_b32_e32 v6, 0
	s_waitcnt lgkmcnt(0)
	s_barrier
	; wave barrier
	s_barrier
	s_branch .LBB122_4
.LBB122_3:                              ;   in Loop: Header=BB122_4 Depth=2
	s_andn2_b64 vcc, exec, s[26:27]
	s_cbranch_vccz .LBB122_1
.LBB122_4:                              ;   Parent Loop BB122_2 Depth=1
                                        ; =>  This Inner Loop Header: Depth=2
	v_mov_b32_e32 v14, v2
	v_mov_b32_e32 v13, v1
	v_lshrrev_b64 v[31:32], v5, v[13:14]
	v_mov_b32_e32 v16, v4
	v_and_b32_e32 v1, 1, v31
	v_cmp_ne_u32_e32 vcc, 0, v1
	v_add_co_u32_e64 v1, s[26:27], -1, v1
	v_addc_co_u32_e64 v2, s[26:27], 0, -1, s[26:27]
	v_lshlrev_b32_e32 v8, 30, v31
	v_mov_b32_e32 v15, v3
	v_cmp_gt_i64_e64 s[26:27], 0, v[7:8]
	v_not_b32_e32 v3, v8
	v_ashrrev_i32_e32 v3, 31, v3
	v_xor_b32_e32 v1, vcc_lo, v1
	v_xor_b32_e32 v4, s27, v3
	v_and_b32_e32 v1, exec_lo, v1
	v_xor_b32_e32 v3, s26, v3
	v_lshlrev_b32_e32 v8, 29, v31
	v_xor_b32_e32 v2, vcc_hi, v2
	v_and_b32_e32 v1, v1, v3
	v_cmp_gt_i64_e32 vcc, 0, v[7:8]
	v_not_b32_e32 v3, v8
	v_and_b32_e32 v2, exec_hi, v2
	v_ashrrev_i32_e32 v3, 31, v3
	v_and_b32_e32 v2, v2, v4
	v_xor_b32_e32 v4, vcc_hi, v3
	v_xor_b32_e32 v3, vcc_lo, v3
	v_lshlrev_b32_e32 v8, 28, v31
	v_and_b32_e32 v1, v1, v3
	v_cmp_gt_i64_e32 vcc, 0, v[7:8]
	v_not_b32_e32 v3, v8
	v_ashrrev_i32_e32 v3, 31, v3
	v_and_b32_e32 v2, v2, v4
	v_xor_b32_e32 v4, vcc_hi, v3
	v_xor_b32_e32 v3, vcc_lo, v3
	v_lshlrev_b32_e32 v8, 27, v31
	v_and_b32_e32 v1, v1, v3
	v_cmp_gt_i64_e32 vcc, 0, v[7:8]
	v_not_b32_e32 v3, v8
	;; [unrolled: 8-line block ×5, first 2 shown]
	v_ashrrev_i32_e32 v3, 31, v3
	v_and_b32_e32 v2, v2, v4
	v_xor_b32_e32 v4, vcc_hi, v3
	v_xor_b32_e32 v3, vcc_lo, v3
	v_and_b32_e32 v1, v1, v3
	v_lshlrev_b32_e32 v3, 4, v31
	v_mov_b32_e32 v17, v19
	v_and_b32_e32 v3, 0xff0, v3
	v_and_b32_e32 v2, v2, v4
	v_mov_b32_e32 v18, v20
	v_add_u32_e32 v19, v28, v3
	v_mbcnt_lo_u32_b32 v3, v1, 0
	v_mbcnt_hi_u32_b32 v20, v2, v3
	v_cmp_ne_u64_e32 vcc, 0, v[1:2]
	v_cmp_eq_u32_e64 s[26:27], 0, v20
	s_and_b64 s[28:29], vcc, s[26:27]
	ds_write2_b64 v23, v[9:10], v[11:12] offset0:2 offset1:3
	s_waitcnt lgkmcnt(0)
	s_barrier
	; wave barrier
	s_and_saveexec_b64 s[26:27], s[28:29]
; %bb.5:                                ;   in Loop: Header=BB122_4 Depth=2
	v_bcnt_u32_b32 v1, v1, 0
	v_bcnt_u32_b32 v1, v2, v1
	ds_write_b32 v19, v1 offset:16
; %bb.6:                                ;   in Loop: Header=BB122_4 Depth=2
	s_or_b64 exec, exec, s[26:27]
	v_lshrrev_b64 v[1:2], v5, v[15:16]
	v_lshlrev_b32_e32 v2, 4, v1
	v_and_b32_e32 v2, 0xff0, v2
	v_add_u32_e32 v32, v28, v2
	v_and_b32_e32 v2, 1, v1
	v_add_co_u32_e32 v3, vcc, -1, v2
	v_addc_co_u32_e64 v4, s[26:27], 0, -1, vcc
	v_cmp_ne_u32_e32 vcc, 0, v2
	v_lshlrev_b32_e32 v8, 30, v1
	v_xor_b32_e32 v2, vcc_hi, v4
	v_xor_b32_e32 v3, vcc_lo, v3
	v_cmp_gt_i64_e32 vcc, 0, v[7:8]
	v_not_b32_e32 v4, v8
	v_ashrrev_i32_e32 v4, 31, v4
	v_and_b32_e32 v2, exec_hi, v2
	v_xor_b32_e32 v8, vcc_hi, v4
	v_and_b32_e32 v3, exec_lo, v3
	v_xor_b32_e32 v4, vcc_lo, v4
	v_and_b32_e32 v2, v2, v8
	v_lshlrev_b32_e32 v8, 29, v1
	v_and_b32_e32 v3, v3, v4
	v_cmp_gt_i64_e32 vcc, 0, v[7:8]
	v_not_b32_e32 v4, v8
	v_ashrrev_i32_e32 v4, 31, v4
	v_xor_b32_e32 v8, vcc_hi, v4
	v_xor_b32_e32 v4, vcc_lo, v4
	v_and_b32_e32 v2, v2, v8
	v_lshlrev_b32_e32 v8, 28, v1
	v_and_b32_e32 v3, v3, v4
	v_cmp_gt_i64_e32 vcc, 0, v[7:8]
	v_not_b32_e32 v4, v8
	v_ashrrev_i32_e32 v4, 31, v4
	v_xor_b32_e32 v8, vcc_hi, v4
	v_xor_b32_e32 v4, vcc_lo, v4
	v_and_b32_e32 v2, v2, v8
	v_lshlrev_b32_e32 v8, 27, v1
	v_and_b32_e32 v3, v3, v4
	v_cmp_gt_i64_e32 vcc, 0, v[7:8]
	v_not_b32_e32 v4, v8
	v_ashrrev_i32_e32 v4, 31, v4
	v_xor_b32_e32 v8, vcc_hi, v4
	v_xor_b32_e32 v4, vcc_lo, v4
	v_and_b32_e32 v2, v2, v8
	v_lshlrev_b32_e32 v8, 26, v1
	v_and_b32_e32 v3, v3, v4
	v_cmp_gt_i64_e32 vcc, 0, v[7:8]
	v_not_b32_e32 v4, v8
	v_ashrrev_i32_e32 v4, 31, v4
	v_xor_b32_e32 v8, vcc_hi, v4
	v_xor_b32_e32 v4, vcc_lo, v4
	v_and_b32_e32 v2, v2, v8
	v_lshlrev_b32_e32 v8, 25, v1
	v_and_b32_e32 v3, v3, v4
	v_cmp_gt_i64_e32 vcc, 0, v[7:8]
	v_not_b32_e32 v4, v8
	v_ashrrev_i32_e32 v4, 31, v4
	v_xor_b32_e32 v8, vcc_hi, v4
	v_and_b32_e32 v2, v2, v8
	v_lshlrev_b32_e32 v8, 24, v1
	v_xor_b32_e32 v4, vcc_lo, v4
	v_cmp_gt_i64_e32 vcc, 0, v[7:8]
	v_not_b32_e32 v1, v8
	v_ashrrev_i32_e32 v1, 31, v1
	v_and_b32_e32 v3, v3, v4
	v_xor_b32_e32 v4, vcc_hi, v1
	v_xor_b32_e32 v1, vcc_lo, v1
	; wave barrier
	ds_read_b32 v31, v32 offset:16
	v_and_b32_e32 v1, v3, v1
	v_and_b32_e32 v2, v2, v4
	v_mbcnt_lo_u32_b32 v3, v1, 0
	v_mbcnt_hi_u32_b32 v33, v2, v3
	v_cmp_ne_u64_e32 vcc, 0, v[1:2]
	v_cmp_eq_u32_e64 s[26:27], 0, v33
	s_and_b64 s[28:29], vcc, s[26:27]
	; wave barrier
	s_and_saveexec_b64 s[26:27], s[28:29]
	s_cbranch_execz .LBB122_8
; %bb.7:                                ;   in Loop: Header=BB122_4 Depth=2
	v_bcnt_u32_b32 v1, v1, 0
	v_bcnt_u32_b32 v1, v2, v1
	s_waitcnt lgkmcnt(0)
	v_add_u32_e32 v1, v31, v1
	ds_write_b32 v32, v1 offset:16
.LBB122_8:                              ;   in Loop: Header=BB122_4 Depth=2
	s_or_b64 exec, exec, s[26:27]
	v_lshrrev_b64 v[1:2], v5, v[17:18]
	v_lshlrev_b32_e32 v2, 4, v1
	v_and_b32_e32 v2, 0xff0, v2
	v_add_u32_e32 v35, v28, v2
	v_and_b32_e32 v2, 1, v1
	v_add_co_u32_e32 v3, vcc, -1, v2
	v_addc_co_u32_e64 v4, s[26:27], 0, -1, vcc
	v_cmp_ne_u32_e32 vcc, 0, v2
	v_lshlrev_b32_e32 v8, 30, v1
	v_xor_b32_e32 v2, vcc_hi, v4
	v_xor_b32_e32 v3, vcc_lo, v3
	v_cmp_gt_i64_e32 vcc, 0, v[7:8]
	v_not_b32_e32 v4, v8
	v_ashrrev_i32_e32 v4, 31, v4
	v_and_b32_e32 v2, exec_hi, v2
	v_xor_b32_e32 v8, vcc_hi, v4
	v_and_b32_e32 v3, exec_lo, v3
	v_xor_b32_e32 v4, vcc_lo, v4
	v_and_b32_e32 v2, v2, v8
	v_lshlrev_b32_e32 v8, 29, v1
	v_and_b32_e32 v3, v3, v4
	v_cmp_gt_i64_e32 vcc, 0, v[7:8]
	v_not_b32_e32 v4, v8
	v_ashrrev_i32_e32 v4, 31, v4
	v_xor_b32_e32 v8, vcc_hi, v4
	v_xor_b32_e32 v4, vcc_lo, v4
	v_and_b32_e32 v2, v2, v8
	v_lshlrev_b32_e32 v8, 28, v1
	v_and_b32_e32 v3, v3, v4
	v_cmp_gt_i64_e32 vcc, 0, v[7:8]
	v_not_b32_e32 v4, v8
	v_ashrrev_i32_e32 v4, 31, v4
	v_xor_b32_e32 v8, vcc_hi, v4
	;; [unrolled: 8-line block ×5, first 2 shown]
	v_and_b32_e32 v2, v2, v8
	v_lshlrev_b32_e32 v8, 24, v1
	v_xor_b32_e32 v4, vcc_lo, v4
	v_cmp_gt_i64_e32 vcc, 0, v[7:8]
	v_not_b32_e32 v1, v8
	v_ashrrev_i32_e32 v1, 31, v1
	v_and_b32_e32 v3, v3, v4
	v_xor_b32_e32 v4, vcc_hi, v1
	v_xor_b32_e32 v1, vcc_lo, v1
	; wave barrier
	ds_read_b32 v34, v35 offset:16
	v_and_b32_e32 v1, v3, v1
	v_and_b32_e32 v2, v2, v4
	v_mbcnt_lo_u32_b32 v3, v1, 0
	v_mbcnt_hi_u32_b32 v8, v2, v3
	v_cmp_ne_u64_e32 vcc, 0, v[1:2]
	v_cmp_eq_u32_e64 s[26:27], 0, v8
	s_and_b64 s[28:29], vcc, s[26:27]
	; wave barrier
	s_and_saveexec_b64 s[26:27], s[28:29]
	s_cbranch_execz .LBB122_10
; %bb.9:                                ;   in Loop: Header=BB122_4 Depth=2
	v_bcnt_u32_b32 v1, v1, 0
	v_bcnt_u32_b32 v1, v2, v1
	s_waitcnt lgkmcnt(0)
	v_add_u32_e32 v1, v34, v1
	ds_write_b32 v35, v1 offset:16
.LBB122_10:                             ;   in Loop: Header=BB122_4 Depth=2
	s_or_b64 exec, exec, s[26:27]
	; wave barrier
	s_waitcnt lgkmcnt(0)
	s_barrier
	ds_read2_b64 v[1:4], v23 offset0:2 offset1:3
	s_waitcnt lgkmcnt(0)
	v_add_u32_e32 v36, v2, v1
	v_add3_u32 v4, v36, v3, v4
	s_nop 1
	v_mov_b32_dpp v36, v4 row_shr:1 row_mask:0xf bank_mask:0xf
	v_cndmask_b32_e64 v36, v36, 0, s[0:1]
	v_add_u32_e32 v4, v36, v4
	s_nop 1
	v_mov_b32_dpp v36, v4 row_shr:2 row_mask:0xf bank_mask:0xf
	v_cndmask_b32_e64 v36, 0, v36, s[2:3]
	v_add_u32_e32 v4, v4, v36
	;; [unrolled: 4-line block ×4, first 2 shown]
	s_nop 1
	v_mov_b32_dpp v36, v4 row_bcast:15 row_mask:0xf bank_mask:0xf
	v_cndmask_b32_e64 v36, v36, 0, s[8:9]
	v_add_u32_e32 v4, v4, v36
	s_nop 1
	v_mov_b32_dpp v36, v4 row_bcast:31 row_mask:0xf bank_mask:0xf
	v_cndmask_b32_e64 v36, 0, v36, s[14:15]
	v_add_u32_e32 v4, v4, v36
	s_and_saveexec_b64 s[26:27], s[10:11]
; %bb.11:                               ;   in Loop: Header=BB122_4 Depth=2
	ds_write_b32 v25, v4
; %bb.12:                               ;   in Loop: Header=BB122_4 Depth=2
	s_or_b64 exec, exec, s[26:27]
	s_waitcnt lgkmcnt(0)
	s_barrier
	s_and_saveexec_b64 s[26:27], s[16:17]
	s_cbranch_execz .LBB122_14
; %bb.13:                               ;   in Loop: Header=BB122_4 Depth=2
	ds_read_b32 v36, v26
	s_waitcnt lgkmcnt(0)
	s_nop 0
	v_mov_b32_dpp v37, v36 row_shr:1 row_mask:0xf bank_mask:0xf
	v_cndmask_b32_e64 v37, v37, 0, s[22:23]
	v_add_u32_e32 v36, v37, v36
	s_nop 1
	v_mov_b32_dpp v37, v36 row_shr:2 row_mask:0xf bank_mask:0xf
	v_cndmask_b32_e64 v37, 0, v37, s[24:25]
	v_add_u32_e32 v36, v36, v37
	ds_write_b32 v26, v36
.LBB122_14:                             ;   in Loop: Header=BB122_4 Depth=2
	s_or_b64 exec, exec, s[26:27]
	v_mov_b32_e32 v36, 0
	s_waitcnt lgkmcnt(0)
	s_barrier
	s_and_saveexec_b64 s[26:27], s[18:19]
; %bb.15:                               ;   in Loop: Header=BB122_4 Depth=2
	ds_read_b32 v36, v27
; %bb.16:                               ;   in Loop: Header=BB122_4 Depth=2
	s_or_b64 exec, exec, s[26:27]
	s_waitcnt lgkmcnt(0)
	v_add_u32_e32 v4, v36, v4
	ds_bpermute_b32 v4, v24, v4
	v_cmp_lt_u32_e32 vcc, 55, v5
	s_and_b64 vcc, exec, vcc
	s_mov_b64 s[26:27], -1
	s_waitcnt lgkmcnt(0)
	v_cndmask_b32_e64 v4, v4, v36, s[12:13]
	v_cndmask_b32_e64 v36, v4, 0, s[20:21]
	v_add_u32_e32 v37, v36, v1
	v_add_u32_e32 v1, v37, v2
	;; [unrolled: 1-line block ×3, first 2 shown]
	ds_write2_b64 v23, v[36:37], v[1:2] offset0:2 offset1:3
	s_waitcnt lgkmcnt(0)
	s_barrier
	ds_read_b32 v1, v19 offset:16
	ds_read_b32 v2, v32 offset:16
	;; [unrolled: 1-line block ×3, first 2 shown]
	s_waitcnt lgkmcnt(2)
	v_add_u32_e32 v32, v1, v20
	s_waitcnt lgkmcnt(1)
	v_add3_u32 v31, v33, v31, v2
	s_waitcnt lgkmcnt(0)
	v_add3_u32 v8, v8, v34, v3
                                        ; implicit-def: $vgpr19_vgpr20
                                        ; implicit-def: $vgpr3_vgpr4
	s_cbranch_vccnz .LBB122_3
; %bb.17:                               ;   in Loop: Header=BB122_4 Depth=2
	v_lshlrev_b32_e32 v1, 3, v32
	s_barrier
	ds_write_b64 v1, v[13:14]
	v_lshlrev_b32_e32 v1, 3, v31
	ds_write_b64 v1, v[15:16]
	v_lshlrev_b32_e32 v1, 3, v8
	ds_write_b64 v1, v[17:18]
	s_waitcnt lgkmcnt(0)
	s_barrier
	ds_read2st64_b64 v[1:4], v29 offset1:1
	ds_read_b64 v[19:20], v29 offset:1024
	v_add_co_u32_e32 v5, vcc, 8, v5
	v_addc_co_u32_e32 v6, vcc, 0, v6, vcc
	s_mov_b64 s[26:27], 0
	s_waitcnt lgkmcnt(0)
	s_barrier
	s_branch .LBB122_3
.LBB122_18:
	s_add_u32 s0, s30, s36
	s_addc_u32 s1, s31, s37
	v_lshlrev_b32_e32 v0, 3, v0
	v_mov_b32_e32 v1, s1
	v_add_co_u32_e32 v2, vcc, s0, v0
	v_addc_co_u32_e32 v1, vcc, 0, v1, vcc
	global_store_dwordx2 v0, v[3:4], s[0:1]
	global_store_dwordx2 v0, v[5:6], s[0:1] offset:2048
	v_add_co_u32_e32 v0, vcc, 0x1000, v2
	v_addc_co_u32_e32 v1, vcc, 0, v1, vcc
	global_store_dwordx2 v[0:1], v[13:14], off
	s_endpgm
	.section	.rodata,"a",@progbits
	.p2align	6, 0x0
	.amdhsa_kernel _Z16sort_keys_kernelI22helper_blocked_blockedxLj256ELj3ELj10EEvPKT0_PS1_
		.amdhsa_group_segment_fixed_size 6144
		.amdhsa_private_segment_fixed_size 0
		.amdhsa_kernarg_size 272
		.amdhsa_user_sgpr_count 6
		.amdhsa_user_sgpr_private_segment_buffer 1
		.amdhsa_user_sgpr_dispatch_ptr 0
		.amdhsa_user_sgpr_queue_ptr 0
		.amdhsa_user_sgpr_kernarg_segment_ptr 1
		.amdhsa_user_sgpr_dispatch_id 0
		.amdhsa_user_sgpr_flat_scratch_init 0
		.amdhsa_user_sgpr_private_segment_size 0
		.amdhsa_uses_dynamic_stack 0
		.amdhsa_system_sgpr_private_segment_wavefront_offset 0
		.amdhsa_system_sgpr_workgroup_id_x 1
		.amdhsa_system_sgpr_workgroup_id_y 0
		.amdhsa_system_sgpr_workgroup_id_z 0
		.amdhsa_system_sgpr_workgroup_info 0
		.amdhsa_system_vgpr_workitem_id 2
		.amdhsa_next_free_vgpr 38
		.amdhsa_next_free_sgpr 38
		.amdhsa_reserve_vcc 1
		.amdhsa_reserve_flat_scratch 0
		.amdhsa_float_round_mode_32 0
		.amdhsa_float_round_mode_16_64 0
		.amdhsa_float_denorm_mode_32 3
		.amdhsa_float_denorm_mode_16_64 3
		.amdhsa_dx10_clamp 1
		.amdhsa_ieee_mode 1
		.amdhsa_fp16_overflow 0
		.amdhsa_exception_fp_ieee_invalid_op 0
		.amdhsa_exception_fp_denorm_src 0
		.amdhsa_exception_fp_ieee_div_zero 0
		.amdhsa_exception_fp_ieee_overflow 0
		.amdhsa_exception_fp_ieee_underflow 0
		.amdhsa_exception_fp_ieee_inexact 0
		.amdhsa_exception_int_div_zero 0
	.end_amdhsa_kernel
	.section	.text._Z16sort_keys_kernelI22helper_blocked_blockedxLj256ELj3ELj10EEvPKT0_PS1_,"axG",@progbits,_Z16sort_keys_kernelI22helper_blocked_blockedxLj256ELj3ELj10EEvPKT0_PS1_,comdat
.Lfunc_end122:
	.size	_Z16sort_keys_kernelI22helper_blocked_blockedxLj256ELj3ELj10EEvPKT0_PS1_, .Lfunc_end122-_Z16sort_keys_kernelI22helper_blocked_blockedxLj256ELj3ELj10EEvPKT0_PS1_
                                        ; -- End function
	.set _Z16sort_keys_kernelI22helper_blocked_blockedxLj256ELj3ELj10EEvPKT0_PS1_.num_vgpr, 38
	.set _Z16sort_keys_kernelI22helper_blocked_blockedxLj256ELj3ELj10EEvPKT0_PS1_.num_agpr, 0
	.set _Z16sort_keys_kernelI22helper_blocked_blockedxLj256ELj3ELj10EEvPKT0_PS1_.numbered_sgpr, 38
	.set _Z16sort_keys_kernelI22helper_blocked_blockedxLj256ELj3ELj10EEvPKT0_PS1_.num_named_barrier, 0
	.set _Z16sort_keys_kernelI22helper_blocked_blockedxLj256ELj3ELj10EEvPKT0_PS1_.private_seg_size, 0
	.set _Z16sort_keys_kernelI22helper_blocked_blockedxLj256ELj3ELj10EEvPKT0_PS1_.uses_vcc, 1
	.set _Z16sort_keys_kernelI22helper_blocked_blockedxLj256ELj3ELj10EEvPKT0_PS1_.uses_flat_scratch, 0
	.set _Z16sort_keys_kernelI22helper_blocked_blockedxLj256ELj3ELj10EEvPKT0_PS1_.has_dyn_sized_stack, 0
	.set _Z16sort_keys_kernelI22helper_blocked_blockedxLj256ELj3ELj10EEvPKT0_PS1_.has_recursion, 0
	.set _Z16sort_keys_kernelI22helper_blocked_blockedxLj256ELj3ELj10EEvPKT0_PS1_.has_indirect_call, 0
	.section	.AMDGPU.csdata,"",@progbits
; Kernel info:
; codeLenInByte = 2336
; TotalNumSgprs: 42
; NumVgprs: 38
; ScratchSize: 0
; MemoryBound: 0
; FloatMode: 240
; IeeeMode: 1
; LDSByteSize: 6144 bytes/workgroup (compile time only)
; SGPRBlocks: 5
; VGPRBlocks: 9
; NumSGPRsForWavesPerEU: 42
; NumVGPRsForWavesPerEU: 38
; Occupancy: 6
; WaveLimiterHint : 1
; COMPUTE_PGM_RSRC2:SCRATCH_EN: 0
; COMPUTE_PGM_RSRC2:USER_SGPR: 6
; COMPUTE_PGM_RSRC2:TRAP_HANDLER: 0
; COMPUTE_PGM_RSRC2:TGID_X_EN: 1
; COMPUTE_PGM_RSRC2:TGID_Y_EN: 0
; COMPUTE_PGM_RSRC2:TGID_Z_EN: 0
; COMPUTE_PGM_RSRC2:TIDIG_COMP_CNT: 2
	.section	.text._Z17sort_pairs_kernelI22helper_blocked_blockedxLj256ELj3ELj10EEvPKT0_PS1_,"axG",@progbits,_Z17sort_pairs_kernelI22helper_blocked_blockedxLj256ELj3ELj10EEvPKT0_PS1_,comdat
	.protected	_Z17sort_pairs_kernelI22helper_blocked_blockedxLj256ELj3ELj10EEvPKT0_PS1_ ; -- Begin function _Z17sort_pairs_kernelI22helper_blocked_blockedxLj256ELj3ELj10EEvPKT0_PS1_
	.globl	_Z17sort_pairs_kernelI22helper_blocked_blockedxLj256ELj3ELj10EEvPKT0_PS1_
	.p2align	8
	.type	_Z17sort_pairs_kernelI22helper_blocked_blockedxLj256ELj3ELj10EEvPKT0_PS1_,@function
_Z17sort_pairs_kernelI22helper_blocked_blockedxLj256ELj3ELj10EEvPKT0_PS1_: ; @_Z17sort_pairs_kernelI22helper_blocked_blockedxLj256ELj3ELj10EEvPKT0_PS1_
; %bb.0:
	s_load_dwordx4 s[28:31], s[4:5], 0x0
	s_load_dword s33, s[4:5], 0x1c
	s_mul_i32 s36, s6, 0x300
	s_mov_b32 s37, 0
	s_lshl_b64 s[34:35], s[36:37], 3
	s_waitcnt lgkmcnt(0)
	s_add_u32 s0, s28, s34
	s_addc_u32 s1, s29, s35
	v_lshlrev_b32_e32 v5, 3, v0
	v_mov_b32_e32 v6, s1
	global_load_dwordx2 v[3:4], v5, s[0:1]
	v_add_co_u32_e32 v7, vcc, s0, v5
	v_addc_co_u32_e32 v8, vcc, 0, v6, vcc
	global_load_dwordx2 v[5:6], v5, s[0:1] offset:2048
	s_movk_i32 s0, 0x1000
	v_add_co_u32_e32 v7, vcc, s0, v7
	v_addc_co_u32_e32 v8, vcc, 0, v8, vcc
	global_load_dwordx2 v[21:22], v[7:8], off
	v_mbcnt_lo_u32_b32 v7, -1, 0
	v_mbcnt_hi_u32_b32 v7, -1, v7
	v_lshrrev_b32_e32 v8, 6, v0
	v_and_b32_e32 v9, 0xc0, v0
	v_mul_u32_u24_e32 v12, 0xc0, v8
	v_subrev_co_u32_e64 v17, s[8:9], 1, v7
	v_and_b32_e32 v18, 64, v7
	s_lshr_b32 s28, s33, 16
	v_or_b32_e32 v16, 63, v9
	v_lshlrev_b32_e32 v12, 3, v12
	v_cmp_lt_i32_e32 vcc, v17, v18
	s_and_b32 s29, s33, 0xffff
	v_mad_u32_u24 v1, v2, s28, v1
	v_lshlrev_b32_e32 v15, 3, v7
	v_and_b32_e32 v13, 15, v7
	v_and_b32_e32 v14, 16, v7
	v_cmp_lt_u32_e64 s[6:7], 31, v7
	v_lshlrev_b32_e32 v34, 2, v8
	v_and_b32_e32 v8, 3, v7
	v_cmp_eq_u32_e64 s[20:21], v0, v16
	v_cndmask_b32_e32 v16, v17, v7, vcc
	v_mad_u64_u32 v[1:2], s[28:29], v1, s29, v[0:1]
	v_mad_u32_u24 v39, v7, 24, v12
	v_lshlrev_b32_e32 v33, 4, v0
	v_mul_u32_u24_e32 v9, 24, v9
	v_cmp_eq_u32_e64 s[22:23], 0, v8
	v_cmp_lt_u32_e64 s[24:25], 1, v8
	v_mul_u32_u24_e32 v10, 20, v0
	v_mad_i32_i24 v35, v0, -12, v33
	v_add_u32_e32 v36, v15, v9
	s_mov_b32 s26, s37
	s_mov_b32 s36, s37
	v_add_u32_e32 v37, v35, v10
	s_mov_b32 s27, s37
	v_cmp_eq_u32_e64 s[10:11], 0, v13
	v_cmp_lt_u32_e64 s[12:13], 1, v13
	v_cmp_lt_u32_e64 s[14:15], 3, v13
	;; [unrolled: 1-line block ×3, first 2 shown]
	v_cmp_eq_u32_e64 s[18:19], 0, v14
	v_mov_b32_e32 v13, s36
	v_add_u32_e32 v40, v15, v12
	v_lshlrev_b32_e32 v41, 2, v16
	v_lshrrev_b32_e32 v1, 4, v1
	v_mov_b32_e32 v15, s26
	v_mov_b32_e32 v11, 0
	v_cmp_gt_u32_e64 s[0:1], 4, v0
	v_cmp_lt_u32_e64 s[2:3], 63, v0
	v_cmp_eq_u32_e64 s[4:5], 0, v0
	v_add_u32_e32 v38, -4, v34
	v_mov_b32_e32 v14, s37
	v_and_b32_e32 v42, 0xffffffc, v1
	v_mov_b32_e32 v16, s27
	s_waitcnt vmcnt(2)
	v_add_co_u32_e32 v7, vcc, 1, v3
	v_addc_co_u32_e32 v8, vcc, 0, v4, vcc
	s_waitcnt vmcnt(1)
	v_add_co_u32_e32 v9, vcc, 1, v5
	v_addc_co_u32_e32 v10, vcc, 0, v6, vcc
	;; [unrolled: 3-line block ×3, first 2 shown]
	s_branch .LBB123_2
.LBB123_1:                              ;   in Loop: Header=BB123_2 Depth=1
	v_lshlrev_b32_e32 v1, 3, v44
	v_lshlrev_b32_e32 v2, 3, v43
	;; [unrolled: 1-line block ×3, first 2 shown]
	s_barrier
	ds_write_b64 v1, v[27:28]
	ds_write_b64 v2, v[25:26]
	;; [unrolled: 1-line block ×3, first 2 shown]
	s_waitcnt lgkmcnt(0)
	s_barrier
	ds_read2_b64 v[3:6], v37 offset1:1
	ds_read_b64 v[21:22], v37 offset:16
	s_waitcnt lgkmcnt(0)
	s_barrier
	ds_write_b64 v1, v[19:20]
	ds_write_b64 v2, v[17:18]
	;; [unrolled: 1-line block ×3, first 2 shown]
	s_waitcnt lgkmcnt(0)
	s_barrier
	ds_read2_b64 v[7:10], v37 offset1:1
	ds_read_b64 v[17:18], v37 offset:16
	s_add_i32 s37, s37, 1
	v_xor_b32_e32 v4, 0x80000000, v4
	v_xor_b32_e32 v6, 0x80000000, v6
	s_cmp_eq_u32 s37, 10
	v_xor_b32_e32 v22, 0x80000000, v22
	s_cbranch_scc1 .LBB123_18
.LBB123_2:                              ; =>This Loop Header: Depth=1
                                        ;     Child Loop BB123_4 Depth 2
	v_xor_b32_e32 v4, 0x80000000, v4
	v_xor_b32_e32 v6, 0x80000000, v6
	;; [unrolled: 1-line block ×3, first 2 shown]
	ds_write2_b64 v39, v[3:4], v[5:6] offset1:1
	ds_write_b64 v39, v[21:22] offset:16
	; wave barrier
	ds_read2st64_b64 v[1:4], v40 offset1:1
	ds_read_b64 v[29:30], v40 offset:1024
	; wave barrier
	s_waitcnt lgkmcnt(5)
	ds_write2_b64 v39, v[7:8], v[9:10] offset1:1
	s_waitcnt lgkmcnt(5)
	ds_write_b64 v39, v[17:18] offset:16
	; wave barrier
	ds_read2st64_b64 v[5:8], v40 offset1:1
	ds_read_b64 v[31:32], v40 offset:1024
	v_mov_b32_e32 v21, 0
	v_mov_b32_e32 v22, 0
	s_waitcnt lgkmcnt(0)
	s_barrier
	s_branch .LBB123_4
.LBB123_3:                              ;   in Loop: Header=BB123_4 Depth=2
	s_andn2_b64 vcc, exec, s[26:27]
	s_cbranch_vccz .LBB123_1
.LBB123_4:                              ;   Parent Loop BB123_2 Depth=1
                                        ; =>  This Inner Loop Header: Depth=2
	v_mov_b32_e32 v28, v2
	v_mov_b32_e32 v27, v1
	v_lshrrev_b64 v[1:2], v21, v[27:28]
	v_mov_b32_e32 v26, v4
	v_and_b32_e32 v2, 1, v1
	v_mov_b32_e32 v25, v3
	v_add_co_u32_e32 v3, vcc, -1, v2
	v_addc_co_u32_e64 v4, s[26:27], 0, -1, vcc
	v_cmp_ne_u32_e32 vcc, 0, v2
	v_lshlrev_b32_e32 v12, 30, v1
	v_xor_b32_e32 v2, vcc_hi, v4
	v_xor_b32_e32 v3, vcc_lo, v3
	v_cmp_gt_i64_e32 vcc, 0, v[11:12]
	v_not_b32_e32 v4, v12
	v_mov_b32_e32 v20, v6
	v_ashrrev_i32_e32 v4, 31, v4
	v_mov_b32_e32 v19, v5
	v_and_b32_e32 v3, exec_lo, v3
	v_xor_b32_e32 v5, vcc_hi, v4
	v_xor_b32_e32 v4, vcc_lo, v4
	v_lshlrev_b32_e32 v12, 29, v1
	v_and_b32_e32 v3, v3, v4
	v_cmp_gt_i64_e32 vcc, 0, v[11:12]
	v_not_b32_e32 v4, v12
	v_and_b32_e32 v2, exec_hi, v2
	v_ashrrev_i32_e32 v4, 31, v4
	v_and_b32_e32 v2, v2, v5
	v_xor_b32_e32 v5, vcc_hi, v4
	v_xor_b32_e32 v4, vcc_lo, v4
	v_lshlrev_b32_e32 v12, 28, v1
	v_and_b32_e32 v3, v3, v4
	v_cmp_gt_i64_e32 vcc, 0, v[11:12]
	v_not_b32_e32 v4, v12
	v_ashrrev_i32_e32 v4, 31, v4
	v_and_b32_e32 v2, v2, v5
	v_xor_b32_e32 v5, vcc_hi, v4
	v_xor_b32_e32 v4, vcc_lo, v4
	v_lshlrev_b32_e32 v12, 27, v1
	v_and_b32_e32 v3, v3, v4
	v_cmp_gt_i64_e32 vcc, 0, v[11:12]
	v_not_b32_e32 v4, v12
	;; [unrolled: 8-line block ×4, first 2 shown]
	v_ashrrev_i32_e32 v4, 31, v4
	v_and_b32_e32 v2, v2, v5
	v_xor_b32_e32 v5, vcc_hi, v4
	v_lshlrev_b32_e32 v12, 24, v1
	v_and_b32_e32 v2, v2, v5
	v_lshlrev_b32_e32 v5, 4, v1
	v_xor_b32_e32 v4, vcc_lo, v4
	v_cmp_gt_i64_e32 vcc, 0, v[11:12]
	v_not_b32_e32 v1, v12
	v_ashrrev_i32_e32 v1, 31, v1
	v_and_b32_e32 v3, v3, v4
	v_xor_b32_e32 v4, vcc_hi, v1
	v_xor_b32_e32 v1, vcc_lo, v1
	v_and_b32_e32 v1, v3, v1
	v_and_b32_e32 v2, v2, v4
	v_mbcnt_lo_u32_b32 v3, v1, 0
	v_mbcnt_hi_u32_b32 v6, v2, v3
	v_cmp_ne_u64_e32 vcc, 0, v[1:2]
	v_mov_b32_e32 v23, v29
	v_mov_b32_e32 v9, v31
	;; [unrolled: 1-line block ×3, first 2 shown]
	v_and_b32_e32 v5, 0xff0, v5
	v_cmp_eq_u32_e64 s[26:27], 0, v6
	v_mov_b32_e32 v24, v30
	v_mov_b32_e32 v10, v32
	;; [unrolled: 1-line block ×3, first 2 shown]
	v_add_u32_e32 v5, v42, v5
	s_and_b64 s[28:29], vcc, s[26:27]
	ds_write2_b64 v33, v[13:14], v[15:16] offset0:2 offset1:3
	s_waitcnt lgkmcnt(0)
	s_barrier
	; wave barrier
	s_and_saveexec_b64 s[26:27], s[28:29]
; %bb.5:                                ;   in Loop: Header=BB123_4 Depth=2
	v_bcnt_u32_b32 v1, v1, 0
	v_bcnt_u32_b32 v1, v2, v1
	ds_write_b32 v5, v1 offset:16
; %bb.6:                                ;   in Loop: Header=BB123_4 Depth=2
	s_or_b64 exec, exec, s[26:27]
	v_lshrrev_b64 v[1:2], v21, v[25:26]
	v_lshlrev_b32_e32 v2, 4, v1
	v_and_b32_e32 v2, 0xff0, v2
	v_add_u32_e32 v8, v42, v2
	v_and_b32_e32 v2, 1, v1
	v_add_co_u32_e32 v3, vcc, -1, v2
	v_addc_co_u32_e64 v4, s[26:27], 0, -1, vcc
	v_cmp_ne_u32_e32 vcc, 0, v2
	v_lshlrev_b32_e32 v12, 30, v1
	v_xor_b32_e32 v2, vcc_hi, v4
	v_xor_b32_e32 v3, vcc_lo, v3
	v_cmp_gt_i64_e32 vcc, 0, v[11:12]
	v_not_b32_e32 v4, v12
	v_ashrrev_i32_e32 v4, 31, v4
	v_and_b32_e32 v2, exec_hi, v2
	v_xor_b32_e32 v12, vcc_hi, v4
	v_and_b32_e32 v3, exec_lo, v3
	v_xor_b32_e32 v4, vcc_lo, v4
	v_and_b32_e32 v2, v2, v12
	v_lshlrev_b32_e32 v12, 29, v1
	v_and_b32_e32 v3, v3, v4
	v_cmp_gt_i64_e32 vcc, 0, v[11:12]
	v_not_b32_e32 v4, v12
	v_ashrrev_i32_e32 v4, 31, v4
	v_xor_b32_e32 v12, vcc_hi, v4
	v_xor_b32_e32 v4, vcc_lo, v4
	v_and_b32_e32 v2, v2, v12
	v_lshlrev_b32_e32 v12, 28, v1
	v_and_b32_e32 v3, v3, v4
	v_cmp_gt_i64_e32 vcc, 0, v[11:12]
	v_not_b32_e32 v4, v12
	v_ashrrev_i32_e32 v4, 31, v4
	v_xor_b32_e32 v12, vcc_hi, v4
	;; [unrolled: 8-line block ×5, first 2 shown]
	v_and_b32_e32 v2, v2, v12
	v_lshlrev_b32_e32 v12, 24, v1
	v_xor_b32_e32 v4, vcc_lo, v4
	v_cmp_gt_i64_e32 vcc, 0, v[11:12]
	v_not_b32_e32 v1, v12
	v_ashrrev_i32_e32 v1, 31, v1
	v_and_b32_e32 v3, v3, v4
	v_xor_b32_e32 v4, vcc_hi, v1
	v_xor_b32_e32 v1, vcc_lo, v1
	; wave barrier
	ds_read_b32 v7, v8 offset:16
	v_and_b32_e32 v1, v3, v1
	v_and_b32_e32 v2, v2, v4
	v_mbcnt_lo_u32_b32 v3, v1, 0
	v_mbcnt_hi_u32_b32 v29, v2, v3
	v_cmp_ne_u64_e32 vcc, 0, v[1:2]
	v_cmp_eq_u32_e64 s[26:27], 0, v29
	s_and_b64 s[28:29], vcc, s[26:27]
	; wave barrier
	s_and_saveexec_b64 s[26:27], s[28:29]
	s_cbranch_execz .LBB123_8
; %bb.7:                                ;   in Loop: Header=BB123_4 Depth=2
	v_bcnt_u32_b32 v1, v1, 0
	v_bcnt_u32_b32 v1, v2, v1
	s_waitcnt lgkmcnt(0)
	v_add_u32_e32 v1, v7, v1
	ds_write_b32 v8, v1 offset:16
.LBB123_8:                              ;   in Loop: Header=BB123_4 Depth=2
	s_or_b64 exec, exec, s[26:27]
	v_lshrrev_b64 v[1:2], v21, v[23:24]
	v_lshlrev_b32_e32 v2, 4, v1
	v_and_b32_e32 v2, 0xff0, v2
	v_add_u32_e32 v31, v42, v2
	v_and_b32_e32 v2, 1, v1
	v_add_co_u32_e32 v3, vcc, -1, v2
	v_addc_co_u32_e64 v4, s[26:27], 0, -1, vcc
	v_cmp_ne_u32_e32 vcc, 0, v2
	v_lshlrev_b32_e32 v12, 30, v1
	v_xor_b32_e32 v2, vcc_hi, v4
	v_xor_b32_e32 v3, vcc_lo, v3
	v_cmp_gt_i64_e32 vcc, 0, v[11:12]
	v_not_b32_e32 v4, v12
	v_ashrrev_i32_e32 v4, 31, v4
	v_and_b32_e32 v2, exec_hi, v2
	v_xor_b32_e32 v12, vcc_hi, v4
	v_and_b32_e32 v3, exec_lo, v3
	v_xor_b32_e32 v4, vcc_lo, v4
	v_and_b32_e32 v2, v2, v12
	v_lshlrev_b32_e32 v12, 29, v1
	v_and_b32_e32 v3, v3, v4
	v_cmp_gt_i64_e32 vcc, 0, v[11:12]
	v_not_b32_e32 v4, v12
	v_ashrrev_i32_e32 v4, 31, v4
	v_xor_b32_e32 v12, vcc_hi, v4
	v_xor_b32_e32 v4, vcc_lo, v4
	v_and_b32_e32 v2, v2, v12
	v_lshlrev_b32_e32 v12, 28, v1
	v_and_b32_e32 v3, v3, v4
	v_cmp_gt_i64_e32 vcc, 0, v[11:12]
	v_not_b32_e32 v4, v12
	v_ashrrev_i32_e32 v4, 31, v4
	v_xor_b32_e32 v12, vcc_hi, v4
	;; [unrolled: 8-line block ×5, first 2 shown]
	v_and_b32_e32 v2, v2, v12
	v_lshlrev_b32_e32 v12, 24, v1
	v_xor_b32_e32 v4, vcc_lo, v4
	v_cmp_gt_i64_e32 vcc, 0, v[11:12]
	v_not_b32_e32 v1, v12
	v_ashrrev_i32_e32 v1, 31, v1
	v_and_b32_e32 v3, v3, v4
	v_xor_b32_e32 v4, vcc_hi, v1
	v_xor_b32_e32 v1, vcc_lo, v1
	; wave barrier
	ds_read_b32 v30, v31 offset:16
	v_and_b32_e32 v1, v3, v1
	v_and_b32_e32 v2, v2, v4
	v_mbcnt_lo_u32_b32 v3, v1, 0
	v_mbcnt_hi_u32_b32 v12, v2, v3
	v_cmp_ne_u64_e32 vcc, 0, v[1:2]
	v_cmp_eq_u32_e64 s[26:27], 0, v12
	s_and_b64 s[28:29], vcc, s[26:27]
	; wave barrier
	s_and_saveexec_b64 s[26:27], s[28:29]
	s_cbranch_execz .LBB123_10
; %bb.9:                                ;   in Loop: Header=BB123_4 Depth=2
	v_bcnt_u32_b32 v1, v1, 0
	v_bcnt_u32_b32 v1, v2, v1
	s_waitcnt lgkmcnt(0)
	v_add_u32_e32 v1, v30, v1
	ds_write_b32 v31, v1 offset:16
.LBB123_10:                             ;   in Loop: Header=BB123_4 Depth=2
	s_or_b64 exec, exec, s[26:27]
	; wave barrier
	s_waitcnt lgkmcnt(0)
	s_barrier
	ds_read2_b64 v[1:4], v33 offset0:2 offset1:3
	s_waitcnt lgkmcnt(0)
	v_add_u32_e32 v32, v2, v1
	v_add3_u32 v4, v32, v3, v4
	s_nop 1
	v_mov_b32_dpp v32, v4 row_shr:1 row_mask:0xf bank_mask:0xf
	v_cndmask_b32_e64 v32, v32, 0, s[10:11]
	v_add_u32_e32 v4, v32, v4
	s_nop 1
	v_mov_b32_dpp v32, v4 row_shr:2 row_mask:0xf bank_mask:0xf
	v_cndmask_b32_e64 v32, 0, v32, s[12:13]
	v_add_u32_e32 v4, v4, v32
	s_nop 1
	v_mov_b32_dpp v32, v4 row_shr:4 row_mask:0xf bank_mask:0xf
	v_cndmask_b32_e64 v32, 0, v32, s[14:15]
	v_add_u32_e32 v4, v4, v32
	s_nop 1
	v_mov_b32_dpp v32, v4 row_shr:8 row_mask:0xf bank_mask:0xf
	v_cndmask_b32_e64 v32, 0, v32, s[16:17]
	v_add_u32_e32 v4, v4, v32
	s_nop 1
	v_mov_b32_dpp v32, v4 row_bcast:15 row_mask:0xf bank_mask:0xf
	v_cndmask_b32_e64 v32, v32, 0, s[18:19]
	v_add_u32_e32 v4, v4, v32
	s_nop 1
	v_mov_b32_dpp v32, v4 row_bcast:31 row_mask:0xf bank_mask:0xf
	v_cndmask_b32_e64 v32, 0, v32, s[6:7]
	v_add_u32_e32 v4, v4, v32
	s_and_saveexec_b64 s[26:27], s[20:21]
; %bb.11:                               ;   in Loop: Header=BB123_4 Depth=2
	ds_write_b32 v34, v4
; %bb.12:                               ;   in Loop: Header=BB123_4 Depth=2
	s_or_b64 exec, exec, s[26:27]
	s_waitcnt lgkmcnt(0)
	s_barrier
	s_and_saveexec_b64 s[26:27], s[0:1]
	s_cbranch_execz .LBB123_14
; %bb.13:                               ;   in Loop: Header=BB123_4 Depth=2
	ds_read_b32 v32, v35
	s_waitcnt lgkmcnt(0)
	s_nop 0
	v_mov_b32_dpp v43, v32 row_shr:1 row_mask:0xf bank_mask:0xf
	v_cndmask_b32_e64 v43, v43, 0, s[22:23]
	v_add_u32_e32 v32, v43, v32
	s_nop 1
	v_mov_b32_dpp v43, v32 row_shr:2 row_mask:0xf bank_mask:0xf
	v_cndmask_b32_e64 v43, 0, v43, s[24:25]
	v_add_u32_e32 v32, v32, v43
	ds_write_b32 v35, v32
.LBB123_14:                             ;   in Loop: Header=BB123_4 Depth=2
	s_or_b64 exec, exec, s[26:27]
	v_mov_b32_e32 v32, 0
	s_waitcnt lgkmcnt(0)
	s_barrier
	s_and_saveexec_b64 s[26:27], s[2:3]
; %bb.15:                               ;   in Loop: Header=BB123_4 Depth=2
	ds_read_b32 v32, v38
; %bb.16:                               ;   in Loop: Header=BB123_4 Depth=2
	s_or_b64 exec, exec, s[26:27]
	s_waitcnt lgkmcnt(0)
	v_add_u32_e32 v4, v32, v4
	ds_bpermute_b32 v4, v41, v4
	v_cmp_lt_u32_e32 vcc, 55, v21
	s_and_b64 vcc, exec, vcc
	s_mov_b64 s[26:27], -1
	s_waitcnt lgkmcnt(0)
	v_cndmask_b32_e64 v4, v4, v32, s[8:9]
	v_cndmask_b32_e64 v43, v4, 0, s[4:5]
	v_add_u32_e32 v44, v43, v1
	v_add_u32_e32 v1, v44, v2
	;; [unrolled: 1-line block ×3, first 2 shown]
	ds_write2_b64 v33, v[43:44], v[1:2] offset0:2 offset1:3
	s_waitcnt lgkmcnt(0)
	s_barrier
	ds_read_b32 v1, v5 offset:16
	ds_read_b32 v2, v8 offset:16
	;; [unrolled: 1-line block ×3, first 2 shown]
                                        ; implicit-def: $vgpr31_vgpr32
	s_waitcnt lgkmcnt(2)
	v_add_u32_e32 v44, v1, v6
	s_waitcnt lgkmcnt(1)
	v_add3_u32 v43, v29, v7, v2
	s_waitcnt lgkmcnt(0)
	v_add3_u32 v12, v12, v30, v3
                                        ; implicit-def: $vgpr29_vgpr30
                                        ; implicit-def: $vgpr3_vgpr4
                                        ; implicit-def: $vgpr7_vgpr8
	s_cbranch_vccnz .LBB123_3
; %bb.17:                               ;   in Loop: Header=BB123_4 Depth=2
	v_lshlrev_b32_e32 v5, 3, v44
	v_lshlrev_b32_e32 v6, 3, v43
	;; [unrolled: 1-line block ×3, first 2 shown]
	s_barrier
	ds_write_b64 v5, v[27:28]
	ds_write_b64 v6, v[25:26]
	;; [unrolled: 1-line block ×3, first 2 shown]
	s_waitcnt lgkmcnt(0)
	s_barrier
	ds_read2st64_b64 v[1:4], v36 offset1:1
	ds_read_b64 v[29:30], v36 offset:1024
	s_waitcnt lgkmcnt(0)
	s_barrier
	ds_write_b64 v5, v[19:20]
	ds_write_b64 v6, v[17:18]
	;; [unrolled: 1-line block ×3, first 2 shown]
	s_waitcnt lgkmcnt(0)
	s_barrier
	ds_read2st64_b64 v[5:8], v36 offset1:1
	ds_read_b64 v[31:32], v36 offset:1024
	v_add_co_u32_e32 v21, vcc, 8, v21
	v_addc_co_u32_e32 v22, vcc, 0, v22, vcc
	s_mov_b64 s[26:27], 0
	s_waitcnt lgkmcnt(0)
	s_barrier
	s_branch .LBB123_3
.LBB123_18:
	s_waitcnt lgkmcnt(1)
	v_add_co_u32_e32 v1, vcc, v3, v7
	v_addc_co_u32_e32 v2, vcc, v4, v8, vcc
	v_add_co_u32_e32 v3, vcc, v5, v9
	v_addc_co_u32_e32 v4, vcc, v6, v10, vcc
	s_waitcnt lgkmcnt(0)
	v_add_co_u32_e32 v5, vcc, v21, v17
	s_add_u32 s0, s30, s34
	v_addc_co_u32_e32 v6, vcc, v22, v18, vcc
	s_addc_u32 s1, s31, s35
	v_lshlrev_b32_e32 v0, 3, v0
	v_mov_b32_e32 v7, s1
	v_add_co_u32_e32 v8, vcc, s0, v0
	v_addc_co_u32_e32 v7, vcc, 0, v7, vcc
	global_store_dwordx2 v0, v[1:2], s[0:1]
	global_store_dwordx2 v0, v[3:4], s[0:1] offset:2048
	v_add_co_u32_e32 v0, vcc, 0x1000, v8
	v_addc_co_u32_e32 v1, vcc, 0, v7, vcc
	global_store_dwordx2 v[0:1], v[5:6], off
	s_endpgm
	.section	.rodata,"a",@progbits
	.p2align	6, 0x0
	.amdhsa_kernel _Z17sort_pairs_kernelI22helper_blocked_blockedxLj256ELj3ELj10EEvPKT0_PS1_
		.amdhsa_group_segment_fixed_size 6144
		.amdhsa_private_segment_fixed_size 0
		.amdhsa_kernarg_size 272
		.amdhsa_user_sgpr_count 6
		.amdhsa_user_sgpr_private_segment_buffer 1
		.amdhsa_user_sgpr_dispatch_ptr 0
		.amdhsa_user_sgpr_queue_ptr 0
		.amdhsa_user_sgpr_kernarg_segment_ptr 1
		.amdhsa_user_sgpr_dispatch_id 0
		.amdhsa_user_sgpr_flat_scratch_init 0
		.amdhsa_user_sgpr_private_segment_size 0
		.amdhsa_uses_dynamic_stack 0
		.amdhsa_system_sgpr_private_segment_wavefront_offset 0
		.amdhsa_system_sgpr_workgroup_id_x 1
		.amdhsa_system_sgpr_workgroup_id_y 0
		.amdhsa_system_sgpr_workgroup_id_z 0
		.amdhsa_system_sgpr_workgroup_info 0
		.amdhsa_system_vgpr_workitem_id 2
		.amdhsa_next_free_vgpr 45
		.amdhsa_next_free_sgpr 38
		.amdhsa_reserve_vcc 1
		.amdhsa_reserve_flat_scratch 0
		.amdhsa_float_round_mode_32 0
		.amdhsa_float_round_mode_16_64 0
		.amdhsa_float_denorm_mode_32 3
		.amdhsa_float_denorm_mode_16_64 3
		.amdhsa_dx10_clamp 1
		.amdhsa_ieee_mode 1
		.amdhsa_fp16_overflow 0
		.amdhsa_exception_fp_ieee_invalid_op 0
		.amdhsa_exception_fp_denorm_src 0
		.amdhsa_exception_fp_ieee_div_zero 0
		.amdhsa_exception_fp_ieee_overflow 0
		.amdhsa_exception_fp_ieee_underflow 0
		.amdhsa_exception_fp_ieee_inexact 0
		.amdhsa_exception_int_div_zero 0
	.end_amdhsa_kernel
	.section	.text._Z17sort_pairs_kernelI22helper_blocked_blockedxLj256ELj3ELj10EEvPKT0_PS1_,"axG",@progbits,_Z17sort_pairs_kernelI22helper_blocked_blockedxLj256ELj3ELj10EEvPKT0_PS1_,comdat
.Lfunc_end123:
	.size	_Z17sort_pairs_kernelI22helper_blocked_blockedxLj256ELj3ELj10EEvPKT0_PS1_, .Lfunc_end123-_Z17sort_pairs_kernelI22helper_blocked_blockedxLj256ELj3ELj10EEvPKT0_PS1_
                                        ; -- End function
	.set _Z17sort_pairs_kernelI22helper_blocked_blockedxLj256ELj3ELj10EEvPKT0_PS1_.num_vgpr, 45
	.set _Z17sort_pairs_kernelI22helper_blocked_blockedxLj256ELj3ELj10EEvPKT0_PS1_.num_agpr, 0
	.set _Z17sort_pairs_kernelI22helper_blocked_blockedxLj256ELj3ELj10EEvPKT0_PS1_.numbered_sgpr, 38
	.set _Z17sort_pairs_kernelI22helper_blocked_blockedxLj256ELj3ELj10EEvPKT0_PS1_.num_named_barrier, 0
	.set _Z17sort_pairs_kernelI22helper_blocked_blockedxLj256ELj3ELj10EEvPKT0_PS1_.private_seg_size, 0
	.set _Z17sort_pairs_kernelI22helper_blocked_blockedxLj256ELj3ELj10EEvPKT0_PS1_.uses_vcc, 1
	.set _Z17sort_pairs_kernelI22helper_blocked_blockedxLj256ELj3ELj10EEvPKT0_PS1_.uses_flat_scratch, 0
	.set _Z17sort_pairs_kernelI22helper_blocked_blockedxLj256ELj3ELj10EEvPKT0_PS1_.has_dyn_sized_stack, 0
	.set _Z17sort_pairs_kernelI22helper_blocked_blockedxLj256ELj3ELj10EEvPKT0_PS1_.has_recursion, 0
	.set _Z17sort_pairs_kernelI22helper_blocked_blockedxLj256ELj3ELj10EEvPKT0_PS1_.has_indirect_call, 0
	.section	.AMDGPU.csdata,"",@progbits
; Kernel info:
; codeLenInByte = 2548
; TotalNumSgprs: 42
; NumVgprs: 45
; ScratchSize: 0
; MemoryBound: 0
; FloatMode: 240
; IeeeMode: 1
; LDSByteSize: 6144 bytes/workgroup (compile time only)
; SGPRBlocks: 5
; VGPRBlocks: 11
; NumSGPRsForWavesPerEU: 42
; NumVGPRsForWavesPerEU: 45
; Occupancy: 5
; WaveLimiterHint : 1
; COMPUTE_PGM_RSRC2:SCRATCH_EN: 0
; COMPUTE_PGM_RSRC2:USER_SGPR: 6
; COMPUTE_PGM_RSRC2:TRAP_HANDLER: 0
; COMPUTE_PGM_RSRC2:TGID_X_EN: 1
; COMPUTE_PGM_RSRC2:TGID_Y_EN: 0
; COMPUTE_PGM_RSRC2:TGID_Z_EN: 0
; COMPUTE_PGM_RSRC2:TIDIG_COMP_CNT: 2
	.section	.text._Z16sort_keys_kernelI22helper_blocked_blockedxLj256ELj4ELj10EEvPKT0_PS1_,"axG",@progbits,_Z16sort_keys_kernelI22helper_blocked_blockedxLj256ELj4ELj10EEvPKT0_PS1_,comdat
	.protected	_Z16sort_keys_kernelI22helper_blocked_blockedxLj256ELj4ELj10EEvPKT0_PS1_ ; -- Begin function _Z16sort_keys_kernelI22helper_blocked_blockedxLj256ELj4ELj10EEvPKT0_PS1_
	.globl	_Z16sort_keys_kernelI22helper_blocked_blockedxLj256ELj4ELj10EEvPKT0_PS1_
	.p2align	8
	.type	_Z16sort_keys_kernelI22helper_blocked_blockedxLj256ELj4ELj10EEvPKT0_PS1_,@function
_Z16sort_keys_kernelI22helper_blocked_blockedxLj256ELj4ELj10EEvPKT0_PS1_: ; @_Z16sort_keys_kernelI22helper_blocked_blockedxLj256ELj4ELj10EEvPKT0_PS1_
; %bb.0:
	s_load_dwordx4 s[36:39], s[4:5], 0x0
	s_load_dword s8, s[4:5], 0x1c
	s_lshl_b32 s40, s6, 10
	s_mov_b32 s41, 0
	s_lshl_b64 s[42:43], s[40:41], 3
	s_waitcnt lgkmcnt(0)
	s_add_u32 s0, s36, s42
	s_addc_u32 s1, s37, s43
	v_lshlrev_b32_e32 v13, 3, v0
	v_mov_b32_e32 v3, s1
	v_add_co_u32_e32 v4, vcc, s0, v13
	v_addc_co_u32_e32 v3, vcc, 0, v3, vcc
	s_movk_i32 s2, 0x1000
	v_add_co_u32_e32 v11, vcc, s2, v4
	v_addc_co_u32_e32 v12, vcc, 0, v3, vcc
	global_load_dwordx2 v[7:8], v13, s[0:1]
	global_load_dwordx2 v[9:10], v13, s[0:1] offset:2048
	global_load_dwordx2 v[3:4], v[11:12], off
	global_load_dwordx2 v[5:6], v[11:12], off offset:2048
	s_lshr_b32 s9, s8, 16
	v_mbcnt_lo_u32_b32 v11, -1, 0
	s_and_b32 s8, s8, 0xffff
	v_mad_u32_u24 v1, v2, s9, v1
	v_mbcnt_hi_u32_b32 v11, -1, v11
	v_mad_u64_u32 v[1:2], s[8:9], v1, s8, v[0:1]
	v_and_b32_e32 v2, 15, v11
	v_cmp_eq_u32_e64 s[8:9], 0, v2
	v_cmp_lt_u32_e64 s[10:11], 1, v2
	v_cmp_lt_u32_e64 s[12:13], 3, v2
	;; [unrolled: 1-line block ×3, first 2 shown]
	v_and_b32_e32 v2, 16, v11
	v_cmp_eq_u32_e64 s[16:17], 0, v2
	v_or_b32_e32 v2, 63, v0
	v_and_b32_e32 v15, 64, v11
	v_cmp_eq_u32_e64 s[20:21], v0, v2
	v_subrev_co_u32_e64 v2, s[26:27], 1, v11
	v_cmp_lt_i32_e32 vcc, v2, v15
	v_cndmask_b32_e32 v2, v2, v11, vcc
	v_lshrrev_b32_e32 v12, 2, v11
	v_lshlrev_b32_e32 v31, 2, v2
	v_lshrrev_b32_e32 v2, 4, v0
	v_or_b32_e32 v16, v12, v15
	v_add_u32_e32 v12, 48, v12
	v_lshlrev_b32_e32 v30, 4, v0
	v_and_b32_e32 v32, 12, v2
	v_lshlrev_b32_e32 v2, 5, v0
	v_lshrrev_b32_e32 v1, 4, v1
	s_mov_b32 s40, s41
	s_mov_b32 s34, s41
	v_and_b32_e32 v13, 3, v11
	v_lshlrev_b32_e32 v26, 2, v16
	v_and_or_b32 v12, v12, 63, v15
	v_mad_i32_i24 v33, v0, -12, v30
	v_and_b32_e32 v2, 0x1800, v2
	v_and_b32_e32 v36, 0xffffffc, v1
	v_mul_u32_u24_e32 v1, 28, v0
	s_mov_b32 s35, s41
	v_mov_b32_e32 v16, s40
	v_mov_b32_e32 v18, s34
	;; [unrolled: 1-line block ×3, first 2 shown]
	v_cmp_eq_u32_e64 s[0:1], 3, v13
	v_cmp_eq_u32_e64 s[2:3], 2, v13
	;; [unrolled: 1-line block ×4, first 2 shown]
	v_add_u32_e32 v27, 64, v26
	v_or_b32_e32 v28, 0x80, v26
	v_lshlrev_b32_e32 v29, 2, v12
	v_cmp_lt_u32_e64 s[18:19], 31, v11
	v_cmp_gt_u32_e64 s[22:23], 4, v0
	v_cmp_lt_u32_e64 s[24:25], 63, v0
	v_cmp_eq_u32_e64 s[28:29], 0, v0
	v_cmp_lt_u32_e64 s[30:31], 1, v13
	v_add_u32_e32 v34, -4, v32
	v_lshl_or_b32 v35, v11, 3, v2
	v_mov_b32_e32 v17, s41
	v_mov_b32_e32 v19, s35
	v_add_u32_e32 v37, v33, v1
	s_branch .LBB124_2
.LBB124_1:                              ;   in Loop: Header=BB124_2 Depth=1
	v_lshlrev_b32_e32 v1, 3, v42
	s_barrier
	ds_write_b64 v1, v[24:25]
	v_lshlrev_b32_e32 v1, 3, v39
	ds_write_b64 v1, v[22:23]
	v_lshlrev_b32_e32 v1, 3, v38
	;; [unrolled: 2-line block ×3, first 2 shown]
	ds_write_b64 v1, v[5:6]
	s_waitcnt lgkmcnt(0)
	s_barrier
	ds_read2_b64 v[7:10], v37 offset1:1
	ds_read2_b64 v[3:6], v37 offset0:2 offset1:3
	s_add_i32 s41, s41, 1
	s_cmp_eq_u32 s41, 10
	s_waitcnt lgkmcnt(1)
	v_xor_b32_e32 v8, 0x80000000, v8
	v_xor_b32_e32 v10, 0x80000000, v10
	s_waitcnt lgkmcnt(0)
	v_xor_b32_e32 v4, 0x80000000, v4
	v_xor_b32_e32 v6, 0x80000000, v6
	s_cbranch_scc1 .LBB124_20
.LBB124_2:                              ; =>This Loop Header: Depth=1
                                        ;     Child Loop BB124_4 Depth 2
	s_waitcnt vmcnt(3)
	v_xor_b32_e32 v1, 0x80000000, v8
	ds_bpermute_b32 v2, v26, v7
	ds_bpermute_b32 v8, v26, v1
	s_waitcnt vmcnt(2)
	v_xor_b32_e32 v15, 0x80000000, v10
	ds_bpermute_b32 v10, v26, v9
	ds_bpermute_b32 v11, v26, v15
	s_waitcnt vmcnt(1)
	v_xor_b32_e32 v4, 0x80000000, v4
	s_waitcnt lgkmcnt(3)
	v_cndmask_b32_e64 v2, 0, v2, s[6:7]
	ds_bpermute_b32 v12, v26, v4
	ds_bpermute_b32 v13, v26, v3
	s_waitcnt lgkmcnt(4)
	v_cndmask_b32_e64 v8, 0, v8, s[6:7]
	s_waitcnt lgkmcnt(3)
	v_cndmask_b32_e64 v2, v2, v10, s[4:5]
	s_waitcnt vmcnt(0)
	ds_bpermute_b32 v10, v26, v5
	v_xor_b32_e32 v6, 0x80000000, v6
	s_waitcnt lgkmcnt(3)
	v_cndmask_b32_e64 v8, v8, v11, s[4:5]
	ds_bpermute_b32 v11, v26, v6
	s_waitcnt lgkmcnt(3)
	v_cndmask_b32_e64 v8, v8, v12, s[2:3]
	s_waitcnt lgkmcnt(2)
	v_cndmask_b32_e64 v2, v2, v13, s[2:3]
	ds_bpermute_b32 v12, v27, v7
	s_waitcnt lgkmcnt(2)
	v_cndmask_b32_e64 v10, v2, v10, s[0:1]
	ds_bpermute_b32 v2, v27, v1
	ds_bpermute_b32 v13, v27, v9
	s_waitcnt lgkmcnt(3)
	v_cndmask_b32_e64 v11, v8, v11, s[0:1]
	ds_bpermute_b32 v8, v27, v15
	s_waitcnt lgkmcnt(3)
	v_cndmask_b32_e64 v12, 0, v12, s[6:7]
	s_waitcnt lgkmcnt(2)
	v_cndmask_b32_e64 v2, 0, v2, s[6:7]
	;; [unrolled: 2-line block ×3, first 2 shown]
	ds_bpermute_b32 v13, v27, v4
	s_waitcnt lgkmcnt(1)
	v_cndmask_b32_e64 v2, v2, v8, s[4:5]
	ds_bpermute_b32 v8, v27, v3
	ds_bpermute_b32 v21, v27, v6
	ds_bpermute_b32 v20, v27, v5
	ds_bpermute_b32 v22, v28, v1
	s_waitcnt lgkmcnt(4)
	v_cndmask_b32_e64 v2, v2, v13, s[2:3]
	s_waitcnt lgkmcnt(3)
	v_cndmask_b32_e64 v8, v12, v8, s[2:3]
	;; [unrolled: 2-line block ×3, first 2 shown]
	ds_bpermute_b32 v2, v28, v7
	ds_bpermute_b32 v21, v28, v15
	s_waitcnt lgkmcnt(3)
	v_cndmask_b32_e64 v12, v8, v20, s[0:1]
	s_waitcnt lgkmcnt(2)
	v_cndmask_b32_e64 v8, 0, v22, s[6:7]
	ds_bpermute_b32 v20, v28, v9
	ds_bpermute_b32 v22, v28, v4
	s_waitcnt lgkmcnt(3)
	v_cndmask_b32_e64 v2, 0, v2, s[6:7]
	ds_bpermute_b32 v23, v28, v3
	s_waitcnt lgkmcnt(3)
	v_cndmask_b32_e64 v8, v8, v21, s[4:5]
	s_waitcnt lgkmcnt(2)
	v_cndmask_b32_e64 v2, v2, v20, s[4:5]
	;; [unrolled: 2-line block ×3, first 2 shown]
	ds_bpermute_b32 v20, v28, v5
	ds_bpermute_b32 v21, v28, v6
	;; [unrolled: 1-line block ×10, first 2 shown]
	s_waitcnt lgkmcnt(10)
	v_cndmask_b32_e64 v2, v2, v23, s[2:3]
	s_waitcnt lgkmcnt(9)
	v_cndmask_b32_e64 v1, v2, v20, s[0:1]
	;; [unrolled: 2-line block ×9, first 2 shown]
	v_mov_b32_e32 v20, 0
	s_waitcnt lgkmcnt(1)
	v_cndmask_b32_e64 v3, v3, v5, s[0:1]
	s_waitcnt lgkmcnt(0)
	v_cndmask_b32_e64 v4, v4, v6, s[0:1]
	v_mov_b32_e32 v21, 0
	s_barrier
	s_branch .LBB124_4
.LBB124_3:                              ;   in Loop: Header=BB124_4 Depth=2
	s_andn2_b64 vcc, exec, s[34:35]
	s_cbranch_vccz .LBB124_1
.LBB124_4:                              ;   Parent Loop BB124_2 Depth=1
                                        ; =>  This Inner Loop Header: Depth=2
	v_mov_b32_e32 v25, v11
	v_mov_b32_e32 v8, v2
	;; [unrolled: 1-line block ×4, first 2 shown]
	v_lshrrev_b64 v[1:2], v20, v[24:25]
	v_mov_b32_e32 v6, v4
	v_lshlrev_b32_e32 v2, 4, v1
	v_and_b32_e32 v2, 0xff0, v2
	v_add_u32_e32 v9, v36, v2
	v_and_b32_e32 v2, 1, v1
	v_mov_b32_e32 v5, v3
	v_add_co_u32_e32 v3, vcc, -1, v2
	v_addc_co_u32_e64 v4, s[34:35], 0, -1, vcc
	v_cmp_ne_u32_e32 vcc, 0, v2
	v_lshlrev_b32_e32 v15, 30, v1
	v_xor_b32_e32 v2, vcc_hi, v4
	v_xor_b32_e32 v3, vcc_lo, v3
	v_cmp_gt_i64_e32 vcc, 0, v[14:15]
	v_not_b32_e32 v4, v15
	v_ashrrev_i32_e32 v4, 31, v4
	v_and_b32_e32 v3, exec_lo, v3
	v_xor_b32_e32 v10, vcc_hi, v4
	v_xor_b32_e32 v4, vcc_lo, v4
	v_lshlrev_b32_e32 v15, 29, v1
	v_and_b32_e32 v3, v3, v4
	v_cmp_gt_i64_e32 vcc, 0, v[14:15]
	v_not_b32_e32 v4, v15
	v_and_b32_e32 v2, exec_hi, v2
	v_ashrrev_i32_e32 v4, 31, v4
	v_and_b32_e32 v2, v2, v10
	v_xor_b32_e32 v10, vcc_hi, v4
	v_xor_b32_e32 v4, vcc_lo, v4
	v_lshlrev_b32_e32 v15, 28, v1
	v_and_b32_e32 v3, v3, v4
	v_cmp_gt_i64_e32 vcc, 0, v[14:15]
	v_not_b32_e32 v4, v15
	v_ashrrev_i32_e32 v4, 31, v4
	v_and_b32_e32 v2, v2, v10
	v_xor_b32_e32 v10, vcc_hi, v4
	v_xor_b32_e32 v4, vcc_lo, v4
	v_lshlrev_b32_e32 v15, 27, v1
	v_and_b32_e32 v3, v3, v4
	v_cmp_gt_i64_e32 vcc, 0, v[14:15]
	v_not_b32_e32 v4, v15
	;; [unrolled: 8-line block ×4, first 2 shown]
	v_ashrrev_i32_e32 v4, 31, v4
	v_lshlrev_b32_e32 v15, 24, v1
	v_and_b32_e32 v2, v2, v10
	v_xor_b32_e32 v10, vcc_hi, v4
	v_xor_b32_e32 v4, vcc_lo, v4
	v_cmp_gt_i64_e32 vcc, 0, v[14:15]
	v_not_b32_e32 v1, v15
	v_ashrrev_i32_e32 v1, 31, v1
	v_and_b32_e32 v3, v3, v4
	v_xor_b32_e32 v4, vcc_hi, v1
	v_xor_b32_e32 v1, vcc_lo, v1
	v_and_b32_e32 v2, v2, v10
	v_and_b32_e32 v1, v3, v1
	;; [unrolled: 1-line block ×3, first 2 shown]
	v_mbcnt_lo_u32_b32 v3, v1, 0
	v_mbcnt_hi_u32_b32 v10, v2, v3
	v_cmp_ne_u64_e32 vcc, 0, v[1:2]
	v_mov_b32_e32 v23, v13
	v_cmp_eq_u32_e64 s[34:35], 0, v10
	v_mov_b32_e32 v22, v12
	s_and_b64 s[36:37], vcc, s[34:35]
	ds_write2_b64 v30, v[16:17], v[18:19] offset0:2 offset1:3
	s_waitcnt lgkmcnt(0)
	s_barrier
	; wave barrier
	s_and_saveexec_b64 s[34:35], s[36:37]
; %bb.5:                                ;   in Loop: Header=BB124_4 Depth=2
	v_bcnt_u32_b32 v1, v1, 0
	v_bcnt_u32_b32 v1, v2, v1
	ds_write_b32 v9, v1 offset:16
; %bb.6:                                ;   in Loop: Header=BB124_4 Depth=2
	s_or_b64 exec, exec, s[34:35]
	v_lshrrev_b64 v[1:2], v20, v[22:23]
	v_lshlrev_b32_e32 v2, 4, v1
	v_and_b32_e32 v2, 0xff0, v2
	v_add_u32_e32 v12, v36, v2
	v_and_b32_e32 v2, 1, v1
	v_add_co_u32_e32 v3, vcc, -1, v2
	v_addc_co_u32_e64 v4, s[34:35], 0, -1, vcc
	v_cmp_ne_u32_e32 vcc, 0, v2
	v_lshlrev_b32_e32 v15, 30, v1
	v_xor_b32_e32 v2, vcc_hi, v4
	v_xor_b32_e32 v3, vcc_lo, v3
	v_cmp_gt_i64_e32 vcc, 0, v[14:15]
	v_not_b32_e32 v4, v15
	v_ashrrev_i32_e32 v4, 31, v4
	v_and_b32_e32 v3, exec_lo, v3
	v_xor_b32_e32 v13, vcc_hi, v4
	v_xor_b32_e32 v4, vcc_lo, v4
	v_lshlrev_b32_e32 v15, 29, v1
	v_and_b32_e32 v3, v3, v4
	v_cmp_gt_i64_e32 vcc, 0, v[14:15]
	v_not_b32_e32 v4, v15
	v_and_b32_e32 v2, exec_hi, v2
	v_ashrrev_i32_e32 v4, 31, v4
	v_and_b32_e32 v2, v2, v13
	v_xor_b32_e32 v13, vcc_hi, v4
	v_xor_b32_e32 v4, vcc_lo, v4
	v_lshlrev_b32_e32 v15, 28, v1
	v_and_b32_e32 v3, v3, v4
	v_cmp_gt_i64_e32 vcc, 0, v[14:15]
	v_not_b32_e32 v4, v15
	v_ashrrev_i32_e32 v4, 31, v4
	v_and_b32_e32 v2, v2, v13
	v_xor_b32_e32 v13, vcc_hi, v4
	v_xor_b32_e32 v4, vcc_lo, v4
	v_lshlrev_b32_e32 v15, 27, v1
	v_and_b32_e32 v3, v3, v4
	v_cmp_gt_i64_e32 vcc, 0, v[14:15]
	v_not_b32_e32 v4, v15
	;; [unrolled: 8-line block ×4, first 2 shown]
	v_ashrrev_i32_e32 v4, 31, v4
	v_lshlrev_b32_e32 v15, 24, v1
	v_and_b32_e32 v2, v2, v13
	v_xor_b32_e32 v13, vcc_hi, v4
	v_xor_b32_e32 v4, vcc_lo, v4
	v_cmp_gt_i64_e32 vcc, 0, v[14:15]
	v_not_b32_e32 v1, v15
	v_ashrrev_i32_e32 v1, 31, v1
	v_and_b32_e32 v3, v3, v4
	v_xor_b32_e32 v4, vcc_hi, v1
	v_xor_b32_e32 v1, vcc_lo, v1
	; wave barrier
	ds_read_b32 v11, v12 offset:16
	v_and_b32_e32 v2, v2, v13
	v_and_b32_e32 v1, v3, v1
	;; [unrolled: 1-line block ×3, first 2 shown]
	v_mbcnt_lo_u32_b32 v3, v1, 0
	v_mbcnt_hi_u32_b32 v13, v2, v3
	v_cmp_ne_u64_e32 vcc, 0, v[1:2]
	v_cmp_eq_u32_e64 s[34:35], 0, v13
	s_and_b64 s[36:37], vcc, s[34:35]
	; wave barrier
	s_and_saveexec_b64 s[34:35], s[36:37]
	s_cbranch_execz .LBB124_8
; %bb.7:                                ;   in Loop: Header=BB124_4 Depth=2
	v_bcnt_u32_b32 v1, v1, 0
	v_bcnt_u32_b32 v1, v2, v1
	s_waitcnt lgkmcnt(0)
	v_add_u32_e32 v1, v11, v1
	ds_write_b32 v12, v1 offset:16
.LBB124_8:                              ;   in Loop: Header=BB124_4 Depth=2
	s_or_b64 exec, exec, s[34:35]
	v_lshrrev_b64 v[1:2], v20, v[7:8]
	v_lshlrev_b32_e32 v2, 4, v1
	v_and_b32_e32 v2, 0xff0, v2
	v_add_u32_e32 v39, v36, v2
	v_and_b32_e32 v2, 1, v1
	v_add_co_u32_e32 v3, vcc, -1, v2
	v_addc_co_u32_e64 v4, s[34:35], 0, -1, vcc
	v_cmp_ne_u32_e32 vcc, 0, v2
	v_lshlrev_b32_e32 v15, 30, v1
	v_xor_b32_e32 v2, vcc_hi, v4
	v_xor_b32_e32 v3, vcc_lo, v3
	v_cmp_gt_i64_e32 vcc, 0, v[14:15]
	v_not_b32_e32 v4, v15
	v_ashrrev_i32_e32 v4, 31, v4
	v_and_b32_e32 v2, exec_hi, v2
	v_xor_b32_e32 v15, vcc_hi, v4
	v_and_b32_e32 v3, exec_lo, v3
	v_xor_b32_e32 v4, vcc_lo, v4
	v_and_b32_e32 v2, v2, v15
	v_lshlrev_b32_e32 v15, 29, v1
	v_and_b32_e32 v3, v3, v4
	v_cmp_gt_i64_e32 vcc, 0, v[14:15]
	v_not_b32_e32 v4, v15
	v_ashrrev_i32_e32 v4, 31, v4
	v_xor_b32_e32 v15, vcc_hi, v4
	v_xor_b32_e32 v4, vcc_lo, v4
	v_and_b32_e32 v2, v2, v15
	v_lshlrev_b32_e32 v15, 28, v1
	v_and_b32_e32 v3, v3, v4
	v_cmp_gt_i64_e32 vcc, 0, v[14:15]
	v_not_b32_e32 v4, v15
	v_ashrrev_i32_e32 v4, 31, v4
	v_xor_b32_e32 v15, vcc_hi, v4
	;; [unrolled: 8-line block ×5, first 2 shown]
	v_and_b32_e32 v2, v2, v15
	v_lshlrev_b32_e32 v15, 24, v1
	v_xor_b32_e32 v4, vcc_lo, v4
	v_cmp_gt_i64_e32 vcc, 0, v[14:15]
	v_not_b32_e32 v1, v15
	v_ashrrev_i32_e32 v1, 31, v1
	v_and_b32_e32 v3, v3, v4
	v_xor_b32_e32 v4, vcc_hi, v1
	v_xor_b32_e32 v1, vcc_lo, v1
	; wave barrier
	ds_read_b32 v38, v39 offset:16
	v_and_b32_e32 v1, v3, v1
	v_and_b32_e32 v2, v2, v4
	v_mbcnt_lo_u32_b32 v3, v1, 0
	v_mbcnt_hi_u32_b32 v40, v2, v3
	v_cmp_ne_u64_e32 vcc, 0, v[1:2]
	v_cmp_eq_u32_e64 s[34:35], 0, v40
	s_and_b64 s[36:37], vcc, s[34:35]
	; wave barrier
	s_and_saveexec_b64 s[34:35], s[36:37]
	s_cbranch_execz .LBB124_10
; %bb.9:                                ;   in Loop: Header=BB124_4 Depth=2
	v_bcnt_u32_b32 v1, v1, 0
	v_bcnt_u32_b32 v1, v2, v1
	s_waitcnt lgkmcnt(0)
	v_add_u32_e32 v1, v38, v1
	ds_write_b32 v39, v1 offset:16
.LBB124_10:                             ;   in Loop: Header=BB124_4 Depth=2
	s_or_b64 exec, exec, s[34:35]
	v_lshrrev_b64 v[1:2], v20, v[5:6]
	v_lshlrev_b32_e32 v2, 4, v1
	v_and_b32_e32 v2, 0xff0, v2
	v_add_u32_e32 v42, v36, v2
	v_and_b32_e32 v2, 1, v1
	v_add_co_u32_e32 v3, vcc, -1, v2
	v_addc_co_u32_e64 v4, s[34:35], 0, -1, vcc
	v_cmp_ne_u32_e32 vcc, 0, v2
	v_lshlrev_b32_e32 v15, 30, v1
	v_xor_b32_e32 v2, vcc_hi, v4
	v_xor_b32_e32 v3, vcc_lo, v3
	v_cmp_gt_i64_e32 vcc, 0, v[14:15]
	v_not_b32_e32 v4, v15
	v_ashrrev_i32_e32 v4, 31, v4
	v_and_b32_e32 v2, exec_hi, v2
	v_xor_b32_e32 v15, vcc_hi, v4
	v_and_b32_e32 v3, exec_lo, v3
	v_xor_b32_e32 v4, vcc_lo, v4
	v_and_b32_e32 v2, v2, v15
	v_lshlrev_b32_e32 v15, 29, v1
	v_and_b32_e32 v3, v3, v4
	v_cmp_gt_i64_e32 vcc, 0, v[14:15]
	v_not_b32_e32 v4, v15
	v_ashrrev_i32_e32 v4, 31, v4
	v_xor_b32_e32 v15, vcc_hi, v4
	v_xor_b32_e32 v4, vcc_lo, v4
	v_and_b32_e32 v2, v2, v15
	v_lshlrev_b32_e32 v15, 28, v1
	v_and_b32_e32 v3, v3, v4
	v_cmp_gt_i64_e32 vcc, 0, v[14:15]
	v_not_b32_e32 v4, v15
	v_ashrrev_i32_e32 v4, 31, v4
	v_xor_b32_e32 v15, vcc_hi, v4
	;; [unrolled: 8-line block ×5, first 2 shown]
	v_and_b32_e32 v2, v2, v15
	v_lshlrev_b32_e32 v15, 24, v1
	v_xor_b32_e32 v4, vcc_lo, v4
	v_cmp_gt_i64_e32 vcc, 0, v[14:15]
	v_not_b32_e32 v1, v15
	v_ashrrev_i32_e32 v1, 31, v1
	v_and_b32_e32 v3, v3, v4
	v_xor_b32_e32 v4, vcc_hi, v1
	v_xor_b32_e32 v1, vcc_lo, v1
	; wave barrier
	ds_read_b32 v41, v42 offset:16
	v_and_b32_e32 v1, v3, v1
	v_and_b32_e32 v2, v2, v4
	v_mbcnt_lo_u32_b32 v3, v1, 0
	v_mbcnt_hi_u32_b32 v15, v2, v3
	v_cmp_ne_u64_e32 vcc, 0, v[1:2]
	v_cmp_eq_u32_e64 s[34:35], 0, v15
	s_and_b64 s[36:37], vcc, s[34:35]
	; wave barrier
	s_and_saveexec_b64 s[34:35], s[36:37]
	s_cbranch_execz .LBB124_12
; %bb.11:                               ;   in Loop: Header=BB124_4 Depth=2
	v_bcnt_u32_b32 v1, v1, 0
	v_bcnt_u32_b32 v1, v2, v1
	s_waitcnt lgkmcnt(0)
	v_add_u32_e32 v1, v41, v1
	ds_write_b32 v42, v1 offset:16
.LBB124_12:                             ;   in Loop: Header=BB124_4 Depth=2
	s_or_b64 exec, exec, s[34:35]
	; wave barrier
	s_waitcnt lgkmcnt(0)
	s_barrier
	ds_read2_b64 v[1:4], v30 offset0:2 offset1:3
	s_waitcnt lgkmcnt(0)
	v_add_u32_e32 v43, v2, v1
	v_add3_u32 v4, v43, v3, v4
	s_nop 1
	v_mov_b32_dpp v43, v4 row_shr:1 row_mask:0xf bank_mask:0xf
	v_cndmask_b32_e64 v43, v43, 0, s[8:9]
	v_add_u32_e32 v4, v43, v4
	s_nop 1
	v_mov_b32_dpp v43, v4 row_shr:2 row_mask:0xf bank_mask:0xf
	v_cndmask_b32_e64 v43, 0, v43, s[10:11]
	v_add_u32_e32 v4, v4, v43
	;; [unrolled: 4-line block ×4, first 2 shown]
	s_nop 1
	v_mov_b32_dpp v43, v4 row_bcast:15 row_mask:0xf bank_mask:0xf
	v_cndmask_b32_e64 v43, v43, 0, s[16:17]
	v_add_u32_e32 v4, v4, v43
	s_nop 1
	v_mov_b32_dpp v43, v4 row_bcast:31 row_mask:0xf bank_mask:0xf
	v_cndmask_b32_e64 v43, 0, v43, s[18:19]
	v_add_u32_e32 v4, v4, v43
	s_and_saveexec_b64 s[34:35], s[20:21]
; %bb.13:                               ;   in Loop: Header=BB124_4 Depth=2
	ds_write_b32 v32, v4
; %bb.14:                               ;   in Loop: Header=BB124_4 Depth=2
	s_or_b64 exec, exec, s[34:35]
	s_waitcnt lgkmcnt(0)
	s_barrier
	s_and_saveexec_b64 s[34:35], s[22:23]
	s_cbranch_execz .LBB124_16
; %bb.15:                               ;   in Loop: Header=BB124_4 Depth=2
	ds_read_b32 v43, v33
	s_waitcnt lgkmcnt(0)
	s_nop 0
	v_mov_b32_dpp v44, v43 row_shr:1 row_mask:0xf bank_mask:0xf
	v_cndmask_b32_e64 v44, v44, 0, s[6:7]
	v_add_u32_e32 v43, v44, v43
	s_nop 1
	v_mov_b32_dpp v44, v43 row_shr:2 row_mask:0xf bank_mask:0xf
	v_cndmask_b32_e64 v44, 0, v44, s[30:31]
	v_add_u32_e32 v43, v43, v44
	ds_write_b32 v33, v43
.LBB124_16:                             ;   in Loop: Header=BB124_4 Depth=2
	s_or_b64 exec, exec, s[34:35]
	v_mov_b32_e32 v43, 0
	s_waitcnt lgkmcnt(0)
	s_barrier
	s_and_saveexec_b64 s[34:35], s[24:25]
; %bb.17:                               ;   in Loop: Header=BB124_4 Depth=2
	ds_read_b32 v43, v34
; %bb.18:                               ;   in Loop: Header=BB124_4 Depth=2
	s_or_b64 exec, exec, s[34:35]
	s_waitcnt lgkmcnt(0)
	v_add_u32_e32 v4, v43, v4
	ds_bpermute_b32 v4, v31, v4
	v_cmp_lt_u32_e32 vcc, 55, v20
	s_and_b64 vcc, exec, vcc
	s_mov_b64 s[34:35], -1
	s_waitcnt lgkmcnt(0)
	v_cndmask_b32_e64 v4, v4, v43, s[26:27]
	v_cndmask_b32_e64 v43, v4, 0, s[28:29]
	v_add_u32_e32 v44, v43, v1
	v_add_u32_e32 v1, v44, v2
	;; [unrolled: 1-line block ×3, first 2 shown]
	ds_write2_b64 v30, v[43:44], v[1:2] offset0:2 offset1:3
	s_waitcnt lgkmcnt(0)
	s_barrier
	ds_read_b32 v1, v9 offset:16
	ds_read_b32 v2, v12 offset:16
	;; [unrolled: 1-line block ×4, first 2 shown]
	s_waitcnt lgkmcnt(3)
	v_add_u32_e32 v42, v1, v10
	s_waitcnt lgkmcnt(2)
	v_add3_u32 v39, v13, v11, v2
	s_waitcnt lgkmcnt(1)
	v_add3_u32 v38, v40, v38, v3
	;; [unrolled: 2-line block ×3, first 2 shown]
                                        ; implicit-def: $vgpr3_vgpr4
                                        ; implicit-def: $vgpr12_vgpr13
	s_cbranch_vccnz .LBB124_3
; %bb.19:                               ;   in Loop: Header=BB124_4 Depth=2
	v_lshlrev_b32_e32 v1, 3, v42
	s_barrier
	ds_write_b64 v1, v[24:25]
	v_lshlrev_b32_e32 v1, 3, v39
	ds_write_b64 v1, v[22:23]
	v_lshlrev_b32_e32 v1, 3, v38
	;; [unrolled: 2-line block ×3, first 2 shown]
	ds_write_b64 v1, v[5:6]
	s_waitcnt lgkmcnt(0)
	s_barrier
	ds_read2st64_b64 v[10:13], v35 offset1:1
	ds_read2st64_b64 v[1:4], v35 offset0:2 offset1:3
	v_add_co_u32_e32 v20, vcc, 8, v20
	v_addc_co_u32_e32 v21, vcc, 0, v21, vcc
	s_mov_b64 s[34:35], 0
	s_waitcnt lgkmcnt(0)
	s_barrier
	s_branch .LBB124_3
.LBB124_20:
	s_add_u32 s0, s38, s42
	s_addc_u32 s1, s39, s43
	v_lshlrev_b32_e32 v0, 3, v0
	v_mov_b32_e32 v1, s1
	v_add_co_u32_e32 v2, vcc, s0, v0
	v_addc_co_u32_e32 v1, vcc, 0, v1, vcc
	global_store_dwordx2 v0, v[7:8], s[0:1]
	global_store_dwordx2 v0, v[9:10], s[0:1] offset:2048
	v_add_co_u32_e32 v0, vcc, 0x1000, v2
	v_addc_co_u32_e32 v1, vcc, 0, v1, vcc
	global_store_dwordx2 v[0:1], v[3:4], off
	global_store_dwordx2 v[0:1], v[5:6], off offset:2048
	s_endpgm
	.section	.rodata,"a",@progbits
	.p2align	6, 0x0
	.amdhsa_kernel _Z16sort_keys_kernelI22helper_blocked_blockedxLj256ELj4ELj10EEvPKT0_PS1_
		.amdhsa_group_segment_fixed_size 8192
		.amdhsa_private_segment_fixed_size 0
		.amdhsa_kernarg_size 272
		.amdhsa_user_sgpr_count 6
		.amdhsa_user_sgpr_private_segment_buffer 1
		.amdhsa_user_sgpr_dispatch_ptr 0
		.amdhsa_user_sgpr_queue_ptr 0
		.amdhsa_user_sgpr_kernarg_segment_ptr 1
		.amdhsa_user_sgpr_dispatch_id 0
		.amdhsa_user_sgpr_flat_scratch_init 0
		.amdhsa_user_sgpr_private_segment_size 0
		.amdhsa_uses_dynamic_stack 0
		.amdhsa_system_sgpr_private_segment_wavefront_offset 0
		.amdhsa_system_sgpr_workgroup_id_x 1
		.amdhsa_system_sgpr_workgroup_id_y 0
		.amdhsa_system_sgpr_workgroup_id_z 0
		.amdhsa_system_sgpr_workgroup_info 0
		.amdhsa_system_vgpr_workitem_id 2
		.amdhsa_next_free_vgpr 45
		.amdhsa_next_free_sgpr 61
		.amdhsa_reserve_vcc 1
		.amdhsa_reserve_flat_scratch 0
		.amdhsa_float_round_mode_32 0
		.amdhsa_float_round_mode_16_64 0
		.amdhsa_float_denorm_mode_32 3
		.amdhsa_float_denorm_mode_16_64 3
		.amdhsa_dx10_clamp 1
		.amdhsa_ieee_mode 1
		.amdhsa_fp16_overflow 0
		.amdhsa_exception_fp_ieee_invalid_op 0
		.amdhsa_exception_fp_denorm_src 0
		.amdhsa_exception_fp_ieee_div_zero 0
		.amdhsa_exception_fp_ieee_overflow 0
		.amdhsa_exception_fp_ieee_underflow 0
		.amdhsa_exception_fp_ieee_inexact 0
		.amdhsa_exception_int_div_zero 0
	.end_amdhsa_kernel
	.section	.text._Z16sort_keys_kernelI22helper_blocked_blockedxLj256ELj4ELj10EEvPKT0_PS1_,"axG",@progbits,_Z16sort_keys_kernelI22helper_blocked_blockedxLj256ELj4ELj10EEvPKT0_PS1_,comdat
.Lfunc_end124:
	.size	_Z16sort_keys_kernelI22helper_blocked_blockedxLj256ELj4ELj10EEvPKT0_PS1_, .Lfunc_end124-_Z16sort_keys_kernelI22helper_blocked_blockedxLj256ELj4ELj10EEvPKT0_PS1_
                                        ; -- End function
	.set _Z16sort_keys_kernelI22helper_blocked_blockedxLj256ELj4ELj10EEvPKT0_PS1_.num_vgpr, 45
	.set _Z16sort_keys_kernelI22helper_blocked_blockedxLj256ELj4ELj10EEvPKT0_PS1_.num_agpr, 0
	.set _Z16sort_keys_kernelI22helper_blocked_blockedxLj256ELj4ELj10EEvPKT0_PS1_.numbered_sgpr, 44
	.set _Z16sort_keys_kernelI22helper_blocked_blockedxLj256ELj4ELj10EEvPKT0_PS1_.num_named_barrier, 0
	.set _Z16sort_keys_kernelI22helper_blocked_blockedxLj256ELj4ELj10EEvPKT0_PS1_.private_seg_size, 0
	.set _Z16sort_keys_kernelI22helper_blocked_blockedxLj256ELj4ELj10EEvPKT0_PS1_.uses_vcc, 1
	.set _Z16sort_keys_kernelI22helper_blocked_blockedxLj256ELj4ELj10EEvPKT0_PS1_.uses_flat_scratch, 0
	.set _Z16sort_keys_kernelI22helper_blocked_blockedxLj256ELj4ELj10EEvPKT0_PS1_.has_dyn_sized_stack, 0
	.set _Z16sort_keys_kernelI22helper_blocked_blockedxLj256ELj4ELj10EEvPKT0_PS1_.has_recursion, 0
	.set _Z16sort_keys_kernelI22helper_blocked_blockedxLj256ELj4ELj10EEvPKT0_PS1_.has_indirect_call, 0
	.section	.AMDGPU.csdata,"",@progbits
; Kernel info:
; codeLenInByte = 3420
; TotalNumSgprs: 48
; NumVgprs: 45
; ScratchSize: 0
; MemoryBound: 0
; FloatMode: 240
; IeeeMode: 1
; LDSByteSize: 8192 bytes/workgroup (compile time only)
; SGPRBlocks: 8
; VGPRBlocks: 11
; NumSGPRsForWavesPerEU: 65
; NumVGPRsForWavesPerEU: 45
; Occupancy: 5
; WaveLimiterHint : 1
; COMPUTE_PGM_RSRC2:SCRATCH_EN: 0
; COMPUTE_PGM_RSRC2:USER_SGPR: 6
; COMPUTE_PGM_RSRC2:TRAP_HANDLER: 0
; COMPUTE_PGM_RSRC2:TGID_X_EN: 1
; COMPUTE_PGM_RSRC2:TGID_Y_EN: 0
; COMPUTE_PGM_RSRC2:TGID_Z_EN: 0
; COMPUTE_PGM_RSRC2:TIDIG_COMP_CNT: 2
	.section	.text._Z17sort_pairs_kernelI22helper_blocked_blockedxLj256ELj4ELj10EEvPKT0_PS1_,"axG",@progbits,_Z17sort_pairs_kernelI22helper_blocked_blockedxLj256ELj4ELj10EEvPKT0_PS1_,comdat
	.protected	_Z17sort_pairs_kernelI22helper_blocked_blockedxLj256ELj4ELj10EEvPKT0_PS1_ ; -- Begin function _Z17sort_pairs_kernelI22helper_blocked_blockedxLj256ELj4ELj10EEvPKT0_PS1_
	.globl	_Z17sort_pairs_kernelI22helper_blocked_blockedxLj256ELj4ELj10EEvPKT0_PS1_
	.p2align	8
	.type	_Z17sort_pairs_kernelI22helper_blocked_blockedxLj256ELj4ELj10EEvPKT0_PS1_,@function
_Z17sort_pairs_kernelI22helper_blocked_blockedxLj256ELj4ELj10EEvPKT0_PS1_: ; @_Z17sort_pairs_kernelI22helper_blocked_blockedxLj256ELj4ELj10EEvPKT0_PS1_
; %bb.0:
	s_load_dwordx4 s[36:39], s[4:5], 0x0
	s_load_dword s33, s[4:5], 0x1c
	s_lshl_b32 s42, s6, 10
	s_mov_b32 s43, 0
	s_lshl_b64 s[40:41], s[42:43], 3
	s_waitcnt lgkmcnt(0)
	s_add_u32 s0, s36, s40
	s_addc_u32 s1, s37, s41
	v_lshlrev_b32_e32 v3, 3, v0
	global_load_dwordx2 v[11:12], v3, s[0:1]
	global_load_dwordx2 v[13:14], v3, s[0:1] offset:2048
	v_mov_b32_e32 v4, s1
	v_add_co_u32_e32 v5, vcc, s0, v3
	v_addc_co_u32_e32 v4, vcc, 0, v4, vcc
	s_movk_i32 s0, 0x1000
	v_add_co_u32_e32 v7, vcc, s0, v5
	v_addc_co_u32_e32 v8, vcc, 0, v4, vcc
	global_load_dwordx2 v[3:4], v[7:8], off
	global_load_dwordx2 v[5:6], v[7:8], off offset:2048
	v_mbcnt_lo_u32_b32 v7, -1, 0
	v_mbcnt_hi_u32_b32 v7, -1, v7
	v_or_b32_e32 v8, 63, v0
	v_lshrrev_b32_e32 v9, 4, v0
	v_lshlrev_b32_e32 v10, 5, v0
	v_lshrrev_b32_e32 v16, 2, v7
	v_and_b32_e32 v18, 64, v7
	v_cmp_eq_u32_e64 s[8:9], v0, v8
	v_subrev_co_u32_e64 v8, s[10:11], 1, v7
	v_and_b32_e32 v43, 12, v9
	v_and_b32_e32 v9, 0x1800, v10
	v_or_b32_e32 v10, v16, v18
	v_add_u32_e32 v16, 48, v16
	v_cmp_lt_i32_e32 vcc, v8, v18
	v_and_b32_e32 v17, 3, v7
	v_and_b32_e32 v19, 15, v7
	;; [unrolled: 1-line block ×3, first 2 shown]
	v_cmp_lt_u32_e64 s[6:7], 31, v7
	v_cndmask_b32_e32 v8, v8, v7, vcc
	v_lshl_or_b32 v45, v7, 3, v9
	v_and_or_b32 v7, v16, 63, v18
	s_lshr_b32 s34, s33, 16
	v_cmp_eq_u32_e64 s[20:21], 0, v19
	v_cmp_lt_u32_e64 s[22:23], 1, v19
	v_cmp_lt_u32_e64 s[24:25], 3, v19
	;; [unrolled: 1-line block ×3, first 2 shown]
	s_and_b32 s33, s33, 0xffff
	v_mad_u32_u24 v1, v2, s34, v1
	v_cmp_eq_u32_e64 s[28:29], 0, v20
	v_mad_u64_u32 v[1:2], s[34:35], v1, s33, v[0:1]
	v_lshlrev_b32_e32 v49, 2, v7
	v_lshlrev_b32_e32 v42, 4, v0
	;; [unrolled: 1-line block ×3, first 2 shown]
	s_mov_b32 s42, s43
	s_mov_b32 s34, s43
	v_mul_u32_u24_e32 v15, 28, v0
	v_mad_i32_i24 v44, v0, -12, v42
	v_lshlrev_b32_e32 v46, 2, v10
	v_lshrrev_b32_e32 v1, 4, v1
	s_mov_b32 s35, s43
	v_mov_b32_e32 v28, s42
	v_mov_b32_e32 v30, s34
	v_cmp_gt_u32_e64 s[0:1], 4, v0
	v_cmp_lt_u32_e64 s[2:3], 63, v0
	v_cmp_eq_u32_e64 s[4:5], 0, v0
	v_cmp_eq_u32_e64 s[12:13], 3, v17
	;; [unrolled: 1-line block ×5, first 2 shown]
	v_cmp_lt_u32_e64 s[30:31], 1, v17
	v_add_u32_e32 v48, 64, v46
	v_and_b32_e32 v50, 0xffffffc, v1
	v_add_u32_e32 v51, v44, v15
	v_or_b32_e32 v52, 0x80, v46
	v_add_u32_e32 v53, -4, v43
	v_mov_b32_e32 v26, 0
	v_mov_b32_e32 v29, s43
	;; [unrolled: 1-line block ×3, first 2 shown]
	s_waitcnt vmcnt(3)
	v_add_co_u32_e32 v18, vcc, 1, v11
	v_addc_co_u32_e32 v19, vcc, 0, v12, vcc
	s_waitcnt vmcnt(2)
	v_add_co_u32_e32 v20, vcc, 1, v13
	v_addc_co_u32_e32 v21, vcc, 0, v14, vcc
	;; [unrolled: 3-line block ×4, first 2 shown]
	s_branch .LBB125_2
.LBB125_1:                              ;   in Loop: Header=BB125_2 Depth=1
	v_lshlrev_b32_e32 v1, 3, v55
	v_lshlrev_b32_e32 v2, 3, v54
	v_lshlrev_b32_e32 v7, 3, v27
	v_lshlrev_b32_e32 v8, 3, v13
	s_barrier
	ds_write_b64 v1, v[40:41]
	ds_write_b64 v2, v[38:39]
	ds_write_b64 v7, v[36:37]
	ds_write_b64 v8, v[34:35]
	s_waitcnt lgkmcnt(0)
	s_barrier
	ds_read2_b64 v[11:14], v51 offset1:1
	ds_read2_b64 v[3:6], v51 offset0:2 offset1:3
	s_waitcnt lgkmcnt(0)
	s_barrier
	ds_write_b64 v1, v[32:33]
	ds_write_b64 v2, v[20:21]
	;; [unrolled: 1-line block ×4, first 2 shown]
	s_waitcnt lgkmcnt(0)
	s_barrier
	ds_read2_b64 v[18:21], v51 offset1:1
	ds_read2_b64 v[7:10], v51 offset0:2 offset1:3
	s_add_i32 s43, s43, 1
	v_xor_b32_e32 v12, 0x80000000, v12
	v_xor_b32_e32 v14, 0x80000000, v14
	;; [unrolled: 1-line block ×3, first 2 shown]
	s_cmp_lg_u32 s43, 10
	v_xor_b32_e32 v6, 0x80000000, v6
	s_cbranch_scc0 .LBB125_20
.LBB125_2:                              ; =>This Loop Header: Depth=1
                                        ;     Child Loop BB125_4 Depth 2
	ds_bpermute_b32 v2, v46, v11
	ds_bpermute_b32 v15, v46, v13
	v_xor_b32_e32 v1, 0x80000000, v12
	ds_bpermute_b32 v12, v46, v1
	v_xor_b32_e32 v22, 0x80000000, v14
	;; [unrolled: 2-line block ×3, first 2 shown]
	s_waitcnt lgkmcnt(3)
	v_cndmask_b32_e64 v2, 0, v2, s[18:19]
	ds_bpermute_b32 v16, v46, v4
	v_xor_b32_e32 v6, 0x80000000, v6
	s_waitcnt lgkmcnt(3)
	v_cndmask_b32_e64 v2, v2, v15, s[16:17]
	ds_bpermute_b32 v15, v46, v3
	ds_bpermute_b32 v23, v46, v6
	s_waitcnt lgkmcnt(4)
	v_cndmask_b32_e64 v12, 0, v12, s[18:19]
	ds_bpermute_b32 v17, v46, v5
	s_waitcnt lgkmcnt(4)
	v_cndmask_b32_e64 v12, v12, v14, s[16:17]
	s_waitcnt lgkmcnt(3)
	v_cndmask_b32_e64 v12, v12, v16, s[14:15]
	ds_bpermute_b32 v16, v48, v11
	s_waitcnt lgkmcnt(3)
	v_cndmask_b32_e64 v2, v2, v15, s[14:15]
	;; [unrolled: 5-line block ×3, first 2 shown]
	ds_bpermute_b32 v2, v48, v1
	ds_bpermute_b32 v17, v48, v22
	s_waitcnt lgkmcnt(3)
	v_cndmask_b32_e64 v16, 0, v16, s[18:19]
	ds_bpermute_b32 v24, v48, v3
	ds_bpermute_b32 v23, v48, v4
	s_waitcnt lgkmcnt(4)
	v_cndmask_b32_e64 v12, v16, v12, s[16:17]
	ds_bpermute_b32 v16, v48, v5
	s_waitcnt lgkmcnt(4)
	v_cndmask_b32_e64 v2, 0, v2, s[18:19]
	s_waitcnt lgkmcnt(3)
	v_cndmask_b32_e64 v2, v2, v17, s[16:17]
	;; [unrolled: 2-line block ×4, first 2 shown]
	ds_bpermute_b32 v17, v48, v6
	s_waitcnt lgkmcnt(1)
	v_cndmask_b32_e64 v16, v12, v16, s[12:13]
	ds_bpermute_b32 v12, v52, v1
	ds_bpermute_b32 v23, v52, v11
	;; [unrolled: 1-line block ×5, first 2 shown]
	s_waitcnt lgkmcnt(5)
	v_cndmask_b32_e64 v17, v2, v17, s[12:13]
	s_waitcnt lgkmcnt(4)
	v_cndmask_b32_e64 v2, 0, v12, s[18:19]
	;; [unrolled: 2-line block ×3, first 2 shown]
	ds_bpermute_b32 v13, v49, v13
	s_waitcnt lgkmcnt(3)
	v_cndmask_b32_e64 v12, v12, v24, s[16:17]
	ds_bpermute_b32 v24, v52, v3
	ds_bpermute_b32 v32, v49, v1
	;; [unrolled: 1-line block ×3, first 2 shown]
	s_waitcnt lgkmcnt(5)
	v_cndmask_b32_e64 v2, v2, v25, s[16:17]
	ds_bpermute_b32 v25, v52, v5
	ds_bpermute_b32 v22, v49, v22
	;; [unrolled: 1-line block ×5, first 2 shown]
	s_waitcnt lgkmcnt(9)
	v_cndmask_b32_e64 v11, 0, v11, s[18:19]
	s_waitcnt lgkmcnt(8)
	v_cndmask_b32_e64 v11, v11, v13, s[16:17]
	ds_bpermute_b32 v27, v52, v6
	s_waitcnt lgkmcnt(8)
	v_cndmask_b32_e64 v1, v12, v24, s[14:15]
	s_waitcnt lgkmcnt(7)
	v_cndmask_b32_e64 v12, 0, v32, s[18:19]
	;; [unrolled: 2-line block ×3, first 2 shown]
	ds_bpermute_b32 v6, v49, v6
	ds_bpermute_b32 v11, v46, v18
	s_waitcnt lgkmcnt(6)
	v_cndmask_b32_e64 v12, v12, v22, s[16:17]
	s_waitcnt lgkmcnt(5)
	v_cndmask_b32_e64 v3, v3, v5, s[12:13]
	ds_bpermute_b32 v5, v46, v19
	s_waitcnt lgkmcnt(4)
	v_cndmask_b32_e64 v4, v12, v4, s[14:15]
	ds_bpermute_b32 v12, v46, v21
	s_waitcnt lgkmcnt(3)
	v_cndmask_b32_e64 v4, v4, v6, s[12:13]
	s_waitcnt lgkmcnt(2)
	v_cndmask_b32_e64 v6, 0, v11, s[18:19]
	ds_bpermute_b32 v11, v46, v20
	s_waitcnt lgkmcnt(2)
	v_cndmask_b32_e64 v5, 0, v5, s[18:19]
	s_waitcnt lgkmcnt(1)
	v_cndmask_b32_e64 v5, v5, v12, s[16:17]
	ds_bpermute_b32 v12, v46, v7
	ds_bpermute_b32 v13, v46, v8
	s_waitcnt lgkmcnt(2)
	v_cndmask_b32_e64 v6, v6, v11, s[16:17]
	ds_bpermute_b32 v11, v46, v10
	ds_bpermute_b32 v22, v46, v9
	s_waitcnt lgkmcnt(3)
	v_cndmask_b32_e64 v6, v6, v12, s[14:15]
	ds_bpermute_b32 v12, v48, v18
	s_waitcnt lgkmcnt(3)
	v_cndmask_b32_e64 v5, v5, v13, s[14:15]
	v_cndmask_b32_e64 v2, v2, v23, s[14:15]
	s_waitcnt lgkmcnt(2)
	v_cndmask_b32_e64 v23, v5, v11, s[12:13]
	ds_bpermute_b32 v5, v48, v19
	s_waitcnt lgkmcnt(2)
	v_cndmask_b32_e64 v22, v6, v22, s[12:13]
	ds_bpermute_b32 v6, v48, v21
	;; [unrolled: 3-line block ×3, first 2 shown]
	ds_bpermute_b32 v13, v48, v7
	s_waitcnt lgkmcnt(3)
	v_cndmask_b32_e64 v5, 0, v5, s[18:19]
	s_waitcnt lgkmcnt(2)
	v_cndmask_b32_e64 v5, v5, v6, s[16:17]
	ds_bpermute_b32 v6, v48, v8
	s_waitcnt lgkmcnt(2)
	v_cndmask_b32_e64 v11, v11, v12, s[16:17]
	ds_bpermute_b32 v12, v48, v10
	;; [unrolled: 3-line block ×3, first 2 shown]
	v_cndmask_b32_e64 v2, v2, v27, s[12:13]
	s_waitcnt lgkmcnt(2)
	v_cndmask_b32_e64 v5, v5, v6, s[14:15]
	ds_bpermute_b32 v6, v52, v18
	ds_bpermute_b32 v27, v52, v19
	v_cndmask_b32_e64 v1, v1, v25, s[12:13]
	s_waitcnt lgkmcnt(3)
	v_cndmask_b32_e64 v25, v5, v12, s[12:13]
	ds_bpermute_b32 v5, v52, v21
	ds_bpermute_b32 v12, v52, v20
	s_waitcnt lgkmcnt(4)
	v_cndmask_b32_e64 v24, v11, v13, s[12:13]
	ds_bpermute_b32 v13, v52, v7
	s_waitcnt lgkmcnt(4)
	v_cndmask_b32_e64 v6, 0, v6, s[18:19]
	s_waitcnt lgkmcnt(3)
	v_cndmask_b32_e64 v11, 0, v27, s[18:19]
	;; [unrolled: 2-line block ×3, first 2 shown]
	ds_bpermute_b32 v11, v52, v8
	s_waitcnt lgkmcnt(2)
	v_cndmask_b32_e64 v6, v6, v12, s[16:17]
	ds_bpermute_b32 v27, v52, v10
	s_waitcnt lgkmcnt(2)
	v_cndmask_b32_e64 v12, v6, v13, s[14:15]
	;; [unrolled: 3-line block ×3, first 2 shown]
	ds_bpermute_b32 v11, v49, v18
	ds_bpermute_b32 v18, v49, v19
	s_waitcnt lgkmcnt(3)
	v_cndmask_b32_e64 v6, v5, v27, s[12:13]
	ds_bpermute_b32 v19, v49, v21
	s_waitcnt lgkmcnt(3)
	v_cndmask_b32_e64 v5, v12, v13, s[12:13]
	ds_bpermute_b32 v13, v49, v20
	ds_bpermute_b32 v7, v49, v7
	;; [unrolled: 1-line block ×5, first 2 shown]
	s_waitcnt lgkmcnt(7)
	v_cndmask_b32_e64 v11, 0, v11, s[18:19]
	s_waitcnt lgkmcnt(6)
	v_cndmask_b32_e64 v12, 0, v18, s[18:19]
	;; [unrolled: 2-line block ×6, first 2 shown]
	v_mov_b32_e32 v11, 0
	s_waitcnt lgkmcnt(1)
	v_cndmask_b32_e64 v8, v8, v10, s[12:13]
	s_waitcnt lgkmcnt(0)
	v_cndmask_b32_e64 v7, v7, v9, s[12:13]
	v_mov_b32_e32 v12, 0
	s_barrier
	s_branch .LBB125_4
.LBB125_3:                              ;   in Loop: Header=BB125_4 Depth=2
	s_andn2_b64 vcc, exec, s[34:35]
	s_cbranch_vccz .LBB125_1
.LBB125_4:                              ;   Parent Loop BB125_2 Depth=1
                                        ; =>  This Inner Loop Header: Depth=2
	v_mov_b32_e32 v41, v15
	v_mov_b32_e32 v37, v2
	;; [unrolled: 1-line block ×4, first 2 shown]
	v_lshrrev_b64 v[1:2], v11, v[40:41]
	v_mov_b32_e32 v19, v6
	v_lshlrev_b32_e32 v2, 4, v1
	v_and_b32_e32 v2, 0xff0, v2
	v_mov_b32_e32 v35, v4
	v_mov_b32_e32 v18, v5
	v_add_u32_e32 v5, v50, v2
	v_and_b32_e32 v2, 1, v1
	v_mov_b32_e32 v34, v3
	v_add_co_u32_e32 v3, vcc, -1, v2
	v_addc_co_u32_e64 v4, s[34:35], 0, -1, vcc
	v_cmp_ne_u32_e32 vcc, 0, v2
	v_lshlrev_b32_e32 v27, 30, v1
	v_xor_b32_e32 v2, vcc_hi, v4
	v_xor_b32_e32 v3, vcc_lo, v3
	v_cmp_gt_i64_e32 vcc, 0, v[26:27]
	v_not_b32_e32 v4, v27
	v_ashrrev_i32_e32 v4, 31, v4
	v_and_b32_e32 v3, exec_lo, v3
	v_xor_b32_e32 v6, vcc_hi, v4
	v_xor_b32_e32 v4, vcc_lo, v4
	v_lshlrev_b32_e32 v27, 29, v1
	v_and_b32_e32 v3, v3, v4
	v_cmp_gt_i64_e32 vcc, 0, v[26:27]
	v_not_b32_e32 v4, v27
	v_and_b32_e32 v2, exec_hi, v2
	v_ashrrev_i32_e32 v4, 31, v4
	v_and_b32_e32 v2, v2, v6
	v_xor_b32_e32 v6, vcc_hi, v4
	v_xor_b32_e32 v4, vcc_lo, v4
	v_lshlrev_b32_e32 v27, 28, v1
	v_and_b32_e32 v3, v3, v4
	v_cmp_gt_i64_e32 vcc, 0, v[26:27]
	v_not_b32_e32 v4, v27
	v_ashrrev_i32_e32 v4, 31, v4
	v_and_b32_e32 v2, v2, v6
	v_xor_b32_e32 v6, vcc_hi, v4
	v_xor_b32_e32 v4, vcc_lo, v4
	v_lshlrev_b32_e32 v27, 27, v1
	v_and_b32_e32 v3, v3, v4
	v_cmp_gt_i64_e32 vcc, 0, v[26:27]
	v_not_b32_e32 v4, v27
	;; [unrolled: 8-line block ×4, first 2 shown]
	v_ashrrev_i32_e32 v4, 31, v4
	v_lshlrev_b32_e32 v27, 24, v1
	v_and_b32_e32 v2, v2, v6
	v_xor_b32_e32 v6, vcc_hi, v4
	v_xor_b32_e32 v4, vcc_lo, v4
	v_cmp_gt_i64_e32 vcc, 0, v[26:27]
	v_not_b32_e32 v1, v27
	v_ashrrev_i32_e32 v1, 31, v1
	v_and_b32_e32 v3, v3, v4
	v_xor_b32_e32 v4, vcc_hi, v1
	v_xor_b32_e32 v1, vcc_lo, v1
	v_and_b32_e32 v2, v2, v6
	v_and_b32_e32 v1, v3, v1
	;; [unrolled: 1-line block ×3, first 2 shown]
	v_mbcnt_lo_u32_b32 v3, v1, 0
	v_mbcnt_hi_u32_b32 v6, v2, v3
	v_cmp_ne_u64_e32 vcc, 0, v[1:2]
	v_mov_b32_e32 v39, v17
	v_mov_b32_e32 v33, v23
	;; [unrolled: 1-line block ×4, first 2 shown]
	v_cmp_eq_u32_e64 s[34:35], 0, v6
	v_mov_b32_e32 v38, v16
	v_mov_b32_e32 v32, v22
	v_mov_b32_e32 v21, v25
	v_mov_b32_e32 v9, v7
	s_and_b64 s[36:37], vcc, s[34:35]
	ds_write2_b64 v42, v[28:29], v[30:31] offset0:2 offset1:3
	s_waitcnt lgkmcnt(0)
	s_barrier
	; wave barrier
	s_and_saveexec_b64 s[34:35], s[36:37]
; %bb.5:                                ;   in Loop: Header=BB125_4 Depth=2
	v_bcnt_u32_b32 v1, v1, 0
	v_bcnt_u32_b32 v1, v2, v1
	ds_write_b32 v5, v1 offset:16
; %bb.6:                                ;   in Loop: Header=BB125_4 Depth=2
	s_or_b64 exec, exec, s[34:35]
	v_lshrrev_b64 v[1:2], v11, v[38:39]
	v_lshlrev_b32_e32 v2, 4, v1
	v_and_b32_e32 v2, 0xff0, v2
	v_add_u32_e32 v8, v50, v2
	v_and_b32_e32 v2, 1, v1
	v_add_co_u32_e32 v3, vcc, -1, v2
	v_addc_co_u32_e64 v4, s[34:35], 0, -1, vcc
	v_cmp_ne_u32_e32 vcc, 0, v2
	v_lshlrev_b32_e32 v27, 30, v1
	v_xor_b32_e32 v2, vcc_hi, v4
	v_xor_b32_e32 v3, vcc_lo, v3
	v_cmp_gt_i64_e32 vcc, 0, v[26:27]
	v_not_b32_e32 v4, v27
	v_ashrrev_i32_e32 v4, 31, v4
	v_and_b32_e32 v3, exec_lo, v3
	v_xor_b32_e32 v13, vcc_hi, v4
	v_xor_b32_e32 v4, vcc_lo, v4
	v_lshlrev_b32_e32 v27, 29, v1
	v_and_b32_e32 v3, v3, v4
	v_cmp_gt_i64_e32 vcc, 0, v[26:27]
	v_not_b32_e32 v4, v27
	v_and_b32_e32 v2, exec_hi, v2
	v_ashrrev_i32_e32 v4, 31, v4
	v_and_b32_e32 v2, v2, v13
	v_xor_b32_e32 v13, vcc_hi, v4
	v_xor_b32_e32 v4, vcc_lo, v4
	v_lshlrev_b32_e32 v27, 28, v1
	v_and_b32_e32 v3, v3, v4
	v_cmp_gt_i64_e32 vcc, 0, v[26:27]
	v_not_b32_e32 v4, v27
	v_ashrrev_i32_e32 v4, 31, v4
	v_and_b32_e32 v2, v2, v13
	v_xor_b32_e32 v13, vcc_hi, v4
	v_xor_b32_e32 v4, vcc_lo, v4
	v_lshlrev_b32_e32 v27, 27, v1
	v_and_b32_e32 v3, v3, v4
	v_cmp_gt_i64_e32 vcc, 0, v[26:27]
	v_not_b32_e32 v4, v27
	;; [unrolled: 8-line block ×4, first 2 shown]
	v_ashrrev_i32_e32 v4, 31, v4
	v_lshlrev_b32_e32 v27, 24, v1
	v_and_b32_e32 v2, v2, v13
	v_xor_b32_e32 v13, vcc_hi, v4
	v_xor_b32_e32 v4, vcc_lo, v4
	v_cmp_gt_i64_e32 vcc, 0, v[26:27]
	v_not_b32_e32 v1, v27
	v_ashrrev_i32_e32 v1, 31, v1
	v_and_b32_e32 v3, v3, v4
	v_xor_b32_e32 v4, vcc_hi, v1
	v_xor_b32_e32 v1, vcc_lo, v1
	; wave barrier
	ds_read_b32 v7, v8 offset:16
	v_and_b32_e32 v2, v2, v13
	v_and_b32_e32 v1, v3, v1
	;; [unrolled: 1-line block ×3, first 2 shown]
	v_mbcnt_lo_u32_b32 v3, v1, 0
	v_mbcnt_hi_u32_b32 v13, v2, v3
	v_cmp_ne_u64_e32 vcc, 0, v[1:2]
	v_cmp_eq_u32_e64 s[34:35], 0, v13
	s_and_b64 s[36:37], vcc, s[34:35]
	; wave barrier
	s_and_saveexec_b64 s[34:35], s[36:37]
	s_cbranch_execz .LBB125_8
; %bb.7:                                ;   in Loop: Header=BB125_4 Depth=2
	v_bcnt_u32_b32 v1, v1, 0
	v_bcnt_u32_b32 v1, v2, v1
	s_waitcnt lgkmcnt(0)
	v_add_u32_e32 v1, v7, v1
	ds_write_b32 v8, v1 offset:16
.LBB125_8:                              ;   in Loop: Header=BB125_4 Depth=2
	s_or_b64 exec, exec, s[34:35]
	v_lshrrev_b64 v[1:2], v11, v[36:37]
	v_lshlrev_b32_e32 v2, 4, v1
	v_and_b32_e32 v2, 0xff0, v2
	v_add_u32_e32 v15, v50, v2
	v_and_b32_e32 v2, 1, v1
	v_add_co_u32_e32 v3, vcc, -1, v2
	v_addc_co_u32_e64 v4, s[34:35], 0, -1, vcc
	v_cmp_ne_u32_e32 vcc, 0, v2
	v_lshlrev_b32_e32 v27, 30, v1
	v_xor_b32_e32 v2, vcc_hi, v4
	v_xor_b32_e32 v3, vcc_lo, v3
	v_cmp_gt_i64_e32 vcc, 0, v[26:27]
	v_not_b32_e32 v4, v27
	v_ashrrev_i32_e32 v4, 31, v4
	v_and_b32_e32 v3, exec_lo, v3
	v_xor_b32_e32 v16, vcc_hi, v4
	v_xor_b32_e32 v4, vcc_lo, v4
	v_lshlrev_b32_e32 v27, 29, v1
	v_and_b32_e32 v3, v3, v4
	v_cmp_gt_i64_e32 vcc, 0, v[26:27]
	v_not_b32_e32 v4, v27
	v_and_b32_e32 v2, exec_hi, v2
	v_ashrrev_i32_e32 v4, 31, v4
	v_and_b32_e32 v2, v2, v16
	v_xor_b32_e32 v16, vcc_hi, v4
	v_xor_b32_e32 v4, vcc_lo, v4
	v_lshlrev_b32_e32 v27, 28, v1
	v_and_b32_e32 v3, v3, v4
	v_cmp_gt_i64_e32 vcc, 0, v[26:27]
	v_not_b32_e32 v4, v27
	v_ashrrev_i32_e32 v4, 31, v4
	v_and_b32_e32 v2, v2, v16
	v_xor_b32_e32 v16, vcc_hi, v4
	v_xor_b32_e32 v4, vcc_lo, v4
	v_lshlrev_b32_e32 v27, 27, v1
	v_and_b32_e32 v3, v3, v4
	v_cmp_gt_i64_e32 vcc, 0, v[26:27]
	v_not_b32_e32 v4, v27
	;; [unrolled: 8-line block ×4, first 2 shown]
	v_ashrrev_i32_e32 v4, 31, v4
	v_lshlrev_b32_e32 v27, 24, v1
	v_and_b32_e32 v2, v2, v16
	v_xor_b32_e32 v16, vcc_hi, v4
	v_xor_b32_e32 v4, vcc_lo, v4
	v_cmp_gt_i64_e32 vcc, 0, v[26:27]
	v_not_b32_e32 v1, v27
	v_ashrrev_i32_e32 v1, 31, v1
	v_and_b32_e32 v3, v3, v4
	v_xor_b32_e32 v4, vcc_hi, v1
	v_xor_b32_e32 v1, vcc_lo, v1
	; wave barrier
	ds_read_b32 v14, v15 offset:16
	v_and_b32_e32 v2, v2, v16
	v_and_b32_e32 v1, v3, v1
	v_and_b32_e32 v2, v2, v4
	v_mbcnt_lo_u32_b32 v3, v1, 0
	v_mbcnt_hi_u32_b32 v16, v2, v3
	v_cmp_ne_u64_e32 vcc, 0, v[1:2]
	v_cmp_eq_u32_e64 s[34:35], 0, v16
	s_and_b64 s[36:37], vcc, s[34:35]
	; wave barrier
	s_and_saveexec_b64 s[34:35], s[36:37]
	s_cbranch_execz .LBB125_10
; %bb.9:                                ;   in Loop: Header=BB125_4 Depth=2
	v_bcnt_u32_b32 v1, v1, 0
	v_bcnt_u32_b32 v1, v2, v1
	s_waitcnt lgkmcnt(0)
	v_add_u32_e32 v1, v14, v1
	ds_write_b32 v15, v1 offset:16
.LBB125_10:                             ;   in Loop: Header=BB125_4 Depth=2
	s_or_b64 exec, exec, s[34:35]
	v_lshrrev_b64 v[1:2], v11, v[34:35]
	v_lshlrev_b32_e32 v2, 4, v1
	v_and_b32_e32 v2, 0xff0, v2
	v_add_u32_e32 v22, v50, v2
	v_and_b32_e32 v2, 1, v1
	v_add_co_u32_e32 v3, vcc, -1, v2
	v_addc_co_u32_e64 v4, s[34:35], 0, -1, vcc
	v_cmp_ne_u32_e32 vcc, 0, v2
	v_lshlrev_b32_e32 v27, 30, v1
	v_xor_b32_e32 v2, vcc_hi, v4
	v_xor_b32_e32 v3, vcc_lo, v3
	v_cmp_gt_i64_e32 vcc, 0, v[26:27]
	v_not_b32_e32 v4, v27
	v_ashrrev_i32_e32 v4, 31, v4
	v_and_b32_e32 v3, exec_lo, v3
	v_xor_b32_e32 v23, vcc_hi, v4
	v_xor_b32_e32 v4, vcc_lo, v4
	v_lshlrev_b32_e32 v27, 29, v1
	v_and_b32_e32 v3, v3, v4
	v_cmp_gt_i64_e32 vcc, 0, v[26:27]
	v_not_b32_e32 v4, v27
	v_and_b32_e32 v2, exec_hi, v2
	v_ashrrev_i32_e32 v4, 31, v4
	v_and_b32_e32 v2, v2, v23
	v_xor_b32_e32 v23, vcc_hi, v4
	v_xor_b32_e32 v4, vcc_lo, v4
	v_lshlrev_b32_e32 v27, 28, v1
	v_and_b32_e32 v3, v3, v4
	v_cmp_gt_i64_e32 vcc, 0, v[26:27]
	v_not_b32_e32 v4, v27
	v_ashrrev_i32_e32 v4, 31, v4
	v_and_b32_e32 v2, v2, v23
	v_xor_b32_e32 v23, vcc_hi, v4
	v_xor_b32_e32 v4, vcc_lo, v4
	v_lshlrev_b32_e32 v27, 27, v1
	v_and_b32_e32 v3, v3, v4
	v_cmp_gt_i64_e32 vcc, 0, v[26:27]
	v_not_b32_e32 v4, v27
	;; [unrolled: 8-line block ×4, first 2 shown]
	v_ashrrev_i32_e32 v4, 31, v4
	v_lshlrev_b32_e32 v27, 24, v1
	v_and_b32_e32 v2, v2, v23
	v_xor_b32_e32 v23, vcc_hi, v4
	v_xor_b32_e32 v4, vcc_lo, v4
	v_cmp_gt_i64_e32 vcc, 0, v[26:27]
	v_not_b32_e32 v1, v27
	v_ashrrev_i32_e32 v1, 31, v1
	v_and_b32_e32 v3, v3, v4
	v_xor_b32_e32 v4, vcc_hi, v1
	v_xor_b32_e32 v1, vcc_lo, v1
	; wave barrier
	ds_read_b32 v17, v22 offset:16
	v_and_b32_e32 v2, v2, v23
	v_and_b32_e32 v1, v3, v1
	;; [unrolled: 1-line block ×3, first 2 shown]
	v_mbcnt_lo_u32_b32 v3, v1, 0
	v_mbcnt_hi_u32_b32 v23, v2, v3
	v_cmp_ne_u64_e32 vcc, 0, v[1:2]
	v_cmp_eq_u32_e64 s[34:35], 0, v23
	s_and_b64 s[36:37], vcc, s[34:35]
	; wave barrier
	s_and_saveexec_b64 s[34:35], s[36:37]
	s_cbranch_execz .LBB125_12
; %bb.11:                               ;   in Loop: Header=BB125_4 Depth=2
	v_bcnt_u32_b32 v1, v1, 0
	v_bcnt_u32_b32 v1, v2, v1
	s_waitcnt lgkmcnt(0)
	v_add_u32_e32 v1, v17, v1
	ds_write_b32 v22, v1 offset:16
.LBB125_12:                             ;   in Loop: Header=BB125_4 Depth=2
	s_or_b64 exec, exec, s[34:35]
	; wave barrier
	s_waitcnt lgkmcnt(0)
	s_barrier
	ds_read2_b64 v[1:4], v42 offset0:2 offset1:3
	s_waitcnt lgkmcnt(0)
	v_add_u32_e32 v24, v2, v1
	v_add3_u32 v4, v24, v3, v4
	s_nop 1
	v_mov_b32_dpp v24, v4 row_shr:1 row_mask:0xf bank_mask:0xf
	v_cndmask_b32_e64 v24, v24, 0, s[20:21]
	v_add_u32_e32 v4, v24, v4
	s_nop 1
	v_mov_b32_dpp v24, v4 row_shr:2 row_mask:0xf bank_mask:0xf
	v_cndmask_b32_e64 v24, 0, v24, s[22:23]
	v_add_u32_e32 v4, v4, v24
	;; [unrolled: 4-line block ×4, first 2 shown]
	s_nop 1
	v_mov_b32_dpp v24, v4 row_bcast:15 row_mask:0xf bank_mask:0xf
	v_cndmask_b32_e64 v24, v24, 0, s[28:29]
	v_add_u32_e32 v4, v4, v24
	s_nop 1
	v_mov_b32_dpp v24, v4 row_bcast:31 row_mask:0xf bank_mask:0xf
	v_cndmask_b32_e64 v24, 0, v24, s[6:7]
	v_add_u32_e32 v4, v4, v24
	s_and_saveexec_b64 s[34:35], s[8:9]
; %bb.13:                               ;   in Loop: Header=BB125_4 Depth=2
	ds_write_b32 v43, v4
; %bb.14:                               ;   in Loop: Header=BB125_4 Depth=2
	s_or_b64 exec, exec, s[34:35]
	s_waitcnt lgkmcnt(0)
	s_barrier
	s_and_saveexec_b64 s[34:35], s[0:1]
	s_cbranch_execz .LBB125_16
; %bb.15:                               ;   in Loop: Header=BB125_4 Depth=2
	ds_read_b32 v24, v44
	s_waitcnt lgkmcnt(0)
	s_nop 0
	v_mov_b32_dpp v25, v24 row_shr:1 row_mask:0xf bank_mask:0xf
	v_cndmask_b32_e64 v25, v25, 0, s[18:19]
	v_add_u32_e32 v24, v25, v24
	s_nop 1
	v_mov_b32_dpp v25, v24 row_shr:2 row_mask:0xf bank_mask:0xf
	v_cndmask_b32_e64 v25, 0, v25, s[30:31]
	v_add_u32_e32 v24, v24, v25
	ds_write_b32 v44, v24
.LBB125_16:                             ;   in Loop: Header=BB125_4 Depth=2
	s_or_b64 exec, exec, s[34:35]
	v_mov_b32_e32 v24, 0
	s_waitcnt lgkmcnt(0)
	s_barrier
	s_and_saveexec_b64 s[34:35], s[2:3]
; %bb.17:                               ;   in Loop: Header=BB125_4 Depth=2
	ds_read_b32 v24, v53
; %bb.18:                               ;   in Loop: Header=BB125_4 Depth=2
	s_or_b64 exec, exec, s[34:35]
	s_waitcnt lgkmcnt(0)
	v_add_u32_e32 v4, v24, v4
	ds_bpermute_b32 v4, v47, v4
	v_cmp_lt_u32_e32 vcc, 55, v11
	s_and_b64 vcc, exec, vcc
	s_mov_b64 s[34:35], -1
	s_waitcnt lgkmcnt(0)
	v_cndmask_b32_e64 v4, v4, v24, s[10:11]
	v_cndmask_b32_e64 v24, v4, 0, s[4:5]
	v_add_u32_e32 v25, v24, v1
	v_add_u32_e32 v1, v25, v2
	;; [unrolled: 1-line block ×3, first 2 shown]
	ds_write2_b64 v42, v[24:25], v[1:2] offset0:2 offset1:3
	s_waitcnt lgkmcnt(0)
	s_barrier
	ds_read_b32 v1, v5 offset:16
	ds_read_b32 v2, v8 offset:16
	;; [unrolled: 1-line block ×4, first 2 shown]
	s_waitcnt lgkmcnt(3)
	v_add_u32_e32 v55, v1, v6
	s_waitcnt lgkmcnt(2)
	v_add3_u32 v54, v13, v7, v2
	s_waitcnt lgkmcnt(1)
	v_add3_u32 v27, v16, v14, v3
	s_waitcnt lgkmcnt(0)
	v_add3_u32 v13, v23, v17, v4
                                        ; implicit-def: $vgpr3_vgpr4
                                        ; implicit-def: $vgpr16_vgpr17
                                        ; implicit-def: $vgpr22_vgpr23
                                        ; implicit-def: $vgpr5_vgpr6
	s_cbranch_vccnz .LBB125_3
; %bb.19:                               ;   in Loop: Header=BB125_4 Depth=2
	v_lshlrev_b32_e32 v5, 3, v55
	v_lshlrev_b32_e32 v6, 3, v54
	;; [unrolled: 1-line block ×4, first 2 shown]
	s_barrier
	ds_write_b64 v5, v[40:41]
	ds_write_b64 v6, v[38:39]
	;; [unrolled: 1-line block ×4, first 2 shown]
	s_waitcnt lgkmcnt(0)
	s_barrier
	ds_read2st64_b64 v[14:17], v45 offset1:1
	ds_read2st64_b64 v[1:4], v45 offset0:2 offset1:3
	s_waitcnt lgkmcnt(0)
	s_barrier
	ds_write_b64 v5, v[32:33]
	ds_write_b64 v6, v[20:21]
	;; [unrolled: 1-line block ×4, first 2 shown]
	s_waitcnt lgkmcnt(0)
	s_barrier
	ds_read2st64_b64 v[22:25], v45 offset1:1
	ds_read2st64_b64 v[5:8], v45 offset0:2 offset1:3
	v_add_co_u32_e32 v11, vcc, 8, v11
	v_addc_co_u32_e32 v12, vcc, 0, v12, vcc
	s_mov_b64 s[34:35], 0
	s_waitcnt lgkmcnt(0)
	s_barrier
	s_branch .LBB125_3
.LBB125_20:
	s_waitcnt lgkmcnt(1)
	v_add_co_u32_e32 v1, vcc, v18, v11
	v_addc_co_u32_e32 v2, vcc, v19, v12, vcc
	v_add_co_u32_e32 v11, vcc, v20, v13
	v_addc_co_u32_e32 v12, vcc, v21, v14, vcc
	s_waitcnt lgkmcnt(0)
	v_add_co_u32_e32 v3, vcc, v7, v3
	v_addc_co_u32_e32 v4, vcc, v8, v4, vcc
	v_add_co_u32_e32 v5, vcc, v9, v5
	s_add_u32 s0, s38, s40
	v_addc_co_u32_e32 v6, vcc, v10, v6, vcc
	s_addc_u32 s1, s39, s41
	v_lshlrev_b32_e32 v0, 3, v0
	v_mov_b32_e32 v7, s1
	v_add_co_u32_e32 v8, vcc, s0, v0
	v_addc_co_u32_e32 v7, vcc, 0, v7, vcc
	global_store_dwordx2 v0, v[1:2], s[0:1]
	global_store_dwordx2 v0, v[11:12], s[0:1] offset:2048
	v_add_co_u32_e32 v0, vcc, 0x1000, v8
	v_addc_co_u32_e32 v1, vcc, 0, v7, vcc
	global_store_dwordx2 v[0:1], v[3:4], off
	global_store_dwordx2 v[0:1], v[5:6], off offset:2048
	s_endpgm
	.section	.rodata,"a",@progbits
	.p2align	6, 0x0
	.amdhsa_kernel _Z17sort_pairs_kernelI22helper_blocked_blockedxLj256ELj4ELj10EEvPKT0_PS1_
		.amdhsa_group_segment_fixed_size 8192
		.amdhsa_private_segment_fixed_size 0
		.amdhsa_kernarg_size 272
		.amdhsa_user_sgpr_count 6
		.amdhsa_user_sgpr_private_segment_buffer 1
		.amdhsa_user_sgpr_dispatch_ptr 0
		.amdhsa_user_sgpr_queue_ptr 0
		.amdhsa_user_sgpr_kernarg_segment_ptr 1
		.amdhsa_user_sgpr_dispatch_id 0
		.amdhsa_user_sgpr_flat_scratch_init 0
		.amdhsa_user_sgpr_private_segment_size 0
		.amdhsa_uses_dynamic_stack 0
		.amdhsa_system_sgpr_private_segment_wavefront_offset 0
		.amdhsa_system_sgpr_workgroup_id_x 1
		.amdhsa_system_sgpr_workgroup_id_y 0
		.amdhsa_system_sgpr_workgroup_id_z 0
		.amdhsa_system_sgpr_workgroup_info 0
		.amdhsa_system_vgpr_workitem_id 2
		.amdhsa_next_free_vgpr 56
		.amdhsa_next_free_sgpr 61
		.amdhsa_reserve_vcc 1
		.amdhsa_reserve_flat_scratch 0
		.amdhsa_float_round_mode_32 0
		.amdhsa_float_round_mode_16_64 0
		.amdhsa_float_denorm_mode_32 3
		.amdhsa_float_denorm_mode_16_64 3
		.amdhsa_dx10_clamp 1
		.amdhsa_ieee_mode 1
		.amdhsa_fp16_overflow 0
		.amdhsa_exception_fp_ieee_invalid_op 0
		.amdhsa_exception_fp_denorm_src 0
		.amdhsa_exception_fp_ieee_div_zero 0
		.amdhsa_exception_fp_ieee_overflow 0
		.amdhsa_exception_fp_ieee_underflow 0
		.amdhsa_exception_fp_ieee_inexact 0
		.amdhsa_exception_int_div_zero 0
	.end_amdhsa_kernel
	.section	.text._Z17sort_pairs_kernelI22helper_blocked_blockedxLj256ELj4ELj10EEvPKT0_PS1_,"axG",@progbits,_Z17sort_pairs_kernelI22helper_blocked_blockedxLj256ELj4ELj10EEvPKT0_PS1_,comdat
.Lfunc_end125:
	.size	_Z17sort_pairs_kernelI22helper_blocked_blockedxLj256ELj4ELj10EEvPKT0_PS1_, .Lfunc_end125-_Z17sort_pairs_kernelI22helper_blocked_blockedxLj256ELj4ELj10EEvPKT0_PS1_
                                        ; -- End function
	.set _Z17sort_pairs_kernelI22helper_blocked_blockedxLj256ELj4ELj10EEvPKT0_PS1_.num_vgpr, 56
	.set _Z17sort_pairs_kernelI22helper_blocked_blockedxLj256ELj4ELj10EEvPKT0_PS1_.num_agpr, 0
	.set _Z17sort_pairs_kernelI22helper_blocked_blockedxLj256ELj4ELj10EEvPKT0_PS1_.numbered_sgpr, 44
	.set _Z17sort_pairs_kernelI22helper_blocked_blockedxLj256ELj4ELj10EEvPKT0_PS1_.num_named_barrier, 0
	.set _Z17sort_pairs_kernelI22helper_blocked_blockedxLj256ELj4ELj10EEvPKT0_PS1_.private_seg_size, 0
	.set _Z17sort_pairs_kernelI22helper_blocked_blockedxLj256ELj4ELj10EEvPKT0_PS1_.uses_vcc, 1
	.set _Z17sort_pairs_kernelI22helper_blocked_blockedxLj256ELj4ELj10EEvPKT0_PS1_.uses_flat_scratch, 0
	.set _Z17sort_pairs_kernelI22helper_blocked_blockedxLj256ELj4ELj10EEvPKT0_PS1_.has_dyn_sized_stack, 0
	.set _Z17sort_pairs_kernelI22helper_blocked_blockedxLj256ELj4ELj10EEvPKT0_PS1_.has_recursion, 0
	.set _Z17sort_pairs_kernelI22helper_blocked_blockedxLj256ELj4ELj10EEvPKT0_PS1_.has_indirect_call, 0
	.section	.AMDGPU.csdata,"",@progbits
; Kernel info:
; codeLenInByte = 4272
; TotalNumSgprs: 48
; NumVgprs: 56
; ScratchSize: 0
; MemoryBound: 0
; FloatMode: 240
; IeeeMode: 1
; LDSByteSize: 8192 bytes/workgroup (compile time only)
; SGPRBlocks: 8
; VGPRBlocks: 13
; NumSGPRsForWavesPerEU: 65
; NumVGPRsForWavesPerEU: 56
; Occupancy: 4
; WaveLimiterHint : 1
; COMPUTE_PGM_RSRC2:SCRATCH_EN: 0
; COMPUTE_PGM_RSRC2:USER_SGPR: 6
; COMPUTE_PGM_RSRC2:TRAP_HANDLER: 0
; COMPUTE_PGM_RSRC2:TGID_X_EN: 1
; COMPUTE_PGM_RSRC2:TGID_Y_EN: 0
; COMPUTE_PGM_RSRC2:TGID_Z_EN: 0
; COMPUTE_PGM_RSRC2:TIDIG_COMP_CNT: 2
	.section	.text._Z16sort_keys_kernelI22helper_blocked_blockedxLj256ELj8ELj10EEvPKT0_PS1_,"axG",@progbits,_Z16sort_keys_kernelI22helper_blocked_blockedxLj256ELj8ELj10EEvPKT0_PS1_,comdat
	.protected	_Z16sort_keys_kernelI22helper_blocked_blockedxLj256ELj8ELj10EEvPKT0_PS1_ ; -- Begin function _Z16sort_keys_kernelI22helper_blocked_blockedxLj256ELj8ELj10EEvPKT0_PS1_
	.globl	_Z16sort_keys_kernelI22helper_blocked_blockedxLj256ELj8ELj10EEvPKT0_PS1_
	.p2align	8
	.type	_Z16sort_keys_kernelI22helper_blocked_blockedxLj256ELj8ELj10EEvPKT0_PS1_,@function
_Z16sort_keys_kernelI22helper_blocked_blockedxLj256ELj8ELj10EEvPKT0_PS1_: ; @_Z16sort_keys_kernelI22helper_blocked_blockedxLj256ELj8ELj10EEvPKT0_PS1_
; %bb.0:
	s_load_dwordx4 s[28:31], s[4:5], 0x0
	s_load_dword s2, s[4:5], 0x1c
	s_lshl_b32 s34, s6, 11
	s_mov_b32 s35, 0
	s_lshl_b64 s[36:37], s[34:35], 3
	s_waitcnt lgkmcnt(0)
	s_add_u32 s0, s28, s36
	s_addc_u32 s1, s29, s37
	v_lshlrev_b32_e32 v25, 3, v0
	v_mov_b32_e32 v3, s1
	v_add_co_u32_e32 v4, vcc, s0, v25
	v_addc_co_u32_e32 v3, vcc, 0, v3, vcc
	s_movk_i32 s3, 0x1000
	v_add_co_u32_e32 v19, vcc, s3, v4
	v_addc_co_u32_e32 v20, vcc, 0, v3, vcc
	s_movk_i32 s3, 0x2000
	;; [unrolled: 3-line block ×3, first 2 shown]
	v_add_co_u32_e32 v23, vcc, s3, v4
	v_addc_co_u32_e32 v24, vcc, 0, v3, vcc
	global_load_dwordx2 v[15:16], v25, s[0:1]
	global_load_dwordx2 v[17:18], v25, s[0:1] offset:2048
	global_load_dwordx2 v[13:14], v[19:20], off offset:2048
	global_load_dwordx2 v[3:4], v[23:24], off
	global_load_dwordx2 v[11:12], v[21:22], off offset:-4096
	global_load_dwordx2 v[7:8], v[21:22], off
	global_load_dwordx2 v[9:10], v[21:22], off offset:2048
	global_load_dwordx2 v[5:6], v[23:24], off offset:2048
	s_lshr_b32 s0, s2, 16
	v_mbcnt_lo_u32_b32 v20, -1, 0
	s_and_b32 s1, s2, 0xffff
	v_mad_u32_u24 v1, v2, s0, v1
	v_mbcnt_hi_u32_b32 v20, -1, v20
	v_mad_u64_u32 v[1:2], s[0:1], v1, s1, v[0:1]
	v_and_b32_e32 v2, 15, v20
	v_and_b32_e32 v21, 0xc0, v0
	v_cmp_eq_u32_e64 s[0:1], 0, v2
	v_cmp_lt_u32_e64 s[2:3], 1, v2
	v_cmp_lt_u32_e64 s[4:5], 3, v2
	;; [unrolled: 1-line block ×3, first 2 shown]
	v_and_b32_e32 v2, 16, v20
	v_cmp_eq_u32_e64 s[8:9], 0, v2
	v_or_b32_e32 v2, 63, v21
	v_add_lshl_u32 v41, v20, v21, 6
	v_cmp_eq_u32_e64 s[12:13], v0, v2
	v_subrev_co_u32_e64 v2, s[18:19], 1, v20
	v_and_b32_e32 v21, 64, v20
	v_cmp_lt_i32_e32 vcc, v2, v21
	v_lshlrev_b32_e32 v22, 6, v0
	v_cndmask_b32_e32 v2, v2, v20, vcc
	v_and_b32_e32 v22, 0x3000, v22
	v_lshlrev_b32_e32 v43, 4, v0
	v_lshlrev_b32_e32 v44, 2, v2
	v_lshrrev_b32_e32 v2, 4, v0
	v_lshrrev_b32_e32 v1, 4, v1
	s_mov_b32 s34, s35
	s_mov_b32 s26, s35
	v_lshl_or_b32 v42, v20, 3, v22
	v_and_b32_e32 v45, 12, v2
	v_mad_i32_i24 v46, v0, -12, v43
	v_and_b32_e32 v2, 3, v20
	v_and_b32_e32 v48, 0xffffffc, v1
	v_mul_u32_u24_e32 v1, 60, v0
	s_mov_b32 s27, s35
	v_mov_b32_e32 v21, s34
	v_mov_b32_e32 v23, s26
	;; [unrolled: 1-line block ×3, first 2 shown]
	v_cmp_lt_u32_e64 s[10:11], 31, v20
	v_cmp_gt_u32_e64 s[14:15], 4, v0
	v_cmp_lt_u32_e64 s[16:17], 63, v0
	v_cmp_eq_u32_e64 s[20:21], 0, v0
	v_cmp_eq_u32_e64 s[22:23], 0, v2
	v_cmp_lt_u32_e64 s[24:25], 1, v2
	v_add_u32_e32 v47, -4, v45
	v_mov_b32_e32 v22, s35
	v_mov_b32_e32 v24, s27
	v_add_u32_e32 v49, v46, v1
	s_branch .LBB126_2
.LBB126_1:                              ;   in Loop: Header=BB126_2 Depth=1
	v_lshlrev_b32_e32 v1, 3, v61
	s_barrier
	ds_write_b64 v1, v[39:40]
	v_lshlrev_b32_e32 v1, 3, v60
	ds_write_b64 v1, v[37:38]
	v_lshlrev_b32_e32 v1, 3, v59
	;; [unrolled: 2-line block ×7, first 2 shown]
	ds_write_b64 v1, v[17:18]
	s_waitcnt lgkmcnt(0)
	s_barrier
	ds_read2_b64 v[15:18], v49 offset1:1
	ds_read2_b64 v[11:14], v49 offset0:2 offset1:3
	ds_read2_b64 v[7:10], v49 offset0:4 offset1:5
	;; [unrolled: 1-line block ×3, first 2 shown]
	s_add_i32 s35, s35, 1
	s_waitcnt lgkmcnt(3)
	v_xor_b32_e32 v16, 0x80000000, v16
	v_xor_b32_e32 v18, 0x80000000, v18
	s_waitcnt lgkmcnt(2)
	v_xor_b32_e32 v12, 0x80000000, v12
	v_xor_b32_e32 v14, 0x80000000, v14
	;; [unrolled: 3-line block ×3, first 2 shown]
	s_waitcnt lgkmcnt(0)
	v_xor_b32_e32 v4, 0x80000000, v4
	s_cmp_eq_u32 s35, 10
	v_xor_b32_e32 v6, 0x80000000, v6
	s_cbranch_scc1 .LBB126_28
.LBB126_2:                              ; =>This Loop Header: Depth=1
                                        ;     Child Loop BB126_4 Depth 2
	s_waitcnt vmcnt(7)
	v_xor_b32_e32 v16, 0x80000000, v16
	s_waitcnt vmcnt(6)
	v_xor_b32_e32 v18, 0x80000000, v18
	;; [unrolled: 2-line block ×3, first 2 shown]
	v_xor_b32_e32 v14, 0x80000000, v14
	s_waitcnt vmcnt(2)
	v_xor_b32_e32 v8, 0x80000000, v8
	s_waitcnt vmcnt(1)
	v_xor_b32_e32 v10, 0x80000000, v10
	v_xor_b32_e32 v4, 0x80000000, v4
	s_waitcnt vmcnt(0)
	v_xor_b32_e32 v6, 0x80000000, v6
	ds_write2_b64 v41, v[15:16], v[17:18] offset1:1
	ds_write2_b64 v41, v[11:12], v[13:14] offset0:2 offset1:3
	ds_write2_b64 v41, v[7:8], v[9:10] offset0:4 offset1:5
	;; [unrolled: 1-line block ×3, first 2 shown]
	; wave barrier
	ds_read2st64_b64 v[1:4], v42 offset1:1
	ds_read2st64_b64 v[5:8], v42 offset0:2 offset1:3
	ds_read2st64_b64 v[9:12], v42 offset0:4 offset1:5
	;; [unrolled: 1-line block ×3, first 2 shown]
	v_mov_b32_e32 v29, 0
	v_mov_b32_e32 v30, 0
	s_waitcnt lgkmcnt(0)
	s_barrier
	; wave barrier
	s_barrier
	s_branch .LBB126_4
.LBB126_3:                              ;   in Loop: Header=BB126_4 Depth=2
	s_andn2_b64 vcc, exec, s[26:27]
	s_cbranch_vccz .LBB126_1
.LBB126_4:                              ;   Parent Loop BB126_2 Depth=1
                                        ; =>  This Inner Loop Header: Depth=2
	v_mov_b32_e32 v40, v2
	v_mov_b32_e32 v39, v1
	v_lshrrev_b64 v[1:2], v29, v[39:40]
	v_mov_b32_e32 v36, v6
	v_lshlrev_b32_e32 v2, 4, v1
	v_and_b32_e32 v2, 0xff0, v2
	v_mov_b32_e32 v35, v5
	v_mov_b32_e32 v38, v4
	v_add_u32_e32 v5, v48, v2
	v_and_b32_e32 v2, 1, v1
	v_mov_b32_e32 v37, v3
	v_add_co_u32_e32 v3, vcc, -1, v2
	v_addc_co_u32_e64 v4, s[26:27], 0, -1, vcc
	v_cmp_ne_u32_e32 vcc, 0, v2
	v_lshlrev_b32_e32 v20, 30, v1
	v_xor_b32_e32 v2, vcc_hi, v4
	v_xor_b32_e32 v3, vcc_lo, v3
	v_cmp_gt_i64_e32 vcc, 0, v[19:20]
	v_not_b32_e32 v4, v20
	v_ashrrev_i32_e32 v4, 31, v4
	v_and_b32_e32 v3, exec_lo, v3
	v_xor_b32_e32 v6, vcc_hi, v4
	v_xor_b32_e32 v4, vcc_lo, v4
	v_lshlrev_b32_e32 v20, 29, v1
	v_and_b32_e32 v3, v3, v4
	v_cmp_gt_i64_e32 vcc, 0, v[19:20]
	v_not_b32_e32 v4, v20
	v_and_b32_e32 v2, exec_hi, v2
	v_ashrrev_i32_e32 v4, 31, v4
	v_and_b32_e32 v2, v2, v6
	v_xor_b32_e32 v6, vcc_hi, v4
	v_xor_b32_e32 v4, vcc_lo, v4
	v_lshlrev_b32_e32 v20, 28, v1
	v_and_b32_e32 v3, v3, v4
	v_cmp_gt_i64_e32 vcc, 0, v[19:20]
	v_not_b32_e32 v4, v20
	v_ashrrev_i32_e32 v4, 31, v4
	v_and_b32_e32 v2, v2, v6
	v_xor_b32_e32 v6, vcc_hi, v4
	v_xor_b32_e32 v4, vcc_lo, v4
	v_lshlrev_b32_e32 v20, 27, v1
	v_and_b32_e32 v3, v3, v4
	v_cmp_gt_i64_e32 vcc, 0, v[19:20]
	v_not_b32_e32 v4, v20
	;; [unrolled: 8-line block ×4, first 2 shown]
	v_ashrrev_i32_e32 v4, 31, v4
	v_lshlrev_b32_e32 v20, 24, v1
	v_and_b32_e32 v2, v2, v6
	v_xor_b32_e32 v6, vcc_hi, v4
	v_xor_b32_e32 v4, vcc_lo, v4
	v_cmp_gt_i64_e32 vcc, 0, v[19:20]
	v_not_b32_e32 v1, v20
	v_ashrrev_i32_e32 v1, 31, v1
	v_and_b32_e32 v3, v3, v4
	v_xor_b32_e32 v4, vcc_hi, v1
	v_xor_b32_e32 v1, vcc_lo, v1
	v_and_b32_e32 v2, v2, v6
	v_and_b32_e32 v1, v3, v1
	;; [unrolled: 1-line block ×3, first 2 shown]
	v_mbcnt_lo_u32_b32 v3, v1, 0
	v_mbcnt_hi_u32_b32 v6, v2, v3
	v_cmp_ne_u64_e32 vcc, 0, v[1:2]
	v_mov_b32_e32 v18, v16
	v_mov_b32_e32 v26, v14
	;; [unrolled: 1-line block ×5, first 2 shown]
	v_cmp_eq_u32_e64 s[26:27], 0, v6
	v_mov_b32_e32 v17, v15
	v_mov_b32_e32 v25, v13
	;; [unrolled: 1-line block ×5, first 2 shown]
	s_and_b64 s[28:29], vcc, s[26:27]
	ds_write2_b64 v43, v[21:22], v[23:24] offset0:2 offset1:3
	s_waitcnt lgkmcnt(0)
	s_barrier
	; wave barrier
	s_and_saveexec_b64 s[26:27], s[28:29]
; %bb.5:                                ;   in Loop: Header=BB126_4 Depth=2
	v_bcnt_u32_b32 v1, v1, 0
	v_bcnt_u32_b32 v1, v2, v1
	ds_write_b32 v5, v1 offset:16
; %bb.6:                                ;   in Loop: Header=BB126_4 Depth=2
	s_or_b64 exec, exec, s[26:27]
	v_lshrrev_b64 v[1:2], v29, v[37:38]
	v_lshlrev_b32_e32 v2, 4, v1
	v_and_b32_e32 v2, 0xff0, v2
	v_add_u32_e32 v8, v48, v2
	v_and_b32_e32 v2, 1, v1
	v_add_co_u32_e32 v3, vcc, -1, v2
	v_addc_co_u32_e64 v4, s[26:27], 0, -1, vcc
	v_cmp_ne_u32_e32 vcc, 0, v2
	v_lshlrev_b32_e32 v20, 30, v1
	v_xor_b32_e32 v2, vcc_hi, v4
	v_xor_b32_e32 v3, vcc_lo, v3
	v_cmp_gt_i64_e32 vcc, 0, v[19:20]
	v_not_b32_e32 v4, v20
	v_ashrrev_i32_e32 v4, 31, v4
	v_and_b32_e32 v3, exec_lo, v3
	v_xor_b32_e32 v9, vcc_hi, v4
	v_xor_b32_e32 v4, vcc_lo, v4
	v_lshlrev_b32_e32 v20, 29, v1
	v_and_b32_e32 v3, v3, v4
	v_cmp_gt_i64_e32 vcc, 0, v[19:20]
	v_not_b32_e32 v4, v20
	v_and_b32_e32 v2, exec_hi, v2
	v_ashrrev_i32_e32 v4, 31, v4
	v_and_b32_e32 v2, v2, v9
	v_xor_b32_e32 v9, vcc_hi, v4
	v_xor_b32_e32 v4, vcc_lo, v4
	v_lshlrev_b32_e32 v20, 28, v1
	v_and_b32_e32 v3, v3, v4
	v_cmp_gt_i64_e32 vcc, 0, v[19:20]
	v_not_b32_e32 v4, v20
	v_ashrrev_i32_e32 v4, 31, v4
	v_and_b32_e32 v2, v2, v9
	v_xor_b32_e32 v9, vcc_hi, v4
	v_xor_b32_e32 v4, vcc_lo, v4
	v_lshlrev_b32_e32 v20, 27, v1
	v_and_b32_e32 v3, v3, v4
	v_cmp_gt_i64_e32 vcc, 0, v[19:20]
	v_not_b32_e32 v4, v20
	;; [unrolled: 8-line block ×4, first 2 shown]
	v_ashrrev_i32_e32 v4, 31, v4
	v_lshlrev_b32_e32 v20, 24, v1
	v_and_b32_e32 v2, v2, v9
	v_xor_b32_e32 v9, vcc_hi, v4
	v_xor_b32_e32 v4, vcc_lo, v4
	v_cmp_gt_i64_e32 vcc, 0, v[19:20]
	v_not_b32_e32 v1, v20
	v_ashrrev_i32_e32 v1, 31, v1
	v_and_b32_e32 v3, v3, v4
	v_xor_b32_e32 v4, vcc_hi, v1
	v_xor_b32_e32 v1, vcc_lo, v1
	; wave barrier
	ds_read_b32 v7, v8 offset:16
	v_and_b32_e32 v2, v2, v9
	v_and_b32_e32 v1, v3, v1
	;; [unrolled: 1-line block ×3, first 2 shown]
	v_mbcnt_lo_u32_b32 v3, v1, 0
	v_mbcnt_hi_u32_b32 v9, v2, v3
	v_cmp_ne_u64_e32 vcc, 0, v[1:2]
	v_cmp_eq_u32_e64 s[26:27], 0, v9
	s_and_b64 s[28:29], vcc, s[26:27]
	; wave barrier
	s_and_saveexec_b64 s[26:27], s[28:29]
	s_cbranch_execz .LBB126_8
; %bb.7:                                ;   in Loop: Header=BB126_4 Depth=2
	v_bcnt_u32_b32 v1, v1, 0
	v_bcnt_u32_b32 v1, v2, v1
	s_waitcnt lgkmcnt(0)
	v_add_u32_e32 v1, v7, v1
	ds_write_b32 v8, v1 offset:16
.LBB126_8:                              ;   in Loop: Header=BB126_4 Depth=2
	s_or_b64 exec, exec, s[26:27]
	v_lshrrev_b64 v[1:2], v29, v[35:36]
	v_lshlrev_b32_e32 v2, 4, v1
	v_and_b32_e32 v2, 0xff0, v2
	v_add_u32_e32 v11, v48, v2
	v_and_b32_e32 v2, 1, v1
	v_add_co_u32_e32 v3, vcc, -1, v2
	v_addc_co_u32_e64 v4, s[26:27], 0, -1, vcc
	v_cmp_ne_u32_e32 vcc, 0, v2
	v_lshlrev_b32_e32 v20, 30, v1
	v_xor_b32_e32 v2, vcc_hi, v4
	v_xor_b32_e32 v3, vcc_lo, v3
	v_cmp_gt_i64_e32 vcc, 0, v[19:20]
	v_not_b32_e32 v4, v20
	v_ashrrev_i32_e32 v4, 31, v4
	v_and_b32_e32 v3, exec_lo, v3
	v_xor_b32_e32 v12, vcc_hi, v4
	v_xor_b32_e32 v4, vcc_lo, v4
	v_lshlrev_b32_e32 v20, 29, v1
	v_and_b32_e32 v3, v3, v4
	v_cmp_gt_i64_e32 vcc, 0, v[19:20]
	v_not_b32_e32 v4, v20
	v_and_b32_e32 v2, exec_hi, v2
	v_ashrrev_i32_e32 v4, 31, v4
	v_and_b32_e32 v2, v2, v12
	v_xor_b32_e32 v12, vcc_hi, v4
	v_xor_b32_e32 v4, vcc_lo, v4
	v_lshlrev_b32_e32 v20, 28, v1
	v_and_b32_e32 v3, v3, v4
	v_cmp_gt_i64_e32 vcc, 0, v[19:20]
	v_not_b32_e32 v4, v20
	v_ashrrev_i32_e32 v4, 31, v4
	v_and_b32_e32 v2, v2, v12
	v_xor_b32_e32 v12, vcc_hi, v4
	v_xor_b32_e32 v4, vcc_lo, v4
	v_lshlrev_b32_e32 v20, 27, v1
	v_and_b32_e32 v3, v3, v4
	v_cmp_gt_i64_e32 vcc, 0, v[19:20]
	v_not_b32_e32 v4, v20
	;; [unrolled: 8-line block ×4, first 2 shown]
	v_ashrrev_i32_e32 v4, 31, v4
	v_lshlrev_b32_e32 v20, 24, v1
	v_and_b32_e32 v2, v2, v12
	v_xor_b32_e32 v12, vcc_hi, v4
	v_xor_b32_e32 v4, vcc_lo, v4
	v_cmp_gt_i64_e32 vcc, 0, v[19:20]
	v_not_b32_e32 v1, v20
	v_ashrrev_i32_e32 v1, 31, v1
	v_and_b32_e32 v3, v3, v4
	v_xor_b32_e32 v4, vcc_hi, v1
	v_xor_b32_e32 v1, vcc_lo, v1
	; wave barrier
	ds_read_b32 v10, v11 offset:16
	v_and_b32_e32 v2, v2, v12
	v_and_b32_e32 v1, v3, v1
	;; [unrolled: 1-line block ×3, first 2 shown]
	v_mbcnt_lo_u32_b32 v3, v1, 0
	v_mbcnt_hi_u32_b32 v12, v2, v3
	v_cmp_ne_u64_e32 vcc, 0, v[1:2]
	v_cmp_eq_u32_e64 s[26:27], 0, v12
	s_and_b64 s[28:29], vcc, s[26:27]
	; wave barrier
	s_and_saveexec_b64 s[26:27], s[28:29]
	s_cbranch_execz .LBB126_10
; %bb.9:                                ;   in Loop: Header=BB126_4 Depth=2
	v_bcnt_u32_b32 v1, v1, 0
	v_bcnt_u32_b32 v1, v2, v1
	s_waitcnt lgkmcnt(0)
	v_add_u32_e32 v1, v10, v1
	ds_write_b32 v11, v1 offset:16
.LBB126_10:                             ;   in Loop: Header=BB126_4 Depth=2
	s_or_b64 exec, exec, s[26:27]
	v_lshrrev_b64 v[1:2], v29, v[33:34]
	v_lshlrev_b32_e32 v2, 4, v1
	v_and_b32_e32 v2, 0xff0, v2
	v_add_u32_e32 v14, v48, v2
	v_and_b32_e32 v2, 1, v1
	v_add_co_u32_e32 v3, vcc, -1, v2
	v_addc_co_u32_e64 v4, s[26:27], 0, -1, vcc
	v_cmp_ne_u32_e32 vcc, 0, v2
	v_lshlrev_b32_e32 v20, 30, v1
	v_xor_b32_e32 v2, vcc_hi, v4
	v_xor_b32_e32 v3, vcc_lo, v3
	v_cmp_gt_i64_e32 vcc, 0, v[19:20]
	v_not_b32_e32 v4, v20
	v_ashrrev_i32_e32 v4, 31, v4
	v_and_b32_e32 v3, exec_lo, v3
	v_xor_b32_e32 v15, vcc_hi, v4
	v_xor_b32_e32 v4, vcc_lo, v4
	v_lshlrev_b32_e32 v20, 29, v1
	v_and_b32_e32 v3, v3, v4
	v_cmp_gt_i64_e32 vcc, 0, v[19:20]
	v_not_b32_e32 v4, v20
	v_and_b32_e32 v2, exec_hi, v2
	v_ashrrev_i32_e32 v4, 31, v4
	v_and_b32_e32 v2, v2, v15
	v_xor_b32_e32 v15, vcc_hi, v4
	v_xor_b32_e32 v4, vcc_lo, v4
	v_lshlrev_b32_e32 v20, 28, v1
	v_and_b32_e32 v3, v3, v4
	v_cmp_gt_i64_e32 vcc, 0, v[19:20]
	v_not_b32_e32 v4, v20
	v_ashrrev_i32_e32 v4, 31, v4
	v_and_b32_e32 v2, v2, v15
	v_xor_b32_e32 v15, vcc_hi, v4
	v_xor_b32_e32 v4, vcc_lo, v4
	v_lshlrev_b32_e32 v20, 27, v1
	v_and_b32_e32 v3, v3, v4
	v_cmp_gt_i64_e32 vcc, 0, v[19:20]
	v_not_b32_e32 v4, v20
	;; [unrolled: 8-line block ×4, first 2 shown]
	v_ashrrev_i32_e32 v4, 31, v4
	v_lshlrev_b32_e32 v20, 24, v1
	v_and_b32_e32 v2, v2, v15
	v_xor_b32_e32 v15, vcc_hi, v4
	v_xor_b32_e32 v4, vcc_lo, v4
	v_cmp_gt_i64_e32 vcc, 0, v[19:20]
	v_not_b32_e32 v1, v20
	v_ashrrev_i32_e32 v1, 31, v1
	v_and_b32_e32 v3, v3, v4
	v_xor_b32_e32 v4, vcc_hi, v1
	v_xor_b32_e32 v1, vcc_lo, v1
	; wave barrier
	ds_read_b32 v13, v14 offset:16
	v_and_b32_e32 v2, v2, v15
	v_and_b32_e32 v1, v3, v1
	;; [unrolled: 1-line block ×3, first 2 shown]
	v_mbcnt_lo_u32_b32 v3, v1, 0
	v_mbcnt_hi_u32_b32 v15, v2, v3
	v_cmp_ne_u64_e32 vcc, 0, v[1:2]
	v_cmp_eq_u32_e64 s[26:27], 0, v15
	s_and_b64 s[28:29], vcc, s[26:27]
	; wave barrier
	s_and_saveexec_b64 s[26:27], s[28:29]
	s_cbranch_execz .LBB126_12
; %bb.11:                               ;   in Loop: Header=BB126_4 Depth=2
	v_bcnt_u32_b32 v1, v1, 0
	v_bcnt_u32_b32 v1, v2, v1
	s_waitcnt lgkmcnt(0)
	v_add_u32_e32 v1, v13, v1
	ds_write_b32 v14, v1 offset:16
.LBB126_12:                             ;   in Loop: Header=BB126_4 Depth=2
	s_or_b64 exec, exec, s[26:27]
	v_lshrrev_b64 v[1:2], v29, v[31:32]
	v_lshlrev_b32_e32 v2, 4, v1
	v_and_b32_e32 v2, 0xff0, v2
	v_add_u32_e32 v50, v48, v2
	v_and_b32_e32 v2, 1, v1
	v_add_co_u32_e32 v3, vcc, -1, v2
	v_addc_co_u32_e64 v4, s[26:27], 0, -1, vcc
	v_cmp_ne_u32_e32 vcc, 0, v2
	v_lshlrev_b32_e32 v20, 30, v1
	v_xor_b32_e32 v2, vcc_hi, v4
	v_xor_b32_e32 v3, vcc_lo, v3
	v_cmp_gt_i64_e32 vcc, 0, v[19:20]
	v_not_b32_e32 v4, v20
	v_ashrrev_i32_e32 v4, 31, v4
	v_and_b32_e32 v2, exec_hi, v2
	v_xor_b32_e32 v20, vcc_hi, v4
	v_and_b32_e32 v3, exec_lo, v3
	v_xor_b32_e32 v4, vcc_lo, v4
	v_and_b32_e32 v2, v2, v20
	v_lshlrev_b32_e32 v20, 29, v1
	v_and_b32_e32 v3, v3, v4
	v_cmp_gt_i64_e32 vcc, 0, v[19:20]
	v_not_b32_e32 v4, v20
	v_ashrrev_i32_e32 v4, 31, v4
	v_xor_b32_e32 v20, vcc_hi, v4
	v_xor_b32_e32 v4, vcc_lo, v4
	v_and_b32_e32 v2, v2, v20
	v_lshlrev_b32_e32 v20, 28, v1
	v_and_b32_e32 v3, v3, v4
	v_cmp_gt_i64_e32 vcc, 0, v[19:20]
	v_not_b32_e32 v4, v20
	v_ashrrev_i32_e32 v4, 31, v4
	v_xor_b32_e32 v20, vcc_hi, v4
	;; [unrolled: 8-line block ×5, first 2 shown]
	v_and_b32_e32 v2, v2, v20
	v_lshlrev_b32_e32 v20, 24, v1
	v_xor_b32_e32 v4, vcc_lo, v4
	v_cmp_gt_i64_e32 vcc, 0, v[19:20]
	v_not_b32_e32 v1, v20
	v_ashrrev_i32_e32 v1, 31, v1
	v_and_b32_e32 v3, v3, v4
	v_xor_b32_e32 v4, vcc_hi, v1
	v_xor_b32_e32 v1, vcc_lo, v1
	; wave barrier
	ds_read_b32 v16, v50 offset:16
	v_and_b32_e32 v1, v3, v1
	v_and_b32_e32 v2, v2, v4
	v_mbcnt_lo_u32_b32 v3, v1, 0
	v_mbcnt_hi_u32_b32 v51, v2, v3
	v_cmp_ne_u64_e32 vcc, 0, v[1:2]
	v_cmp_eq_u32_e64 s[26:27], 0, v51
	s_and_b64 s[28:29], vcc, s[26:27]
	; wave barrier
	s_and_saveexec_b64 s[26:27], s[28:29]
	s_cbranch_execz .LBB126_14
; %bb.13:                               ;   in Loop: Header=BB126_4 Depth=2
	v_bcnt_u32_b32 v1, v1, 0
	v_bcnt_u32_b32 v1, v2, v1
	s_waitcnt lgkmcnt(0)
	v_add_u32_e32 v1, v16, v1
	ds_write_b32 v50, v1 offset:16
.LBB126_14:                             ;   in Loop: Header=BB126_4 Depth=2
	s_or_b64 exec, exec, s[26:27]
	v_lshrrev_b64 v[1:2], v29, v[27:28]
	v_lshlrev_b32_e32 v2, 4, v1
	v_and_b32_e32 v2, 0xff0, v2
	v_add_u32_e32 v53, v48, v2
	v_and_b32_e32 v2, 1, v1
	v_add_co_u32_e32 v3, vcc, -1, v2
	v_addc_co_u32_e64 v4, s[26:27], 0, -1, vcc
	v_cmp_ne_u32_e32 vcc, 0, v2
	v_lshlrev_b32_e32 v20, 30, v1
	v_xor_b32_e32 v2, vcc_hi, v4
	v_xor_b32_e32 v3, vcc_lo, v3
	v_cmp_gt_i64_e32 vcc, 0, v[19:20]
	v_not_b32_e32 v4, v20
	v_ashrrev_i32_e32 v4, 31, v4
	v_and_b32_e32 v2, exec_hi, v2
	v_xor_b32_e32 v20, vcc_hi, v4
	v_and_b32_e32 v3, exec_lo, v3
	v_xor_b32_e32 v4, vcc_lo, v4
	v_and_b32_e32 v2, v2, v20
	v_lshlrev_b32_e32 v20, 29, v1
	v_and_b32_e32 v3, v3, v4
	v_cmp_gt_i64_e32 vcc, 0, v[19:20]
	v_not_b32_e32 v4, v20
	v_ashrrev_i32_e32 v4, 31, v4
	v_xor_b32_e32 v20, vcc_hi, v4
	v_xor_b32_e32 v4, vcc_lo, v4
	v_and_b32_e32 v2, v2, v20
	v_lshlrev_b32_e32 v20, 28, v1
	v_and_b32_e32 v3, v3, v4
	v_cmp_gt_i64_e32 vcc, 0, v[19:20]
	v_not_b32_e32 v4, v20
	v_ashrrev_i32_e32 v4, 31, v4
	v_xor_b32_e32 v20, vcc_hi, v4
	;; [unrolled: 8-line block ×5, first 2 shown]
	v_and_b32_e32 v2, v2, v20
	v_lshlrev_b32_e32 v20, 24, v1
	v_xor_b32_e32 v4, vcc_lo, v4
	v_cmp_gt_i64_e32 vcc, 0, v[19:20]
	v_not_b32_e32 v1, v20
	v_ashrrev_i32_e32 v1, 31, v1
	v_and_b32_e32 v3, v3, v4
	v_xor_b32_e32 v4, vcc_hi, v1
	v_xor_b32_e32 v1, vcc_lo, v1
	; wave barrier
	ds_read_b32 v52, v53 offset:16
	v_and_b32_e32 v1, v3, v1
	v_and_b32_e32 v2, v2, v4
	v_mbcnt_lo_u32_b32 v3, v1, 0
	v_mbcnt_hi_u32_b32 v54, v2, v3
	v_cmp_ne_u64_e32 vcc, 0, v[1:2]
	v_cmp_eq_u32_e64 s[26:27], 0, v54
	s_and_b64 s[28:29], vcc, s[26:27]
	; wave barrier
	s_and_saveexec_b64 s[26:27], s[28:29]
	s_cbranch_execz .LBB126_16
; %bb.15:                               ;   in Loop: Header=BB126_4 Depth=2
	v_bcnt_u32_b32 v1, v1, 0
	v_bcnt_u32_b32 v1, v2, v1
	s_waitcnt lgkmcnt(0)
	v_add_u32_e32 v1, v52, v1
	ds_write_b32 v53, v1 offset:16
.LBB126_16:                             ;   in Loop: Header=BB126_4 Depth=2
	s_or_b64 exec, exec, s[26:27]
	v_lshrrev_b64 v[1:2], v29, v[25:26]
	v_lshlrev_b32_e32 v2, 4, v1
	v_and_b32_e32 v2, 0xff0, v2
	v_add_u32_e32 v56, v48, v2
	v_and_b32_e32 v2, 1, v1
	v_add_co_u32_e32 v3, vcc, -1, v2
	v_addc_co_u32_e64 v4, s[26:27], 0, -1, vcc
	v_cmp_ne_u32_e32 vcc, 0, v2
	v_lshlrev_b32_e32 v20, 30, v1
	v_xor_b32_e32 v2, vcc_hi, v4
	v_xor_b32_e32 v3, vcc_lo, v3
	v_cmp_gt_i64_e32 vcc, 0, v[19:20]
	v_not_b32_e32 v4, v20
	v_ashrrev_i32_e32 v4, 31, v4
	v_and_b32_e32 v2, exec_hi, v2
	v_xor_b32_e32 v20, vcc_hi, v4
	v_and_b32_e32 v3, exec_lo, v3
	v_xor_b32_e32 v4, vcc_lo, v4
	v_and_b32_e32 v2, v2, v20
	v_lshlrev_b32_e32 v20, 29, v1
	v_and_b32_e32 v3, v3, v4
	v_cmp_gt_i64_e32 vcc, 0, v[19:20]
	v_not_b32_e32 v4, v20
	v_ashrrev_i32_e32 v4, 31, v4
	v_xor_b32_e32 v20, vcc_hi, v4
	v_xor_b32_e32 v4, vcc_lo, v4
	v_and_b32_e32 v2, v2, v20
	v_lshlrev_b32_e32 v20, 28, v1
	v_and_b32_e32 v3, v3, v4
	v_cmp_gt_i64_e32 vcc, 0, v[19:20]
	v_not_b32_e32 v4, v20
	v_ashrrev_i32_e32 v4, 31, v4
	v_xor_b32_e32 v20, vcc_hi, v4
	;; [unrolled: 8-line block ×5, first 2 shown]
	v_and_b32_e32 v2, v2, v20
	v_lshlrev_b32_e32 v20, 24, v1
	v_xor_b32_e32 v4, vcc_lo, v4
	v_cmp_gt_i64_e32 vcc, 0, v[19:20]
	v_not_b32_e32 v1, v20
	v_ashrrev_i32_e32 v1, 31, v1
	v_and_b32_e32 v3, v3, v4
	v_xor_b32_e32 v4, vcc_hi, v1
	v_xor_b32_e32 v1, vcc_lo, v1
	; wave barrier
	ds_read_b32 v55, v56 offset:16
	v_and_b32_e32 v1, v3, v1
	v_and_b32_e32 v2, v2, v4
	v_mbcnt_lo_u32_b32 v3, v1, 0
	v_mbcnt_hi_u32_b32 v57, v2, v3
	v_cmp_ne_u64_e32 vcc, 0, v[1:2]
	v_cmp_eq_u32_e64 s[26:27], 0, v57
	s_and_b64 s[28:29], vcc, s[26:27]
	; wave barrier
	s_and_saveexec_b64 s[26:27], s[28:29]
	s_cbranch_execz .LBB126_18
; %bb.17:                               ;   in Loop: Header=BB126_4 Depth=2
	v_bcnt_u32_b32 v1, v1, 0
	v_bcnt_u32_b32 v1, v2, v1
	s_waitcnt lgkmcnt(0)
	v_add_u32_e32 v1, v55, v1
	ds_write_b32 v56, v1 offset:16
.LBB126_18:                             ;   in Loop: Header=BB126_4 Depth=2
	s_or_b64 exec, exec, s[26:27]
	v_lshrrev_b64 v[1:2], v29, v[17:18]
	v_lshlrev_b32_e32 v2, 4, v1
	v_and_b32_e32 v2, 0xff0, v2
	v_add_u32_e32 v59, v48, v2
	v_and_b32_e32 v2, 1, v1
	v_add_co_u32_e32 v3, vcc, -1, v2
	v_addc_co_u32_e64 v4, s[26:27], 0, -1, vcc
	v_cmp_ne_u32_e32 vcc, 0, v2
	v_lshlrev_b32_e32 v20, 30, v1
	v_xor_b32_e32 v2, vcc_hi, v4
	v_xor_b32_e32 v3, vcc_lo, v3
	v_cmp_gt_i64_e32 vcc, 0, v[19:20]
	v_not_b32_e32 v4, v20
	v_ashrrev_i32_e32 v4, 31, v4
	v_and_b32_e32 v2, exec_hi, v2
	v_xor_b32_e32 v20, vcc_hi, v4
	v_and_b32_e32 v3, exec_lo, v3
	v_xor_b32_e32 v4, vcc_lo, v4
	v_and_b32_e32 v2, v2, v20
	v_lshlrev_b32_e32 v20, 29, v1
	v_and_b32_e32 v3, v3, v4
	v_cmp_gt_i64_e32 vcc, 0, v[19:20]
	v_not_b32_e32 v4, v20
	v_ashrrev_i32_e32 v4, 31, v4
	v_xor_b32_e32 v20, vcc_hi, v4
	v_xor_b32_e32 v4, vcc_lo, v4
	v_and_b32_e32 v2, v2, v20
	v_lshlrev_b32_e32 v20, 28, v1
	v_and_b32_e32 v3, v3, v4
	v_cmp_gt_i64_e32 vcc, 0, v[19:20]
	v_not_b32_e32 v4, v20
	v_ashrrev_i32_e32 v4, 31, v4
	v_xor_b32_e32 v20, vcc_hi, v4
	;; [unrolled: 8-line block ×5, first 2 shown]
	v_and_b32_e32 v2, v2, v20
	v_lshlrev_b32_e32 v20, 24, v1
	v_xor_b32_e32 v4, vcc_lo, v4
	v_cmp_gt_i64_e32 vcc, 0, v[19:20]
	v_not_b32_e32 v1, v20
	v_ashrrev_i32_e32 v1, 31, v1
	v_and_b32_e32 v3, v3, v4
	v_xor_b32_e32 v4, vcc_hi, v1
	v_xor_b32_e32 v1, vcc_lo, v1
	; wave barrier
	ds_read_b32 v58, v59 offset:16
	v_and_b32_e32 v1, v3, v1
	v_and_b32_e32 v2, v2, v4
	v_mbcnt_lo_u32_b32 v3, v1, 0
	v_mbcnt_hi_u32_b32 v20, v2, v3
	v_cmp_ne_u64_e32 vcc, 0, v[1:2]
	v_cmp_eq_u32_e64 s[26:27], 0, v20
	s_and_b64 s[28:29], vcc, s[26:27]
	; wave barrier
	s_and_saveexec_b64 s[26:27], s[28:29]
	s_cbranch_execz .LBB126_20
; %bb.19:                               ;   in Loop: Header=BB126_4 Depth=2
	v_bcnt_u32_b32 v1, v1, 0
	v_bcnt_u32_b32 v1, v2, v1
	s_waitcnt lgkmcnt(0)
	v_add_u32_e32 v1, v58, v1
	ds_write_b32 v59, v1 offset:16
.LBB126_20:                             ;   in Loop: Header=BB126_4 Depth=2
	s_or_b64 exec, exec, s[26:27]
	; wave barrier
	s_waitcnt lgkmcnt(0)
	s_barrier
	ds_read2_b64 v[1:4], v43 offset0:2 offset1:3
	s_waitcnt lgkmcnt(0)
	v_add_u32_e32 v60, v2, v1
	v_add3_u32 v4, v60, v3, v4
	s_nop 1
	v_mov_b32_dpp v60, v4 row_shr:1 row_mask:0xf bank_mask:0xf
	v_cndmask_b32_e64 v60, v60, 0, s[0:1]
	v_add_u32_e32 v4, v60, v4
	s_nop 1
	v_mov_b32_dpp v60, v4 row_shr:2 row_mask:0xf bank_mask:0xf
	v_cndmask_b32_e64 v60, 0, v60, s[2:3]
	v_add_u32_e32 v4, v4, v60
	;; [unrolled: 4-line block ×4, first 2 shown]
	s_nop 1
	v_mov_b32_dpp v60, v4 row_bcast:15 row_mask:0xf bank_mask:0xf
	v_cndmask_b32_e64 v60, v60, 0, s[8:9]
	v_add_u32_e32 v4, v4, v60
	s_nop 1
	v_mov_b32_dpp v60, v4 row_bcast:31 row_mask:0xf bank_mask:0xf
	v_cndmask_b32_e64 v60, 0, v60, s[10:11]
	v_add_u32_e32 v4, v4, v60
	s_and_saveexec_b64 s[26:27], s[12:13]
; %bb.21:                               ;   in Loop: Header=BB126_4 Depth=2
	ds_write_b32 v45, v4
; %bb.22:                               ;   in Loop: Header=BB126_4 Depth=2
	s_or_b64 exec, exec, s[26:27]
	s_waitcnt lgkmcnt(0)
	s_barrier
	s_and_saveexec_b64 s[26:27], s[14:15]
	s_cbranch_execz .LBB126_24
; %bb.23:                               ;   in Loop: Header=BB126_4 Depth=2
	ds_read_b32 v60, v46
	s_waitcnt lgkmcnt(0)
	s_nop 0
	v_mov_b32_dpp v61, v60 row_shr:1 row_mask:0xf bank_mask:0xf
	v_cndmask_b32_e64 v61, v61, 0, s[22:23]
	v_add_u32_e32 v60, v61, v60
	s_nop 1
	v_mov_b32_dpp v61, v60 row_shr:2 row_mask:0xf bank_mask:0xf
	v_cndmask_b32_e64 v61, 0, v61, s[24:25]
	v_add_u32_e32 v60, v60, v61
	ds_write_b32 v46, v60
.LBB126_24:                             ;   in Loop: Header=BB126_4 Depth=2
	s_or_b64 exec, exec, s[26:27]
	v_mov_b32_e32 v60, 0
	s_waitcnt lgkmcnt(0)
	s_barrier
	s_and_saveexec_b64 s[26:27], s[16:17]
; %bb.25:                               ;   in Loop: Header=BB126_4 Depth=2
	ds_read_b32 v60, v47
; %bb.26:                               ;   in Loop: Header=BB126_4 Depth=2
	s_or_b64 exec, exec, s[26:27]
	s_waitcnt lgkmcnt(0)
	v_add_u32_e32 v4, v60, v4
	ds_bpermute_b32 v4, v44, v4
	v_cmp_lt_u32_e32 vcc, 55, v29
	s_and_b64 vcc, exec, vcc
	s_mov_b64 s[26:27], -1
	s_waitcnt lgkmcnt(0)
	v_cndmask_b32_e64 v4, v4, v60, s[18:19]
	v_cndmask_b32_e64 v60, v4, 0, s[20:21]
	v_add_u32_e32 v61, v60, v1
	v_add_u32_e32 v1, v61, v2
	;; [unrolled: 1-line block ×3, first 2 shown]
	ds_write2_b64 v43, v[60:61], v[1:2] offset0:2 offset1:3
	s_waitcnt lgkmcnt(0)
	s_barrier
	ds_read_b32 v1, v5 offset:16
	ds_read_b32 v2, v8 offset:16
	;; [unrolled: 1-line block ×8, first 2 shown]
	s_waitcnt lgkmcnt(7)
	v_add_u32_e32 v61, v1, v6
	s_waitcnt lgkmcnt(6)
	v_add3_u32 v60, v9, v7, v2
	s_waitcnt lgkmcnt(5)
	v_add3_u32 v59, v12, v10, v3
	;; [unrolled: 2-line block ×7, first 2 shown]
                                        ; implicit-def: $vgpr15_vgpr16
                                        ; implicit-def: $vgpr11_vgpr12
                                        ; implicit-def: $vgpr7_vgpr8
                                        ; implicit-def: $vgpr3_vgpr4
	s_cbranch_vccnz .LBB126_3
; %bb.27:                               ;   in Loop: Header=BB126_4 Depth=2
	v_lshlrev_b32_e32 v1, 3, v61
	s_barrier
	ds_write_b64 v1, v[39:40]
	v_lshlrev_b32_e32 v1, 3, v60
	ds_write_b64 v1, v[37:38]
	v_lshlrev_b32_e32 v1, 3, v59
	;; [unrolled: 2-line block ×7, first 2 shown]
	ds_write_b64 v1, v[17:18]
	s_waitcnt lgkmcnt(0)
	s_barrier
	ds_read2st64_b64 v[1:4], v42 offset1:1
	ds_read2st64_b64 v[5:8], v42 offset0:2 offset1:3
	ds_read2st64_b64 v[9:12], v42 offset0:4 offset1:5
	;; [unrolled: 1-line block ×3, first 2 shown]
	v_add_co_u32_e32 v29, vcc, 8, v29
	v_addc_co_u32_e32 v30, vcc, 0, v30, vcc
	s_mov_b64 s[26:27], 0
	s_waitcnt lgkmcnt(0)
	s_barrier
	s_branch .LBB126_3
.LBB126_28:
	s_add_u32 s0, s30, s36
	s_addc_u32 s1, s31, s37
	v_lshlrev_b32_e32 v0, 3, v0
	v_mov_b32_e32 v1, s1
	v_add_co_u32_e32 v2, vcc, s0, v0
	v_addc_co_u32_e32 v19, vcc, 0, v1, vcc
	global_store_dwordx2 v0, v[15:16], s[0:1]
	global_store_dwordx2 v0, v[17:18], s[0:1] offset:2048
	v_add_co_u32_e32 v0, vcc, 0x1000, v2
	v_addc_co_u32_e32 v1, vcc, 0, v19, vcc
	global_store_dwordx2 v[0:1], v[11:12], off
	global_store_dwordx2 v[0:1], v[13:14], off offset:2048
	v_add_co_u32_e32 v0, vcc, 0x2000, v2
	v_addc_co_u32_e32 v1, vcc, 0, v19, vcc
	global_store_dwordx2 v[0:1], v[7:8], off
	global_store_dwordx2 v[0:1], v[9:10], off offset:2048
	;; [unrolled: 4-line block ×3, first 2 shown]
	s_endpgm
	.section	.rodata,"a",@progbits
	.p2align	6, 0x0
	.amdhsa_kernel _Z16sort_keys_kernelI22helper_blocked_blockedxLj256ELj8ELj10EEvPKT0_PS1_
		.amdhsa_group_segment_fixed_size 16384
		.amdhsa_private_segment_fixed_size 0
		.amdhsa_kernarg_size 272
		.amdhsa_user_sgpr_count 6
		.amdhsa_user_sgpr_private_segment_buffer 1
		.amdhsa_user_sgpr_dispatch_ptr 0
		.amdhsa_user_sgpr_queue_ptr 0
		.amdhsa_user_sgpr_kernarg_segment_ptr 1
		.amdhsa_user_sgpr_dispatch_id 0
		.amdhsa_user_sgpr_flat_scratch_init 0
		.amdhsa_user_sgpr_private_segment_size 0
		.amdhsa_uses_dynamic_stack 0
		.amdhsa_system_sgpr_private_segment_wavefront_offset 0
		.amdhsa_system_sgpr_workgroup_id_x 1
		.amdhsa_system_sgpr_workgroup_id_y 0
		.amdhsa_system_sgpr_workgroup_id_z 0
		.amdhsa_system_sgpr_workgroup_info 0
		.amdhsa_system_vgpr_workitem_id 2
		.amdhsa_next_free_vgpr 62
		.amdhsa_next_free_sgpr 98
		.amdhsa_reserve_vcc 1
		.amdhsa_reserve_flat_scratch 0
		.amdhsa_float_round_mode_32 0
		.amdhsa_float_round_mode_16_64 0
		.amdhsa_float_denorm_mode_32 3
		.amdhsa_float_denorm_mode_16_64 3
		.amdhsa_dx10_clamp 1
		.amdhsa_ieee_mode 1
		.amdhsa_fp16_overflow 0
		.amdhsa_exception_fp_ieee_invalid_op 0
		.amdhsa_exception_fp_denorm_src 0
		.amdhsa_exception_fp_ieee_div_zero 0
		.amdhsa_exception_fp_ieee_overflow 0
		.amdhsa_exception_fp_ieee_underflow 0
		.amdhsa_exception_fp_ieee_inexact 0
		.amdhsa_exception_int_div_zero 0
	.end_amdhsa_kernel
	.section	.text._Z16sort_keys_kernelI22helper_blocked_blockedxLj256ELj8ELj10EEvPKT0_PS1_,"axG",@progbits,_Z16sort_keys_kernelI22helper_blocked_blockedxLj256ELj8ELj10EEvPKT0_PS1_,comdat
.Lfunc_end126:
	.size	_Z16sort_keys_kernelI22helper_blocked_blockedxLj256ELj8ELj10EEvPKT0_PS1_, .Lfunc_end126-_Z16sort_keys_kernelI22helper_blocked_blockedxLj256ELj8ELj10EEvPKT0_PS1_
                                        ; -- End function
	.set _Z16sort_keys_kernelI22helper_blocked_blockedxLj256ELj8ELj10EEvPKT0_PS1_.num_vgpr, 62
	.set _Z16sort_keys_kernelI22helper_blocked_blockedxLj256ELj8ELj10EEvPKT0_PS1_.num_agpr, 0
	.set _Z16sort_keys_kernelI22helper_blocked_blockedxLj256ELj8ELj10EEvPKT0_PS1_.numbered_sgpr, 38
	.set _Z16sort_keys_kernelI22helper_blocked_blockedxLj256ELj8ELj10EEvPKT0_PS1_.num_named_barrier, 0
	.set _Z16sort_keys_kernelI22helper_blocked_blockedxLj256ELj8ELj10EEvPKT0_PS1_.private_seg_size, 0
	.set _Z16sort_keys_kernelI22helper_blocked_blockedxLj256ELj8ELj10EEvPKT0_PS1_.uses_vcc, 1
	.set _Z16sort_keys_kernelI22helper_blocked_blockedxLj256ELj8ELj10EEvPKT0_PS1_.uses_flat_scratch, 0
	.set _Z16sort_keys_kernelI22helper_blocked_blockedxLj256ELj8ELj10EEvPKT0_PS1_.has_dyn_sized_stack, 0
	.set _Z16sort_keys_kernelI22helper_blocked_blockedxLj256ELj8ELj10EEvPKT0_PS1_.has_recursion, 0
	.set _Z16sort_keys_kernelI22helper_blocked_blockedxLj256ELj8ELj10EEvPKT0_PS1_.has_indirect_call, 0
	.section	.AMDGPU.csdata,"",@progbits
; Kernel info:
; codeLenInByte = 4708
; TotalNumSgprs: 42
; NumVgprs: 62
; ScratchSize: 0
; MemoryBound: 0
; FloatMode: 240
; IeeeMode: 1
; LDSByteSize: 16384 bytes/workgroup (compile time only)
; SGPRBlocks: 12
; VGPRBlocks: 15
; NumSGPRsForWavesPerEU: 102
; NumVGPRsForWavesPerEU: 62
; Occupancy: 4
; WaveLimiterHint : 1
; COMPUTE_PGM_RSRC2:SCRATCH_EN: 0
; COMPUTE_PGM_RSRC2:USER_SGPR: 6
; COMPUTE_PGM_RSRC2:TRAP_HANDLER: 0
; COMPUTE_PGM_RSRC2:TGID_X_EN: 1
; COMPUTE_PGM_RSRC2:TGID_Y_EN: 0
; COMPUTE_PGM_RSRC2:TGID_Z_EN: 0
; COMPUTE_PGM_RSRC2:TIDIG_COMP_CNT: 2
	.section	.text._Z17sort_pairs_kernelI22helper_blocked_blockedxLj256ELj8ELj10EEvPKT0_PS1_,"axG",@progbits,_Z17sort_pairs_kernelI22helper_blocked_blockedxLj256ELj8ELj10EEvPKT0_PS1_,comdat
	.protected	_Z17sort_pairs_kernelI22helper_blocked_blockedxLj256ELj8ELj10EEvPKT0_PS1_ ; -- Begin function _Z17sort_pairs_kernelI22helper_blocked_blockedxLj256ELj8ELj10EEvPKT0_PS1_
	.globl	_Z17sort_pairs_kernelI22helper_blocked_blockedxLj256ELj8ELj10EEvPKT0_PS1_
	.p2align	8
	.type	_Z17sort_pairs_kernelI22helper_blocked_blockedxLj256ELj8ELj10EEvPKT0_PS1_,@function
_Z17sort_pairs_kernelI22helper_blocked_blockedxLj256ELj8ELj10EEvPKT0_PS1_: ; @_Z17sort_pairs_kernelI22helper_blocked_blockedxLj256ELj8ELj10EEvPKT0_PS1_
; %bb.0:
	s_load_dwordx4 s[28:31], s[4:5], 0x0
	s_load_dword s8, s[4:5], 0x1c
	s_lshl_b32 s36, s6, 11
	s_mov_b32 s37, 0
	s_lshl_b64 s[34:35], s[36:37], 3
	s_waitcnt lgkmcnt(0)
	s_add_u32 s0, s28, s34
	s_addc_u32 s1, s29, s35
	v_lshlrev_b32_e32 v3, 3, v0
	v_mov_b32_e32 v4, s1
	v_add_co_u32_e32 v19, vcc, s0, v3
	v_addc_co_u32_e32 v20, vcc, 0, v4, vcc
	global_load_dwordx2 v[11:12], v3, s[0:1]
	global_load_dwordx2 v[13:14], v3, s[0:1] offset:2048
	s_movk_i32 s1, 0x2000
	v_add_co_u32_e32 v3, vcc, s1, v19
	v_addc_co_u32_e32 v4, vcc, 0, v20, vcc
	global_load_dwordx2 v[15:16], v[3:4], off offset:-4096
	s_movk_i32 s0, 0x1000
	v_add_co_u32_e32 v5, vcc, s0, v19
	v_addc_co_u32_e32 v6, vcc, 0, v20, vcc
	global_load_dwordx2 v[17:18], v[5:6], off offset:2048
	global_load_dwordx2 v[7:8], v[3:4], off
	global_load_dwordx2 v[9:10], v[3:4], off offset:2048
	s_movk_i32 s0, 0x3000
	v_add_co_u32_e32 v19, vcc, s0, v19
	v_addc_co_u32_e32 v20, vcc, 0, v20, vcc
	global_load_dwordx2 v[3:4], v[19:20], off
	global_load_dwordx2 v[5:6], v[19:20], off offset:2048
	v_mbcnt_lo_u32_b32 v19, -1, 0
	v_mbcnt_hi_u32_b32 v36, -1, v19
	v_lshlrev_b32_e32 v19, 6, v0
	s_lshr_b32 s9, s8, 16
	v_and_b32_e32 v19, 0x3000, v19
	s_and_b32 s8, s8, 0xffff
	v_mad_u32_u24 v1, v2, s9, v1
	v_and_b32_e32 v20, 15, v36
	v_lshl_or_b32 v75, v36, 3, v19
	v_mad_u64_u32 v[1:2], s[8:9], v1, s8, v[0:1]
	v_and_b32_e32 v37, 0xc0, v0
	v_cmp_eq_u32_e64 s[0:1], 0, v20
	v_cmp_lt_u32_e64 s[2:3], 1, v20
	v_cmp_lt_u32_e64 s[4:5], 3, v20
	;; [unrolled: 1-line block ×3, first 2 shown]
	v_and_b32_e32 v2, 16, v36
	v_cmp_eq_u32_e64 s[8:9], 0, v2
	v_or_b32_e32 v2, 63, v37
	v_add_lshl_u32 v74, v36, v37, 6
	v_cmp_eq_u32_e64 s[12:13], v0, v2
	v_subrev_co_u32_e64 v2, s[18:19], 1, v36
	v_and_b32_e32 v37, 64, v36
	v_lshlrev_b32_e32 v73, 4, v0
	v_lshrrev_b32_e32 v1, 4, v1
	s_mov_b32 s27, s37
	v_mad_i32_i24 v78, v0, -12, v73
	v_and_b32_e32 v80, 0xffffffc, v1
	v_mul_u32_u24_e32 v1, 60, v0
	s_mov_b32 s36, s37
	s_mov_b32 s26, s37
	v_mov_b32_e32 v40, s27
	v_mov_b32_e32 v35, 0
	v_cmp_lt_u32_e64 s[10:11], 31, v36
	v_cmp_gt_u32_e64 s[14:15], 4, v0
	v_cmp_lt_u32_e64 s[16:17], 63, v0
	v_cmp_eq_u32_e64 s[20:21], 0, v0
	v_mov_b32_e32 v39, s26
	v_add_u32_e32 v81, v78, v1
	s_waitcnt vmcnt(7)
	v_add_co_u32_e32 v31, vcc, 1, v11
	v_addc_co_u32_e32 v32, vcc, 0, v12, vcc
	s_waitcnt vmcnt(6)
	v_add_co_u32_e32 v33, vcc, 1, v13
	v_addc_co_u32_e32 v34, vcc, 0, v14, vcc
	;; [unrolled: 3-line block ×8, first 2 shown]
	v_cmp_lt_i32_e32 vcc, v2, v37
	v_cndmask_b32_e32 v2, v2, v36, vcc
	v_lshlrev_b32_e32 v76, 2, v2
	v_lshrrev_b32_e32 v2, 4, v0
	v_and_b32_e32 v77, 12, v2
	v_and_b32_e32 v2, 3, v36
	v_mov_b32_e32 v38, s37
	v_cmp_eq_u32_e64 s[22:23], 0, v2
	v_cmp_lt_u32_e64 s[24:25], 1, v2
	v_add_u32_e32 v79, -4, v77
	v_mov_b32_e32 v37, s36
	s_branch .LBB127_2
.LBB127_1:                              ;   in Loop: Header=BB127_2 Depth=1
	v_lshlrev_b32_e32 v1, 3, v88
	v_lshlrev_b32_e32 v2, 3, v87
	;; [unrolled: 1-line block ×8, first 2 shown]
	s_barrier
	ds_write_b64 v1, v[71:72]
	ds_write_b64 v2, v[69:70]
	;; [unrolled: 1-line block ×8, first 2 shown]
	s_waitcnt lgkmcnt(0)
	s_barrier
	ds_read2_b64 v[11:14], v81 offset1:1
	ds_read2_b64 v[15:18], v81 offset0:2 offset1:3
	ds_read2_b64 v[7:10], v81 offset0:4 offset1:5
	ds_read2_b64 v[3:6], v81 offset0:6 offset1:7
	s_waitcnt lgkmcnt(0)
	s_barrier
	ds_write_b64 v1, v[59:60]
	ds_write_b64 v2, v[55:56]
	;; [unrolled: 1-line block ×8, first 2 shown]
	s_waitcnt lgkmcnt(0)
	s_barrier
	ds_read2_b64 v[31:34], v81 offset1:1
	ds_read2_b64 v[27:30], v81 offset0:2 offset1:3
	ds_read2_b64 v[23:26], v81 offset0:4 offset1:5
	;; [unrolled: 1-line block ×3, first 2 shown]
	s_add_i32 s37, s37, 1
	v_xor_b32_e32 v12, 0x80000000, v12
	v_xor_b32_e32 v14, 0x80000000, v14
	;; [unrolled: 1-line block ×7, first 2 shown]
	s_cmp_eq_u32 s37, 10
	v_xor_b32_e32 v6, 0x80000000, v6
	s_cbranch_scc1 .LBB127_28
.LBB127_2:                              ; =>This Loop Header: Depth=1
                                        ;     Child Loop BB127_4 Depth 2
	v_xor_b32_e32 v12, 0x80000000, v12
	v_xor_b32_e32 v14, 0x80000000, v14
	;; [unrolled: 1-line block ×8, first 2 shown]
	ds_write2_b64 v74, v[11:12], v[13:14] offset1:1
	ds_write2_b64 v74, v[15:16], v[17:18] offset0:2 offset1:3
	ds_write2_b64 v74, v[7:8], v[9:10] offset0:4 offset1:5
	;; [unrolled: 1-line block ×3, first 2 shown]
	; wave barrier
	ds_read2st64_b64 v[1:4], v75 offset1:1
	ds_read2st64_b64 v[5:8], v75 offset0:2 offset1:3
	ds_read2st64_b64 v[9:12], v75 offset0:4 offset1:5
	;; [unrolled: 1-line block ×3, first 2 shown]
	; wave barrier
	s_waitcnt lgkmcnt(11)
	ds_write2_b64 v74, v[31:32], v[33:34] offset1:1
	s_waitcnt lgkmcnt(11)
	ds_write2_b64 v74, v[27:28], v[29:30] offset0:2 offset1:3
	s_waitcnt lgkmcnt(11)
	ds_write2_b64 v74, v[23:24], v[25:26] offset0:4 offset1:5
	;; [unrolled: 2-line block ×3, first 2 shown]
	; wave barrier
	ds_read2st64_b64 v[17:20], v75 offset1:1
	ds_read2st64_b64 v[21:24], v75 offset0:2 offset1:3
	ds_read2st64_b64 v[25:28], v75 offset0:4 offset1:5
	;; [unrolled: 1-line block ×3, first 2 shown]
	v_mov_b32_e32 v49, 0
	v_mov_b32_e32 v50, 0
	s_waitcnt lgkmcnt(0)
	s_barrier
	s_branch .LBB127_4
.LBB127_3:                              ;   in Loop: Header=BB127_4 Depth=2
	s_andn2_b64 vcc, exec, s[26:27]
	s_cbranch_vccz .LBB127_1
.LBB127_4:                              ;   Parent Loop BB127_2 Depth=1
                                        ; =>  This Inner Loop Header: Depth=2
	v_mov_b32_e32 v72, v2
	v_mov_b32_e32 v71, v1
	v_lshrrev_b64 v[1:2], v49, v[71:72]
	v_mov_b32_e32 v68, v6
	v_lshlrev_b32_e32 v2, 4, v1
	v_and_b32_e32 v2, 0xff0, v2
	v_mov_b32_e32 v67, v5
	v_mov_b32_e32 v70, v4
	v_add_u32_e32 v5, v80, v2
	v_and_b32_e32 v2, 1, v1
	v_mov_b32_e32 v69, v3
	v_add_co_u32_e32 v3, vcc, -1, v2
	v_addc_co_u32_e64 v4, s[26:27], 0, -1, vcc
	v_cmp_ne_u32_e32 vcc, 0, v2
	v_lshlrev_b32_e32 v36, 30, v1
	v_xor_b32_e32 v2, vcc_hi, v4
	v_xor_b32_e32 v3, vcc_lo, v3
	v_cmp_gt_i64_e32 vcc, 0, v[35:36]
	v_not_b32_e32 v4, v36
	v_ashrrev_i32_e32 v4, 31, v4
	v_and_b32_e32 v3, exec_lo, v3
	v_xor_b32_e32 v6, vcc_hi, v4
	v_xor_b32_e32 v4, vcc_lo, v4
	v_lshlrev_b32_e32 v36, 29, v1
	v_and_b32_e32 v3, v3, v4
	v_cmp_gt_i64_e32 vcc, 0, v[35:36]
	v_not_b32_e32 v4, v36
	v_and_b32_e32 v2, exec_hi, v2
	v_ashrrev_i32_e32 v4, 31, v4
	v_and_b32_e32 v2, v2, v6
	v_xor_b32_e32 v6, vcc_hi, v4
	v_xor_b32_e32 v4, vcc_lo, v4
	v_lshlrev_b32_e32 v36, 28, v1
	v_and_b32_e32 v3, v3, v4
	v_cmp_gt_i64_e32 vcc, 0, v[35:36]
	v_not_b32_e32 v4, v36
	v_ashrrev_i32_e32 v4, 31, v4
	v_and_b32_e32 v2, v2, v6
	v_xor_b32_e32 v6, vcc_hi, v4
	v_xor_b32_e32 v4, vcc_lo, v4
	v_lshlrev_b32_e32 v36, 27, v1
	v_and_b32_e32 v3, v3, v4
	v_cmp_gt_i64_e32 vcc, 0, v[35:36]
	v_not_b32_e32 v4, v36
	;; [unrolled: 8-line block ×4, first 2 shown]
	v_ashrrev_i32_e32 v4, 31, v4
	v_lshlrev_b32_e32 v36, 24, v1
	v_and_b32_e32 v2, v2, v6
	v_xor_b32_e32 v6, vcc_hi, v4
	v_xor_b32_e32 v4, vcc_lo, v4
	v_cmp_gt_i64_e32 vcc, 0, v[35:36]
	v_not_b32_e32 v1, v36
	v_ashrrev_i32_e32 v1, 31, v1
	v_and_b32_e32 v3, v3, v4
	v_xor_b32_e32 v4, vcc_hi, v1
	v_xor_b32_e32 v1, vcc_lo, v1
	v_and_b32_e32 v2, v2, v6
	v_and_b32_e32 v1, v3, v1
	;; [unrolled: 1-line block ×3, first 2 shown]
	v_mbcnt_lo_u32_b32 v3, v1, 0
	v_mbcnt_hi_u32_b32 v6, v2, v3
	v_cmp_ne_u64_e32 vcc, 0, v[1:2]
	v_mov_b32_e32 v54, v16
	v_mov_b32_e32 v58, v14
	;; [unrolled: 1-line block ×13, first 2 shown]
	v_cmp_eq_u32_e64 s[26:27], 0, v6
	v_mov_b32_e32 v53, v15
	v_mov_b32_e32 v57, v13
	;; [unrolled: 1-line block ×13, first 2 shown]
	s_and_b64 s[28:29], vcc, s[26:27]
	ds_write2_b64 v73, v[37:38], v[39:40] offset0:2 offset1:3
	s_waitcnt lgkmcnt(0)
	s_barrier
	; wave barrier
	s_and_saveexec_b64 s[26:27], s[28:29]
; %bb.5:                                ;   in Loop: Header=BB127_4 Depth=2
	v_bcnt_u32_b32 v1, v1, 0
	v_bcnt_u32_b32 v1, v2, v1
	ds_write_b32 v5, v1 offset:16
; %bb.6:                                ;   in Loop: Header=BB127_4 Depth=2
	s_or_b64 exec, exec, s[26:27]
	v_lshrrev_b64 v[1:2], v49, v[69:70]
	v_lshlrev_b32_e32 v2, 4, v1
	v_and_b32_e32 v2, 0xff0, v2
	v_add_u32_e32 v8, v80, v2
	v_and_b32_e32 v2, 1, v1
	v_add_co_u32_e32 v3, vcc, -1, v2
	v_addc_co_u32_e64 v4, s[26:27], 0, -1, vcc
	v_cmp_ne_u32_e32 vcc, 0, v2
	v_lshlrev_b32_e32 v36, 30, v1
	v_xor_b32_e32 v2, vcc_hi, v4
	v_xor_b32_e32 v3, vcc_lo, v3
	v_cmp_gt_i64_e32 vcc, 0, v[35:36]
	v_not_b32_e32 v4, v36
	v_ashrrev_i32_e32 v4, 31, v4
	v_and_b32_e32 v3, exec_lo, v3
	v_xor_b32_e32 v9, vcc_hi, v4
	v_xor_b32_e32 v4, vcc_lo, v4
	v_lshlrev_b32_e32 v36, 29, v1
	v_and_b32_e32 v3, v3, v4
	v_cmp_gt_i64_e32 vcc, 0, v[35:36]
	v_not_b32_e32 v4, v36
	v_and_b32_e32 v2, exec_hi, v2
	v_ashrrev_i32_e32 v4, 31, v4
	v_and_b32_e32 v2, v2, v9
	v_xor_b32_e32 v9, vcc_hi, v4
	v_xor_b32_e32 v4, vcc_lo, v4
	v_lshlrev_b32_e32 v36, 28, v1
	v_and_b32_e32 v3, v3, v4
	v_cmp_gt_i64_e32 vcc, 0, v[35:36]
	v_not_b32_e32 v4, v36
	v_ashrrev_i32_e32 v4, 31, v4
	v_and_b32_e32 v2, v2, v9
	v_xor_b32_e32 v9, vcc_hi, v4
	v_xor_b32_e32 v4, vcc_lo, v4
	v_lshlrev_b32_e32 v36, 27, v1
	v_and_b32_e32 v3, v3, v4
	v_cmp_gt_i64_e32 vcc, 0, v[35:36]
	v_not_b32_e32 v4, v36
	;; [unrolled: 8-line block ×4, first 2 shown]
	v_ashrrev_i32_e32 v4, 31, v4
	v_lshlrev_b32_e32 v36, 24, v1
	v_and_b32_e32 v2, v2, v9
	v_xor_b32_e32 v9, vcc_hi, v4
	v_xor_b32_e32 v4, vcc_lo, v4
	v_cmp_gt_i64_e32 vcc, 0, v[35:36]
	v_not_b32_e32 v1, v36
	v_ashrrev_i32_e32 v1, 31, v1
	v_and_b32_e32 v3, v3, v4
	v_xor_b32_e32 v4, vcc_hi, v1
	v_xor_b32_e32 v1, vcc_lo, v1
	; wave barrier
	ds_read_b32 v7, v8 offset:16
	v_and_b32_e32 v2, v2, v9
	v_and_b32_e32 v1, v3, v1
	;; [unrolled: 1-line block ×3, first 2 shown]
	v_mbcnt_lo_u32_b32 v3, v1, 0
	v_mbcnt_hi_u32_b32 v9, v2, v3
	v_cmp_ne_u64_e32 vcc, 0, v[1:2]
	v_cmp_eq_u32_e64 s[26:27], 0, v9
	s_and_b64 s[28:29], vcc, s[26:27]
	; wave barrier
	s_and_saveexec_b64 s[26:27], s[28:29]
	s_cbranch_execz .LBB127_8
; %bb.7:                                ;   in Loop: Header=BB127_4 Depth=2
	v_bcnt_u32_b32 v1, v1, 0
	v_bcnt_u32_b32 v1, v2, v1
	s_waitcnt lgkmcnt(0)
	v_add_u32_e32 v1, v7, v1
	ds_write_b32 v8, v1 offset:16
.LBB127_8:                              ;   in Loop: Header=BB127_4 Depth=2
	s_or_b64 exec, exec, s[26:27]
	v_lshrrev_b64 v[1:2], v49, v[67:68]
	v_lshlrev_b32_e32 v2, 4, v1
	v_and_b32_e32 v2, 0xff0, v2
	v_add_u32_e32 v11, v80, v2
	v_and_b32_e32 v2, 1, v1
	v_add_co_u32_e32 v3, vcc, -1, v2
	v_addc_co_u32_e64 v4, s[26:27], 0, -1, vcc
	v_cmp_ne_u32_e32 vcc, 0, v2
	v_lshlrev_b32_e32 v36, 30, v1
	v_xor_b32_e32 v2, vcc_hi, v4
	v_xor_b32_e32 v3, vcc_lo, v3
	v_cmp_gt_i64_e32 vcc, 0, v[35:36]
	v_not_b32_e32 v4, v36
	v_ashrrev_i32_e32 v4, 31, v4
	v_and_b32_e32 v3, exec_lo, v3
	v_xor_b32_e32 v12, vcc_hi, v4
	v_xor_b32_e32 v4, vcc_lo, v4
	v_lshlrev_b32_e32 v36, 29, v1
	v_and_b32_e32 v3, v3, v4
	v_cmp_gt_i64_e32 vcc, 0, v[35:36]
	v_not_b32_e32 v4, v36
	v_and_b32_e32 v2, exec_hi, v2
	v_ashrrev_i32_e32 v4, 31, v4
	v_and_b32_e32 v2, v2, v12
	v_xor_b32_e32 v12, vcc_hi, v4
	v_xor_b32_e32 v4, vcc_lo, v4
	v_lshlrev_b32_e32 v36, 28, v1
	v_and_b32_e32 v3, v3, v4
	v_cmp_gt_i64_e32 vcc, 0, v[35:36]
	v_not_b32_e32 v4, v36
	v_ashrrev_i32_e32 v4, 31, v4
	v_and_b32_e32 v2, v2, v12
	v_xor_b32_e32 v12, vcc_hi, v4
	v_xor_b32_e32 v4, vcc_lo, v4
	v_lshlrev_b32_e32 v36, 27, v1
	v_and_b32_e32 v3, v3, v4
	v_cmp_gt_i64_e32 vcc, 0, v[35:36]
	v_not_b32_e32 v4, v36
	;; [unrolled: 8-line block ×4, first 2 shown]
	v_ashrrev_i32_e32 v4, 31, v4
	v_lshlrev_b32_e32 v36, 24, v1
	v_and_b32_e32 v2, v2, v12
	v_xor_b32_e32 v12, vcc_hi, v4
	v_xor_b32_e32 v4, vcc_lo, v4
	v_cmp_gt_i64_e32 vcc, 0, v[35:36]
	v_not_b32_e32 v1, v36
	v_ashrrev_i32_e32 v1, 31, v1
	v_and_b32_e32 v3, v3, v4
	v_xor_b32_e32 v4, vcc_hi, v1
	v_xor_b32_e32 v1, vcc_lo, v1
	; wave barrier
	ds_read_b32 v10, v11 offset:16
	v_and_b32_e32 v2, v2, v12
	v_and_b32_e32 v1, v3, v1
	;; [unrolled: 1-line block ×3, first 2 shown]
	v_mbcnt_lo_u32_b32 v3, v1, 0
	v_mbcnt_hi_u32_b32 v12, v2, v3
	v_cmp_ne_u64_e32 vcc, 0, v[1:2]
	v_cmp_eq_u32_e64 s[26:27], 0, v12
	s_and_b64 s[28:29], vcc, s[26:27]
	; wave barrier
	s_and_saveexec_b64 s[26:27], s[28:29]
	s_cbranch_execz .LBB127_10
; %bb.9:                                ;   in Loop: Header=BB127_4 Depth=2
	v_bcnt_u32_b32 v1, v1, 0
	v_bcnt_u32_b32 v1, v2, v1
	s_waitcnt lgkmcnt(0)
	v_add_u32_e32 v1, v10, v1
	ds_write_b32 v11, v1 offset:16
.LBB127_10:                             ;   in Loop: Header=BB127_4 Depth=2
	s_or_b64 exec, exec, s[26:27]
	v_lshrrev_b64 v[1:2], v49, v[65:66]
	v_lshlrev_b32_e32 v2, 4, v1
	v_and_b32_e32 v2, 0xff0, v2
	v_add_u32_e32 v14, v80, v2
	v_and_b32_e32 v2, 1, v1
	v_add_co_u32_e32 v3, vcc, -1, v2
	v_addc_co_u32_e64 v4, s[26:27], 0, -1, vcc
	v_cmp_ne_u32_e32 vcc, 0, v2
	v_lshlrev_b32_e32 v36, 30, v1
	v_xor_b32_e32 v2, vcc_hi, v4
	v_xor_b32_e32 v3, vcc_lo, v3
	v_cmp_gt_i64_e32 vcc, 0, v[35:36]
	v_not_b32_e32 v4, v36
	v_ashrrev_i32_e32 v4, 31, v4
	v_and_b32_e32 v3, exec_lo, v3
	v_xor_b32_e32 v15, vcc_hi, v4
	v_xor_b32_e32 v4, vcc_lo, v4
	v_lshlrev_b32_e32 v36, 29, v1
	v_and_b32_e32 v3, v3, v4
	v_cmp_gt_i64_e32 vcc, 0, v[35:36]
	v_not_b32_e32 v4, v36
	v_and_b32_e32 v2, exec_hi, v2
	v_ashrrev_i32_e32 v4, 31, v4
	v_and_b32_e32 v2, v2, v15
	v_xor_b32_e32 v15, vcc_hi, v4
	v_xor_b32_e32 v4, vcc_lo, v4
	v_lshlrev_b32_e32 v36, 28, v1
	v_and_b32_e32 v3, v3, v4
	v_cmp_gt_i64_e32 vcc, 0, v[35:36]
	v_not_b32_e32 v4, v36
	v_ashrrev_i32_e32 v4, 31, v4
	v_and_b32_e32 v2, v2, v15
	v_xor_b32_e32 v15, vcc_hi, v4
	v_xor_b32_e32 v4, vcc_lo, v4
	v_lshlrev_b32_e32 v36, 27, v1
	v_and_b32_e32 v3, v3, v4
	v_cmp_gt_i64_e32 vcc, 0, v[35:36]
	v_not_b32_e32 v4, v36
	;; [unrolled: 8-line block ×4, first 2 shown]
	v_ashrrev_i32_e32 v4, 31, v4
	v_lshlrev_b32_e32 v36, 24, v1
	v_and_b32_e32 v2, v2, v15
	v_xor_b32_e32 v15, vcc_hi, v4
	v_xor_b32_e32 v4, vcc_lo, v4
	v_cmp_gt_i64_e32 vcc, 0, v[35:36]
	v_not_b32_e32 v1, v36
	v_ashrrev_i32_e32 v1, 31, v1
	v_and_b32_e32 v3, v3, v4
	v_xor_b32_e32 v4, vcc_hi, v1
	v_xor_b32_e32 v1, vcc_lo, v1
	; wave barrier
	ds_read_b32 v13, v14 offset:16
	v_and_b32_e32 v2, v2, v15
	v_and_b32_e32 v1, v3, v1
	;; [unrolled: 1-line block ×3, first 2 shown]
	v_mbcnt_lo_u32_b32 v3, v1, 0
	v_mbcnt_hi_u32_b32 v15, v2, v3
	v_cmp_ne_u64_e32 vcc, 0, v[1:2]
	v_cmp_eq_u32_e64 s[26:27], 0, v15
	s_and_b64 s[28:29], vcc, s[26:27]
	; wave barrier
	s_and_saveexec_b64 s[26:27], s[28:29]
	s_cbranch_execz .LBB127_12
; %bb.11:                               ;   in Loop: Header=BB127_4 Depth=2
	v_bcnt_u32_b32 v1, v1, 0
	v_bcnt_u32_b32 v1, v2, v1
	s_waitcnt lgkmcnt(0)
	v_add_u32_e32 v1, v13, v1
	ds_write_b32 v14, v1 offset:16
.LBB127_12:                             ;   in Loop: Header=BB127_4 Depth=2
	s_or_b64 exec, exec, s[26:27]
	v_lshrrev_b64 v[1:2], v49, v[63:64]
	v_lshlrev_b32_e32 v2, 4, v1
	v_and_b32_e32 v2, 0xff0, v2
	v_add_u32_e32 v17, v80, v2
	v_and_b32_e32 v2, 1, v1
	v_add_co_u32_e32 v3, vcc, -1, v2
	v_addc_co_u32_e64 v4, s[26:27], 0, -1, vcc
	v_cmp_ne_u32_e32 vcc, 0, v2
	v_lshlrev_b32_e32 v36, 30, v1
	v_xor_b32_e32 v2, vcc_hi, v4
	v_xor_b32_e32 v3, vcc_lo, v3
	v_cmp_gt_i64_e32 vcc, 0, v[35:36]
	v_not_b32_e32 v4, v36
	v_ashrrev_i32_e32 v4, 31, v4
	v_and_b32_e32 v3, exec_lo, v3
	v_xor_b32_e32 v18, vcc_hi, v4
	v_xor_b32_e32 v4, vcc_lo, v4
	v_lshlrev_b32_e32 v36, 29, v1
	v_and_b32_e32 v3, v3, v4
	v_cmp_gt_i64_e32 vcc, 0, v[35:36]
	v_not_b32_e32 v4, v36
	v_and_b32_e32 v2, exec_hi, v2
	v_ashrrev_i32_e32 v4, 31, v4
	v_and_b32_e32 v2, v2, v18
	v_xor_b32_e32 v18, vcc_hi, v4
	v_xor_b32_e32 v4, vcc_lo, v4
	v_lshlrev_b32_e32 v36, 28, v1
	v_and_b32_e32 v3, v3, v4
	v_cmp_gt_i64_e32 vcc, 0, v[35:36]
	v_not_b32_e32 v4, v36
	v_ashrrev_i32_e32 v4, 31, v4
	v_and_b32_e32 v2, v2, v18
	v_xor_b32_e32 v18, vcc_hi, v4
	v_xor_b32_e32 v4, vcc_lo, v4
	v_lshlrev_b32_e32 v36, 27, v1
	v_and_b32_e32 v3, v3, v4
	v_cmp_gt_i64_e32 vcc, 0, v[35:36]
	v_not_b32_e32 v4, v36
	v_ashrrev_i32_e32 v4, 31, v4
	v_and_b32_e32 v2, v2, v18
	v_xor_b32_e32 v18, vcc_hi, v4
	v_xor_b32_e32 v4, vcc_lo, v4
	v_lshlrev_b32_e32 v36, 26, v1
	v_and_b32_e32 v3, v3, v4
	v_cmp_gt_i64_e32 vcc, 0, v[35:36]
	v_not_b32_e32 v4, v36
	v_ashrrev_i32_e32 v4, 31, v4
	v_and_b32_e32 v2, v2, v18
	v_xor_b32_e32 v18, vcc_hi, v4
	v_xor_b32_e32 v4, vcc_lo, v4
	v_lshlrev_b32_e32 v36, 25, v1
	v_and_b32_e32 v3, v3, v4
	v_cmp_gt_i64_e32 vcc, 0, v[35:36]
	v_not_b32_e32 v4, v36
	v_ashrrev_i32_e32 v4, 31, v4
	v_lshlrev_b32_e32 v36, 24, v1
	v_and_b32_e32 v2, v2, v18
	v_xor_b32_e32 v18, vcc_hi, v4
	v_xor_b32_e32 v4, vcc_lo, v4
	v_cmp_gt_i64_e32 vcc, 0, v[35:36]
	v_not_b32_e32 v1, v36
	v_ashrrev_i32_e32 v1, 31, v1
	v_and_b32_e32 v3, v3, v4
	v_xor_b32_e32 v4, vcc_hi, v1
	v_xor_b32_e32 v1, vcc_lo, v1
	; wave barrier
	ds_read_b32 v16, v17 offset:16
	v_and_b32_e32 v2, v2, v18
	v_and_b32_e32 v1, v3, v1
	;; [unrolled: 1-line block ×3, first 2 shown]
	v_mbcnt_lo_u32_b32 v3, v1, 0
	v_mbcnt_hi_u32_b32 v18, v2, v3
	v_cmp_ne_u64_e32 vcc, 0, v[1:2]
	v_cmp_eq_u32_e64 s[26:27], 0, v18
	s_and_b64 s[28:29], vcc, s[26:27]
	; wave barrier
	s_and_saveexec_b64 s[26:27], s[28:29]
	s_cbranch_execz .LBB127_14
; %bb.13:                               ;   in Loop: Header=BB127_4 Depth=2
	v_bcnt_u32_b32 v1, v1, 0
	v_bcnt_u32_b32 v1, v2, v1
	s_waitcnt lgkmcnt(0)
	v_add_u32_e32 v1, v16, v1
	ds_write_b32 v17, v1 offset:16
.LBB127_14:                             ;   in Loop: Header=BB127_4 Depth=2
	s_or_b64 exec, exec, s[26:27]
	v_lshrrev_b64 v[1:2], v49, v[61:62]
	v_lshlrev_b32_e32 v2, 4, v1
	v_and_b32_e32 v2, 0xff0, v2
	v_add_u32_e32 v20, v80, v2
	v_and_b32_e32 v2, 1, v1
	v_add_co_u32_e32 v3, vcc, -1, v2
	v_addc_co_u32_e64 v4, s[26:27], 0, -1, vcc
	v_cmp_ne_u32_e32 vcc, 0, v2
	v_lshlrev_b32_e32 v36, 30, v1
	v_xor_b32_e32 v2, vcc_hi, v4
	v_xor_b32_e32 v3, vcc_lo, v3
	v_cmp_gt_i64_e32 vcc, 0, v[35:36]
	v_not_b32_e32 v4, v36
	v_ashrrev_i32_e32 v4, 31, v4
	v_and_b32_e32 v3, exec_lo, v3
	v_xor_b32_e32 v21, vcc_hi, v4
	v_xor_b32_e32 v4, vcc_lo, v4
	v_lshlrev_b32_e32 v36, 29, v1
	v_and_b32_e32 v3, v3, v4
	v_cmp_gt_i64_e32 vcc, 0, v[35:36]
	v_not_b32_e32 v4, v36
	v_and_b32_e32 v2, exec_hi, v2
	v_ashrrev_i32_e32 v4, 31, v4
	v_and_b32_e32 v2, v2, v21
	v_xor_b32_e32 v21, vcc_hi, v4
	v_xor_b32_e32 v4, vcc_lo, v4
	v_lshlrev_b32_e32 v36, 28, v1
	v_and_b32_e32 v3, v3, v4
	v_cmp_gt_i64_e32 vcc, 0, v[35:36]
	v_not_b32_e32 v4, v36
	v_ashrrev_i32_e32 v4, 31, v4
	v_and_b32_e32 v2, v2, v21
	v_xor_b32_e32 v21, vcc_hi, v4
	v_xor_b32_e32 v4, vcc_lo, v4
	v_lshlrev_b32_e32 v36, 27, v1
	v_and_b32_e32 v3, v3, v4
	v_cmp_gt_i64_e32 vcc, 0, v[35:36]
	v_not_b32_e32 v4, v36
	;; [unrolled: 8-line block ×4, first 2 shown]
	v_ashrrev_i32_e32 v4, 31, v4
	v_lshlrev_b32_e32 v36, 24, v1
	v_and_b32_e32 v2, v2, v21
	v_xor_b32_e32 v21, vcc_hi, v4
	v_xor_b32_e32 v4, vcc_lo, v4
	v_cmp_gt_i64_e32 vcc, 0, v[35:36]
	v_not_b32_e32 v1, v36
	v_ashrrev_i32_e32 v1, 31, v1
	v_and_b32_e32 v3, v3, v4
	v_xor_b32_e32 v4, vcc_hi, v1
	v_xor_b32_e32 v1, vcc_lo, v1
	; wave barrier
	ds_read_b32 v19, v20 offset:16
	v_and_b32_e32 v2, v2, v21
	v_and_b32_e32 v1, v3, v1
	;; [unrolled: 1-line block ×3, first 2 shown]
	v_mbcnt_lo_u32_b32 v3, v1, 0
	v_mbcnt_hi_u32_b32 v21, v2, v3
	v_cmp_ne_u64_e32 vcc, 0, v[1:2]
	v_cmp_eq_u32_e64 s[26:27], 0, v21
	s_and_b64 s[28:29], vcc, s[26:27]
	; wave barrier
	s_and_saveexec_b64 s[26:27], s[28:29]
	s_cbranch_execz .LBB127_16
; %bb.15:                               ;   in Loop: Header=BB127_4 Depth=2
	v_bcnt_u32_b32 v1, v1, 0
	v_bcnt_u32_b32 v1, v2, v1
	s_waitcnt lgkmcnt(0)
	v_add_u32_e32 v1, v19, v1
	ds_write_b32 v20, v1 offset:16
.LBB127_16:                             ;   in Loop: Header=BB127_4 Depth=2
	s_or_b64 exec, exec, s[26:27]
	v_lshrrev_b64 v[1:2], v49, v[57:58]
	v_lshlrev_b32_e32 v2, 4, v1
	v_and_b32_e32 v2, 0xff0, v2
	v_add_u32_e32 v23, v80, v2
	v_and_b32_e32 v2, 1, v1
	v_add_co_u32_e32 v3, vcc, -1, v2
	v_addc_co_u32_e64 v4, s[26:27], 0, -1, vcc
	v_cmp_ne_u32_e32 vcc, 0, v2
	v_lshlrev_b32_e32 v36, 30, v1
	v_xor_b32_e32 v2, vcc_hi, v4
	v_xor_b32_e32 v3, vcc_lo, v3
	v_cmp_gt_i64_e32 vcc, 0, v[35:36]
	v_not_b32_e32 v4, v36
	v_ashrrev_i32_e32 v4, 31, v4
	v_and_b32_e32 v3, exec_lo, v3
	v_xor_b32_e32 v24, vcc_hi, v4
	v_xor_b32_e32 v4, vcc_lo, v4
	v_lshlrev_b32_e32 v36, 29, v1
	v_and_b32_e32 v3, v3, v4
	v_cmp_gt_i64_e32 vcc, 0, v[35:36]
	v_not_b32_e32 v4, v36
	v_and_b32_e32 v2, exec_hi, v2
	v_ashrrev_i32_e32 v4, 31, v4
	v_and_b32_e32 v2, v2, v24
	v_xor_b32_e32 v24, vcc_hi, v4
	v_xor_b32_e32 v4, vcc_lo, v4
	v_lshlrev_b32_e32 v36, 28, v1
	v_and_b32_e32 v3, v3, v4
	v_cmp_gt_i64_e32 vcc, 0, v[35:36]
	v_not_b32_e32 v4, v36
	v_ashrrev_i32_e32 v4, 31, v4
	v_and_b32_e32 v2, v2, v24
	v_xor_b32_e32 v24, vcc_hi, v4
	v_xor_b32_e32 v4, vcc_lo, v4
	v_lshlrev_b32_e32 v36, 27, v1
	v_and_b32_e32 v3, v3, v4
	v_cmp_gt_i64_e32 vcc, 0, v[35:36]
	v_not_b32_e32 v4, v36
	v_ashrrev_i32_e32 v4, 31, v4
	v_and_b32_e32 v2, v2, v24
	v_xor_b32_e32 v24, vcc_hi, v4
	v_xor_b32_e32 v4, vcc_lo, v4
	v_lshlrev_b32_e32 v36, 26, v1
	v_and_b32_e32 v3, v3, v4
	v_cmp_gt_i64_e32 vcc, 0, v[35:36]
	v_not_b32_e32 v4, v36
	v_ashrrev_i32_e32 v4, 31, v4
	v_and_b32_e32 v2, v2, v24
	v_xor_b32_e32 v24, vcc_hi, v4
	v_xor_b32_e32 v4, vcc_lo, v4
	v_lshlrev_b32_e32 v36, 25, v1
	v_and_b32_e32 v3, v3, v4
	v_cmp_gt_i64_e32 vcc, 0, v[35:36]
	v_not_b32_e32 v4, v36
	v_ashrrev_i32_e32 v4, 31, v4
	v_lshlrev_b32_e32 v36, 24, v1
	v_and_b32_e32 v2, v2, v24
	v_xor_b32_e32 v24, vcc_hi, v4
	v_xor_b32_e32 v4, vcc_lo, v4
	v_cmp_gt_i64_e32 vcc, 0, v[35:36]
	v_not_b32_e32 v1, v36
	v_ashrrev_i32_e32 v1, 31, v1
	v_and_b32_e32 v3, v3, v4
	v_xor_b32_e32 v4, vcc_hi, v1
	v_xor_b32_e32 v1, vcc_lo, v1
	; wave barrier
	ds_read_b32 v22, v23 offset:16
	v_and_b32_e32 v2, v2, v24
	v_and_b32_e32 v1, v3, v1
	;; [unrolled: 1-line block ×3, first 2 shown]
	v_mbcnt_lo_u32_b32 v3, v1, 0
	v_mbcnt_hi_u32_b32 v24, v2, v3
	v_cmp_ne_u64_e32 vcc, 0, v[1:2]
	v_cmp_eq_u32_e64 s[26:27], 0, v24
	s_and_b64 s[28:29], vcc, s[26:27]
	; wave barrier
	s_and_saveexec_b64 s[26:27], s[28:29]
	s_cbranch_execz .LBB127_18
; %bb.17:                               ;   in Loop: Header=BB127_4 Depth=2
	v_bcnt_u32_b32 v1, v1, 0
	v_bcnt_u32_b32 v1, v2, v1
	s_waitcnt lgkmcnt(0)
	v_add_u32_e32 v1, v22, v1
	ds_write_b32 v23, v1 offset:16
.LBB127_18:                             ;   in Loop: Header=BB127_4 Depth=2
	s_or_b64 exec, exec, s[26:27]
	v_lshrrev_b64 v[1:2], v49, v[53:54]
	v_lshlrev_b32_e32 v2, 4, v1
	v_and_b32_e32 v2, 0xff0, v2
	v_add_u32_e32 v26, v80, v2
	v_and_b32_e32 v2, 1, v1
	v_add_co_u32_e32 v3, vcc, -1, v2
	v_addc_co_u32_e64 v4, s[26:27], 0, -1, vcc
	v_cmp_ne_u32_e32 vcc, 0, v2
	v_lshlrev_b32_e32 v36, 30, v1
	v_xor_b32_e32 v2, vcc_hi, v4
	v_xor_b32_e32 v3, vcc_lo, v3
	v_cmp_gt_i64_e32 vcc, 0, v[35:36]
	v_not_b32_e32 v4, v36
	v_ashrrev_i32_e32 v4, 31, v4
	v_and_b32_e32 v3, exec_lo, v3
	v_xor_b32_e32 v27, vcc_hi, v4
	v_xor_b32_e32 v4, vcc_lo, v4
	v_lshlrev_b32_e32 v36, 29, v1
	v_and_b32_e32 v3, v3, v4
	v_cmp_gt_i64_e32 vcc, 0, v[35:36]
	v_not_b32_e32 v4, v36
	v_and_b32_e32 v2, exec_hi, v2
	v_ashrrev_i32_e32 v4, 31, v4
	v_and_b32_e32 v2, v2, v27
	v_xor_b32_e32 v27, vcc_hi, v4
	v_xor_b32_e32 v4, vcc_lo, v4
	v_lshlrev_b32_e32 v36, 28, v1
	v_and_b32_e32 v3, v3, v4
	v_cmp_gt_i64_e32 vcc, 0, v[35:36]
	v_not_b32_e32 v4, v36
	v_ashrrev_i32_e32 v4, 31, v4
	v_and_b32_e32 v2, v2, v27
	v_xor_b32_e32 v27, vcc_hi, v4
	v_xor_b32_e32 v4, vcc_lo, v4
	v_lshlrev_b32_e32 v36, 27, v1
	v_and_b32_e32 v3, v3, v4
	v_cmp_gt_i64_e32 vcc, 0, v[35:36]
	v_not_b32_e32 v4, v36
	;; [unrolled: 8-line block ×4, first 2 shown]
	v_ashrrev_i32_e32 v4, 31, v4
	v_lshlrev_b32_e32 v36, 24, v1
	v_and_b32_e32 v2, v2, v27
	v_xor_b32_e32 v27, vcc_hi, v4
	v_xor_b32_e32 v4, vcc_lo, v4
	v_cmp_gt_i64_e32 vcc, 0, v[35:36]
	v_not_b32_e32 v1, v36
	v_ashrrev_i32_e32 v1, 31, v1
	v_and_b32_e32 v3, v3, v4
	v_xor_b32_e32 v4, vcc_hi, v1
	v_xor_b32_e32 v1, vcc_lo, v1
	; wave barrier
	ds_read_b32 v25, v26 offset:16
	v_and_b32_e32 v2, v2, v27
	v_and_b32_e32 v1, v3, v1
	v_and_b32_e32 v2, v2, v4
	v_mbcnt_lo_u32_b32 v3, v1, 0
	v_mbcnt_hi_u32_b32 v27, v2, v3
	v_cmp_ne_u64_e32 vcc, 0, v[1:2]
	v_cmp_eq_u32_e64 s[26:27], 0, v27
	s_and_b64 s[28:29], vcc, s[26:27]
	; wave barrier
	s_and_saveexec_b64 s[26:27], s[28:29]
	s_cbranch_execz .LBB127_20
; %bb.19:                               ;   in Loop: Header=BB127_4 Depth=2
	v_bcnt_u32_b32 v1, v1, 0
	v_bcnt_u32_b32 v1, v2, v1
	s_waitcnt lgkmcnt(0)
	v_add_u32_e32 v1, v25, v1
	ds_write_b32 v26, v1 offset:16
.LBB127_20:                             ;   in Loop: Header=BB127_4 Depth=2
	s_or_b64 exec, exec, s[26:27]
	; wave barrier
	s_waitcnt lgkmcnt(0)
	s_barrier
	ds_read2_b64 v[1:4], v73 offset0:2 offset1:3
	s_waitcnt lgkmcnt(0)
	v_add_u32_e32 v28, v2, v1
	v_add3_u32 v4, v28, v3, v4
	s_nop 1
	v_mov_b32_dpp v28, v4 row_shr:1 row_mask:0xf bank_mask:0xf
	v_cndmask_b32_e64 v28, v28, 0, s[0:1]
	v_add_u32_e32 v4, v28, v4
	s_nop 1
	v_mov_b32_dpp v28, v4 row_shr:2 row_mask:0xf bank_mask:0xf
	v_cndmask_b32_e64 v28, 0, v28, s[2:3]
	v_add_u32_e32 v4, v4, v28
	;; [unrolled: 4-line block ×4, first 2 shown]
	s_nop 1
	v_mov_b32_dpp v28, v4 row_bcast:15 row_mask:0xf bank_mask:0xf
	v_cndmask_b32_e64 v28, v28, 0, s[8:9]
	v_add_u32_e32 v4, v4, v28
	s_nop 1
	v_mov_b32_dpp v28, v4 row_bcast:31 row_mask:0xf bank_mask:0xf
	v_cndmask_b32_e64 v28, 0, v28, s[10:11]
	v_add_u32_e32 v4, v4, v28
	s_and_saveexec_b64 s[26:27], s[12:13]
; %bb.21:                               ;   in Loop: Header=BB127_4 Depth=2
	ds_write_b32 v77, v4
; %bb.22:                               ;   in Loop: Header=BB127_4 Depth=2
	s_or_b64 exec, exec, s[26:27]
	s_waitcnt lgkmcnt(0)
	s_barrier
	s_and_saveexec_b64 s[26:27], s[14:15]
	s_cbranch_execz .LBB127_24
; %bb.23:                               ;   in Loop: Header=BB127_4 Depth=2
	ds_read_b32 v28, v78
	s_waitcnt lgkmcnt(0)
	s_nop 0
	v_mov_b32_dpp v29, v28 row_shr:1 row_mask:0xf bank_mask:0xf
	v_cndmask_b32_e64 v29, v29, 0, s[22:23]
	v_add_u32_e32 v28, v29, v28
	s_nop 1
	v_mov_b32_dpp v29, v28 row_shr:2 row_mask:0xf bank_mask:0xf
	v_cndmask_b32_e64 v29, 0, v29, s[24:25]
	v_add_u32_e32 v28, v28, v29
	ds_write_b32 v78, v28
.LBB127_24:                             ;   in Loop: Header=BB127_4 Depth=2
	s_or_b64 exec, exec, s[26:27]
	v_mov_b32_e32 v28, 0
	s_waitcnt lgkmcnt(0)
	s_barrier
	s_and_saveexec_b64 s[26:27], s[16:17]
; %bb.25:                               ;   in Loop: Header=BB127_4 Depth=2
	ds_read_b32 v28, v79
; %bb.26:                               ;   in Loop: Header=BB127_4 Depth=2
	s_or_b64 exec, exec, s[26:27]
	s_waitcnt lgkmcnt(0)
	v_add_u32_e32 v4, v28, v4
	ds_bpermute_b32 v4, v76, v4
	v_cmp_lt_u32_e32 vcc, 55, v49
	s_and_b64 vcc, exec, vcc
	s_mov_b64 s[26:27], -1
	s_waitcnt lgkmcnt(0)
	v_cndmask_b32_e64 v4, v4, v28, s[18:19]
	v_cndmask_b32_e64 v28, v4, 0, s[20:21]
	v_add_u32_e32 v29, v28, v1
	v_add_u32_e32 v1, v29, v2
	;; [unrolled: 1-line block ×3, first 2 shown]
	ds_write2_b64 v73, v[28:29], v[1:2] offset0:2 offset1:3
	s_waitcnt lgkmcnt(0)
	s_barrier
	ds_read_b32 v1, v5 offset:16
	ds_read_b32 v2, v8 offset:16
	;; [unrolled: 1-line block ×8, first 2 shown]
	s_waitcnt lgkmcnt(7)
	v_add_u32_e32 v88, v1, v6
	s_waitcnt lgkmcnt(6)
	v_add3_u32 v87, v9, v7, v2
	s_waitcnt lgkmcnt(5)
	v_add3_u32 v86, v12, v10, v3
	;; [unrolled: 2-line block ×7, first 2 shown]
                                        ; implicit-def: $vgpr15_vgpr16
                                        ; implicit-def: $vgpr11_vgpr12
                                        ; implicit-def: $vgpr7_vgpr8
                                        ; implicit-def: $vgpr3_vgpr4
                                        ; implicit-def: $vgpr31_vgpr32
                                        ; implicit-def: $vgpr27_vgpr28
                                        ; implicit-def: $vgpr23_vgpr24
                                        ; implicit-def: $vgpr19_vgpr20
	s_cbranch_vccnz .LBB127_3
; %bb.27:                               ;   in Loop: Header=BB127_4 Depth=2
	v_lshlrev_b32_e32 v17, 3, v88
	v_lshlrev_b32_e32 v18, 3, v87
	;; [unrolled: 1-line block ×8, first 2 shown]
	s_barrier
	ds_write_b64 v17, v[71:72]
	ds_write_b64 v18, v[69:70]
	ds_write_b64 v19, v[67:68]
	ds_write_b64 v20, v[65:66]
	ds_write_b64 v21, v[63:64]
	ds_write_b64 v22, v[61:62]
	ds_write_b64 v23, v[57:58]
	ds_write_b64 v24, v[53:54]
	s_waitcnt lgkmcnt(0)
	s_barrier
	ds_read2st64_b64 v[1:4], v75 offset1:1
	ds_read2st64_b64 v[5:8], v75 offset0:2 offset1:3
	ds_read2st64_b64 v[9:12], v75 offset0:4 offset1:5
	ds_read2st64_b64 v[13:16], v75 offset0:6 offset1:7
	s_waitcnt lgkmcnt(0)
	s_barrier
	ds_write_b64 v17, v[59:60]
	ds_write_b64 v18, v[55:56]
	;; [unrolled: 1-line block ×8, first 2 shown]
	s_waitcnt lgkmcnt(0)
	s_barrier
	ds_read2st64_b64 v[17:20], v75 offset1:1
	ds_read2st64_b64 v[21:24], v75 offset0:2 offset1:3
	ds_read2st64_b64 v[25:28], v75 offset0:4 offset1:5
	ds_read2st64_b64 v[29:32], v75 offset0:6 offset1:7
	v_add_co_u32_e32 v49, vcc, 8, v49
	v_addc_co_u32_e32 v50, vcc, 0, v50, vcc
	s_mov_b64 s[26:27], 0
	s_waitcnt lgkmcnt(0)
	s_barrier
	s_branch .LBB127_3
.LBB127_28:
	s_waitcnt lgkmcnt(3)
	v_add_co_u32_e32 v1, vcc, v11, v31
	v_addc_co_u32_e32 v2, vcc, v12, v32, vcc
	v_add_co_u32_e32 v11, vcc, v13, v33
	v_addc_co_u32_e32 v12, vcc, v14, v34, vcc
	s_waitcnt lgkmcnt(2)
	v_add_co_u32_e32 v13, vcc, v15, v27
	v_addc_co_u32_e32 v14, vcc, v16, v28, vcc
	v_add_co_u32_e32 v15, vcc, v17, v29
	v_addc_co_u32_e32 v16, vcc, v18, v30, vcc
	;; [unrolled: 5-line block ×3, first 2 shown]
	s_waitcnt lgkmcnt(0)
	v_add_co_u32_e32 v3, vcc, v3, v19
	v_addc_co_u32_e32 v4, vcc, v4, v20, vcc
	v_add_co_u32_e32 v5, vcc, v5, v21
	s_add_u32 s0, s30, s34
	v_addc_co_u32_e32 v6, vcc, v6, v22, vcc
	s_addc_u32 s1, s31, s35
	v_lshlrev_b32_e32 v0, 3, v0
	v_mov_b32_e32 v17, s1
	v_add_co_u32_e32 v18, vcc, s0, v0
	v_addc_co_u32_e32 v17, vcc, 0, v17, vcc
	global_store_dwordx2 v0, v[1:2], s[0:1]
	global_store_dwordx2 v0, v[11:12], s[0:1] offset:2048
	s_movk_i32 s0, 0x1000
	v_add_co_u32_e32 v0, vcc, s0, v18
	v_addc_co_u32_e32 v1, vcc, 0, v17, vcc
	global_store_dwordx2 v[0:1], v[13:14], off
	global_store_dwordx2 v[0:1], v[15:16], off offset:2048
	v_add_co_u32_e32 v0, vcc, 0x2000, v18
	v_addc_co_u32_e32 v1, vcc, 0, v17, vcc
	global_store_dwordx2 v[0:1], v[7:8], off
	global_store_dwordx2 v[0:1], v[9:10], off offset:2048
	;; [unrolled: 4-line block ×3, first 2 shown]
	s_endpgm
	.section	.rodata,"a",@progbits
	.p2align	6, 0x0
	.amdhsa_kernel _Z17sort_pairs_kernelI22helper_blocked_blockedxLj256ELj8ELj10EEvPKT0_PS1_
		.amdhsa_group_segment_fixed_size 16384
		.amdhsa_private_segment_fixed_size 0
		.amdhsa_kernarg_size 272
		.amdhsa_user_sgpr_count 6
		.amdhsa_user_sgpr_private_segment_buffer 1
		.amdhsa_user_sgpr_dispatch_ptr 0
		.amdhsa_user_sgpr_queue_ptr 0
		.amdhsa_user_sgpr_kernarg_segment_ptr 1
		.amdhsa_user_sgpr_dispatch_id 0
		.amdhsa_user_sgpr_flat_scratch_init 0
		.amdhsa_user_sgpr_private_segment_size 0
		.amdhsa_uses_dynamic_stack 0
		.amdhsa_system_sgpr_private_segment_wavefront_offset 0
		.amdhsa_system_sgpr_workgroup_id_x 1
		.amdhsa_system_sgpr_workgroup_id_y 0
		.amdhsa_system_sgpr_workgroup_id_z 0
		.amdhsa_system_sgpr_workgroup_info 0
		.amdhsa_system_vgpr_workitem_id 2
		.amdhsa_next_free_vgpr 89
		.amdhsa_next_free_sgpr 98
		.amdhsa_reserve_vcc 1
		.amdhsa_reserve_flat_scratch 0
		.amdhsa_float_round_mode_32 0
		.amdhsa_float_round_mode_16_64 0
		.amdhsa_float_denorm_mode_32 3
		.amdhsa_float_denorm_mode_16_64 3
		.amdhsa_dx10_clamp 1
		.amdhsa_ieee_mode 1
		.amdhsa_fp16_overflow 0
		.amdhsa_exception_fp_ieee_invalid_op 0
		.amdhsa_exception_fp_denorm_src 0
		.amdhsa_exception_fp_ieee_div_zero 0
		.amdhsa_exception_fp_ieee_overflow 0
		.amdhsa_exception_fp_ieee_underflow 0
		.amdhsa_exception_fp_ieee_inexact 0
		.amdhsa_exception_int_div_zero 0
	.end_amdhsa_kernel
	.section	.text._Z17sort_pairs_kernelI22helper_blocked_blockedxLj256ELj8ELj10EEvPKT0_PS1_,"axG",@progbits,_Z17sort_pairs_kernelI22helper_blocked_blockedxLj256ELj8ELj10EEvPKT0_PS1_,comdat
.Lfunc_end127:
	.size	_Z17sort_pairs_kernelI22helper_blocked_blockedxLj256ELj8ELj10EEvPKT0_PS1_, .Lfunc_end127-_Z17sort_pairs_kernelI22helper_blocked_blockedxLj256ELj8ELj10EEvPKT0_PS1_
                                        ; -- End function
	.set _Z17sort_pairs_kernelI22helper_blocked_blockedxLj256ELj8ELj10EEvPKT0_PS1_.num_vgpr, 89
	.set _Z17sort_pairs_kernelI22helper_blocked_blockedxLj256ELj8ELj10EEvPKT0_PS1_.num_agpr, 0
	.set _Z17sort_pairs_kernelI22helper_blocked_blockedxLj256ELj8ELj10EEvPKT0_PS1_.numbered_sgpr, 38
	.set _Z17sort_pairs_kernelI22helper_blocked_blockedxLj256ELj8ELj10EEvPKT0_PS1_.num_named_barrier, 0
	.set _Z17sort_pairs_kernelI22helper_blocked_blockedxLj256ELj8ELj10EEvPKT0_PS1_.private_seg_size, 0
	.set _Z17sort_pairs_kernelI22helper_blocked_blockedxLj256ELj8ELj10EEvPKT0_PS1_.uses_vcc, 1
	.set _Z17sort_pairs_kernelI22helper_blocked_blockedxLj256ELj8ELj10EEvPKT0_PS1_.uses_flat_scratch, 0
	.set _Z17sort_pairs_kernelI22helper_blocked_blockedxLj256ELj8ELj10EEvPKT0_PS1_.has_dyn_sized_stack, 0
	.set _Z17sort_pairs_kernelI22helper_blocked_blockedxLj256ELj8ELj10EEvPKT0_PS1_.has_recursion, 0
	.set _Z17sort_pairs_kernelI22helper_blocked_blockedxLj256ELj8ELj10EEvPKT0_PS1_.has_indirect_call, 0
	.section	.AMDGPU.csdata,"",@progbits
; Kernel info:
; codeLenInByte = 5208
; TotalNumSgprs: 42
; NumVgprs: 89
; ScratchSize: 0
; MemoryBound: 0
; FloatMode: 240
; IeeeMode: 1
; LDSByteSize: 16384 bytes/workgroup (compile time only)
; SGPRBlocks: 12
; VGPRBlocks: 22
; NumSGPRsForWavesPerEU: 102
; NumVGPRsForWavesPerEU: 89
; Occupancy: 2
; WaveLimiterHint : 1
; COMPUTE_PGM_RSRC2:SCRATCH_EN: 0
; COMPUTE_PGM_RSRC2:USER_SGPR: 6
; COMPUTE_PGM_RSRC2:TRAP_HANDLER: 0
; COMPUTE_PGM_RSRC2:TGID_X_EN: 1
; COMPUTE_PGM_RSRC2:TGID_Y_EN: 0
; COMPUTE_PGM_RSRC2:TGID_Z_EN: 0
; COMPUTE_PGM_RSRC2:TIDIG_COMP_CNT: 2
	.section	.text._Z16sort_keys_kernelI22helper_blocked_blockedxLj320ELj1ELj10EEvPKT0_PS1_,"axG",@progbits,_Z16sort_keys_kernelI22helper_blocked_blockedxLj320ELj1ELj10EEvPKT0_PS1_,comdat
	.protected	_Z16sort_keys_kernelI22helper_blocked_blockedxLj320ELj1ELj10EEvPKT0_PS1_ ; -- Begin function _Z16sort_keys_kernelI22helper_blocked_blockedxLj320ELj1ELj10EEvPKT0_PS1_
	.globl	_Z16sort_keys_kernelI22helper_blocked_blockedxLj320ELj1ELj10EEvPKT0_PS1_
	.p2align	8
	.type	_Z16sort_keys_kernelI22helper_blocked_blockedxLj320ELj1ELj10EEvPKT0_PS1_,@function
_Z16sort_keys_kernelI22helper_blocked_blockedxLj320ELj1ELj10EEvPKT0_PS1_: ; @_Z16sort_keys_kernelI22helper_blocked_blockedxLj320ELj1ELj10EEvPKT0_PS1_
; %bb.0:
	s_load_dwordx4 s[28:31], s[4:5], 0x0
	s_load_dword s26, s[4:5], 0x1c
	s_mul_i32 s36, s6, 0x140
	s_mov_b32 s37, 0
	s_lshl_b64 s[34:35], s[36:37], 3
	s_waitcnt lgkmcnt(0)
	s_add_u32 s0, s28, s34
	s_addc_u32 s1, s29, s35
	v_lshlrev_b32_e32 v3, 3, v0
	global_load_dwordx2 v[7:8], v3, s[0:1]
	s_lshr_b32 s27, s26, 16
	s_and_b32 s26, s26, 0xffff
	v_mad_u32_u24 v1, v2, s27, v1
	v_mbcnt_lo_u32_b32 v4, -1, 0
	v_mad_u64_u32 v[1:2], s[26:27], v1, s26, v[0:1]
	v_mbcnt_hi_u32_b32 v4, -1, v4
	v_and_b32_e32 v5, 0x1c0, v0
	v_subrev_co_u32_e64 v16, s[8:9], 1, v4
	v_and_b32_e32 v17, 64, v4
	v_lshlrev_b32_e32 v11, 4, v0
	v_lshrrev_b32_e32 v6, 4, v0
	v_and_b32_e32 v10, 15, v4
	v_min_u32_e32 v15, 0x100, v5
	v_cmp_lt_i32_e32 vcc, v16, v17
	v_lshlrev_b32_e32 v9, 2, v0
	v_and_b32_e32 v14, 16, v4
	v_and_b32_e32 v12, 28, v6
	v_mad_i32_i24 v13, v0, -12, v11
	v_and_b32_e32 v6, 7, v4
	v_lshlrev_b32_e32 v5, 3, v5
	v_cmp_eq_u32_e64 s[10:11], 0, v10
	v_cmp_lt_u32_e64 s[12:13], 1, v10
	v_cmp_lt_u32_e64 s[14:15], 3, v10
	;; [unrolled: 1-line block ×3, first 2 shown]
	v_or_b32_e32 v10, 63, v15
	v_cndmask_b32_e32 v17, v16, v4, vcc
	v_lshrrev_b32_e32 v1, 4, v1
	v_mov_b32_e32 v3, 0
	v_cmp_gt_u32_e64 s[0:1], 5, v0
	v_cmp_lt_u32_e64 s[2:3], 63, v0
	v_cmp_eq_u32_e64 s[4:5], 0, v0
	v_cmp_lt_u32_e64 s[6:7], 31, v4
	v_cmp_eq_u32_e64 s[18:19], 0, v14
	v_cmp_eq_u32_e64 s[20:21], 0, v6
	v_cmp_lt_u32_e64 s[22:23], 1, v6
	v_cmp_lt_u32_e64 s[24:25], 3, v6
	v_add_u32_e32 v14, -4, v12
	v_lshl_add_u32 v15, v4, 3, v5
	v_add_u32_e32 v16, v13, v9
	v_cmp_eq_u32_e64 s[26:27], v0, v10
	v_lshlrev_b32_e32 v17, 2, v17
	v_and_b32_e32 v18, 0xffffffc, v1
	v_mov_b32_e32 v19, 20
	s_waitcnt vmcnt(0)
	v_xor_b32_e32 v8, 0x80000000, v8
	s_branch .LBB128_2
.LBB128_1:                              ;   in Loop: Header=BB128_2 Depth=1
	v_lshlrev_b32_e32 v1, 3, v4
	s_barrier
	ds_write_b64 v1, v[5:6]
	s_waitcnt lgkmcnt(0)
	s_barrier
	ds_read_b64 v[7:8], v16
	s_add_i32 s37, s37, 1
	s_cmp_eq_u32 s37, 10
	s_cbranch_scc1 .LBB128_14
.LBB128_2:                              ; =>This Loop Header: Depth=1
                                        ;     Child Loop BB128_4 Depth 2
	v_mov_b32_e32 v1, 0
	v_mov_b32_e32 v2, 0
	s_branch .LBB128_4
.LBB128_3:                              ;   in Loop: Header=BB128_4 Depth=2
	s_andn2_b64 vcc, exec, s[28:29]
	s_cbranch_vccz .LBB128_1
.LBB128_4:                              ;   Parent Loop BB128_2 Depth=1
                                        ; =>  This Inner Loop Header: Depth=2
	s_waitcnt lgkmcnt(0)
	v_mov_b32_e32 v5, v7
	v_mov_b32_e32 v6, v8
	v_lshrrev_b64 v[7:8], v1, v[5:6]
	ds_write2_b32 v11, v3, v3 offset0:5 offset1:6
	ds_write2_b32 v11, v3, v3 offset0:7 offset1:8
	v_and_b32_e32 v4, 1, v7
	v_add_co_u32_e32 v8, vcc, -1, v4
	v_addc_co_u32_e64 v10, s[28:29], 0, -1, vcc
	v_cmp_ne_u32_e32 vcc, 0, v4
	v_xor_b32_e32 v4, vcc_hi, v10
	v_and_b32_e32 v10, exec_hi, v4
	v_lshlrev_b32_e32 v4, 30, v7
	v_xor_b32_e32 v8, vcc_lo, v8
	v_cmp_gt_i64_e32 vcc, 0, v[3:4]
	v_not_b32_e32 v4, v4
	v_ashrrev_i32_e32 v4, 31, v4
	v_and_b32_e32 v8, exec_lo, v8
	v_xor_b32_e32 v20, vcc_hi, v4
	v_xor_b32_e32 v4, vcc_lo, v4
	v_and_b32_e32 v8, v8, v4
	v_lshlrev_b32_e32 v4, 29, v7
	v_cmp_gt_i64_e32 vcc, 0, v[3:4]
	v_not_b32_e32 v4, v4
	v_ashrrev_i32_e32 v4, 31, v4
	v_and_b32_e32 v10, v10, v20
	v_xor_b32_e32 v20, vcc_hi, v4
	v_xor_b32_e32 v4, vcc_lo, v4
	v_and_b32_e32 v8, v8, v4
	v_lshlrev_b32_e32 v4, 28, v7
	v_cmp_gt_i64_e32 vcc, 0, v[3:4]
	v_not_b32_e32 v4, v4
	v_ashrrev_i32_e32 v4, 31, v4
	v_and_b32_e32 v10, v10, v20
	;; [unrolled: 8-line block ×5, first 2 shown]
	v_xor_b32_e32 v20, vcc_hi, v4
	v_xor_b32_e32 v4, vcc_lo, v4
	v_and_b32_e32 v10, v10, v20
	v_and_b32_e32 v20, v8, v4
	v_lshlrev_b32_e32 v4, 24, v7
	v_cmp_gt_i64_e32 vcc, 0, v[3:4]
	v_not_b32_e32 v4, v4
	v_ashrrev_i32_e32 v4, 31, v4
	v_mul_u32_u24_sdwa v9, v7, v19 dst_sel:DWORD dst_unused:UNUSED_PAD src0_sel:BYTE_0 src1_sel:DWORD
	v_xor_b32_e32 v7, vcc_hi, v4
	v_xor_b32_e32 v4, vcc_lo, v4
	v_and_b32_e32 v8, v10, v7
	v_and_b32_e32 v7, v20, v4
	v_mbcnt_lo_u32_b32 v4, v7, 0
	v_mbcnt_hi_u32_b32 v4, v8, v4
	v_cmp_ne_u64_e32 vcc, 0, v[7:8]
	v_cmp_eq_u32_e64 s[28:29], 0, v4
	s_and_b64 s[38:39], vcc, s[28:29]
	v_add_u32_e32 v20, v18, v9
	s_waitcnt lgkmcnt(0)
	s_barrier
	; wave barrier
	s_and_saveexec_b64 s[28:29], s[38:39]
; %bb.5:                                ;   in Loop: Header=BB128_4 Depth=2
	v_bcnt_u32_b32 v7, v7, 0
	v_bcnt_u32_b32 v7, v8, v7
	ds_write_b32 v20, v7 offset:20
; %bb.6:                                ;   in Loop: Header=BB128_4 Depth=2
	s_or_b64 exec, exec, s[28:29]
	; wave barrier
	s_waitcnt lgkmcnt(0)
	s_barrier
	ds_read2_b32 v[9:10], v11 offset0:5 offset1:6
	ds_read2_b32 v[7:8], v11 offset0:7 offset1:8
	s_waitcnt lgkmcnt(1)
	v_add_u32_e32 v21, v10, v9
	s_waitcnt lgkmcnt(0)
	v_add3_u32 v8, v21, v7, v8
	s_nop 1
	v_mov_b32_dpp v21, v8 row_shr:1 row_mask:0xf bank_mask:0xf
	v_cndmask_b32_e64 v21, v21, 0, s[10:11]
	v_add_u32_e32 v8, v21, v8
	s_nop 1
	v_mov_b32_dpp v21, v8 row_shr:2 row_mask:0xf bank_mask:0xf
	v_cndmask_b32_e64 v21, 0, v21, s[12:13]
	v_add_u32_e32 v8, v8, v21
	;; [unrolled: 4-line block ×4, first 2 shown]
	s_nop 1
	v_mov_b32_dpp v21, v8 row_bcast:15 row_mask:0xf bank_mask:0xf
	v_cndmask_b32_e64 v21, v21, 0, s[18:19]
	v_add_u32_e32 v8, v8, v21
	s_nop 1
	v_mov_b32_dpp v21, v8 row_bcast:31 row_mask:0xf bank_mask:0xf
	v_cndmask_b32_e64 v21, 0, v21, s[6:7]
	v_add_u32_e32 v8, v8, v21
	s_and_saveexec_b64 s[28:29], s[26:27]
; %bb.7:                                ;   in Loop: Header=BB128_4 Depth=2
	ds_write_b32 v12, v8
; %bb.8:                                ;   in Loop: Header=BB128_4 Depth=2
	s_or_b64 exec, exec, s[28:29]
	s_waitcnt lgkmcnt(0)
	s_barrier
	s_and_saveexec_b64 s[28:29], s[0:1]
	s_cbranch_execz .LBB128_10
; %bb.9:                                ;   in Loop: Header=BB128_4 Depth=2
	ds_read_b32 v21, v13
	s_waitcnt lgkmcnt(0)
	s_nop 0
	v_mov_b32_dpp v22, v21 row_shr:1 row_mask:0xf bank_mask:0xf
	v_cndmask_b32_e64 v22, v22, 0, s[20:21]
	v_add_u32_e32 v21, v22, v21
	s_nop 1
	v_mov_b32_dpp v22, v21 row_shr:2 row_mask:0xf bank_mask:0xf
	v_cndmask_b32_e64 v22, 0, v22, s[22:23]
	v_add_u32_e32 v21, v21, v22
	;; [unrolled: 4-line block ×3, first 2 shown]
	ds_write_b32 v13, v21
.LBB128_10:                             ;   in Loop: Header=BB128_4 Depth=2
	s_or_b64 exec, exec, s[28:29]
	v_mov_b32_e32 v21, 0
	s_waitcnt lgkmcnt(0)
	s_barrier
	s_and_saveexec_b64 s[28:29], s[2:3]
; %bb.11:                               ;   in Loop: Header=BB128_4 Depth=2
	ds_read_b32 v21, v14
; %bb.12:                               ;   in Loop: Header=BB128_4 Depth=2
	s_or_b64 exec, exec, s[28:29]
	s_waitcnt lgkmcnt(0)
	v_add_u32_e32 v8, v21, v8
	ds_bpermute_b32 v8, v17, v8
	v_cmp_lt_u32_e32 vcc, 55, v1
	s_and_b64 vcc, exec, vcc
	s_mov_b64 s[28:29], -1
	s_waitcnt lgkmcnt(0)
	v_cndmask_b32_e64 v8, v8, v21, s[8:9]
	v_cndmask_b32_e64 v8, v8, 0, s[4:5]
	v_add_u32_e32 v9, v8, v9
	v_add_u32_e32 v10, v9, v10
	;; [unrolled: 1-line block ×3, first 2 shown]
	ds_write2_b32 v11, v8, v9 offset0:5 offset1:6
	ds_write2_b32 v11, v10, v7 offset0:7 offset1:8
	s_waitcnt lgkmcnt(0)
	s_barrier
	ds_read_b32 v7, v20 offset:20
	s_waitcnt lgkmcnt(0)
	v_add_u32_e32 v4, v7, v4
                                        ; implicit-def: $vgpr7_vgpr8
	s_cbranch_vccnz .LBB128_3
; %bb.13:                               ;   in Loop: Header=BB128_4 Depth=2
	v_lshlrev_b32_e32 v7, 3, v4
	s_barrier
	ds_write_b64 v7, v[5:6]
	s_waitcnt lgkmcnt(0)
	s_barrier
	ds_read_b64 v[7:8], v15
	v_add_co_u32_e32 v1, vcc, 8, v1
	v_addc_co_u32_e32 v2, vcc, 0, v2, vcc
	s_mov_b64 s[28:29], 0
	s_waitcnt lgkmcnt(0)
	s_barrier
	s_branch .LBB128_3
.LBB128_14:
	s_add_u32 s0, s30, s34
	s_waitcnt lgkmcnt(0)
	v_xor_b32_e32 v8, 0x80000000, v8
	s_addc_u32 s1, s31, s35
	v_lshlrev_b32_e32 v0, 3, v0
	global_store_dwordx2 v0, v[7:8], s[0:1]
	s_endpgm
	.section	.rodata,"a",@progbits
	.p2align	6, 0x0
	.amdhsa_kernel _Z16sort_keys_kernelI22helper_blocked_blockedxLj320ELj1ELj10EEvPKT0_PS1_
		.amdhsa_group_segment_fixed_size 5152
		.amdhsa_private_segment_fixed_size 0
		.amdhsa_kernarg_size 272
		.amdhsa_user_sgpr_count 6
		.amdhsa_user_sgpr_private_segment_buffer 1
		.amdhsa_user_sgpr_dispatch_ptr 0
		.amdhsa_user_sgpr_queue_ptr 0
		.amdhsa_user_sgpr_kernarg_segment_ptr 1
		.amdhsa_user_sgpr_dispatch_id 0
		.amdhsa_user_sgpr_flat_scratch_init 0
		.amdhsa_user_sgpr_private_segment_size 0
		.amdhsa_uses_dynamic_stack 0
		.amdhsa_system_sgpr_private_segment_wavefront_offset 0
		.amdhsa_system_sgpr_workgroup_id_x 1
		.amdhsa_system_sgpr_workgroup_id_y 0
		.amdhsa_system_sgpr_workgroup_id_z 0
		.amdhsa_system_sgpr_workgroup_info 0
		.amdhsa_system_vgpr_workitem_id 2
		.amdhsa_next_free_vgpr 23
		.amdhsa_next_free_sgpr 40
		.amdhsa_reserve_vcc 1
		.amdhsa_reserve_flat_scratch 0
		.amdhsa_float_round_mode_32 0
		.amdhsa_float_round_mode_16_64 0
		.amdhsa_float_denorm_mode_32 3
		.amdhsa_float_denorm_mode_16_64 3
		.amdhsa_dx10_clamp 1
		.amdhsa_ieee_mode 1
		.amdhsa_fp16_overflow 0
		.amdhsa_exception_fp_ieee_invalid_op 0
		.amdhsa_exception_fp_denorm_src 0
		.amdhsa_exception_fp_ieee_div_zero 0
		.amdhsa_exception_fp_ieee_overflow 0
		.amdhsa_exception_fp_ieee_underflow 0
		.amdhsa_exception_fp_ieee_inexact 0
		.amdhsa_exception_int_div_zero 0
	.end_amdhsa_kernel
	.section	.text._Z16sort_keys_kernelI22helper_blocked_blockedxLj320ELj1ELj10EEvPKT0_PS1_,"axG",@progbits,_Z16sort_keys_kernelI22helper_blocked_blockedxLj320ELj1ELj10EEvPKT0_PS1_,comdat
.Lfunc_end128:
	.size	_Z16sort_keys_kernelI22helper_blocked_blockedxLj320ELj1ELj10EEvPKT0_PS1_, .Lfunc_end128-_Z16sort_keys_kernelI22helper_blocked_blockedxLj320ELj1ELj10EEvPKT0_PS1_
                                        ; -- End function
	.set _Z16sort_keys_kernelI22helper_blocked_blockedxLj320ELj1ELj10EEvPKT0_PS1_.num_vgpr, 23
	.set _Z16sort_keys_kernelI22helper_blocked_blockedxLj320ELj1ELj10EEvPKT0_PS1_.num_agpr, 0
	.set _Z16sort_keys_kernelI22helper_blocked_blockedxLj320ELj1ELj10EEvPKT0_PS1_.numbered_sgpr, 40
	.set _Z16sort_keys_kernelI22helper_blocked_blockedxLj320ELj1ELj10EEvPKT0_PS1_.num_named_barrier, 0
	.set _Z16sort_keys_kernelI22helper_blocked_blockedxLj320ELj1ELj10EEvPKT0_PS1_.private_seg_size, 0
	.set _Z16sort_keys_kernelI22helper_blocked_blockedxLj320ELj1ELj10EEvPKT0_PS1_.uses_vcc, 1
	.set _Z16sort_keys_kernelI22helper_blocked_blockedxLj320ELj1ELj10EEvPKT0_PS1_.uses_flat_scratch, 0
	.set _Z16sort_keys_kernelI22helper_blocked_blockedxLj320ELj1ELj10EEvPKT0_PS1_.has_dyn_sized_stack, 0
	.set _Z16sort_keys_kernelI22helper_blocked_blockedxLj320ELj1ELj10EEvPKT0_PS1_.has_recursion, 0
	.set _Z16sort_keys_kernelI22helper_blocked_blockedxLj320ELj1ELj10EEvPKT0_PS1_.has_indirect_call, 0
	.section	.AMDGPU.csdata,"",@progbits
; Kernel info:
; codeLenInByte = 1324
; TotalNumSgprs: 44
; NumVgprs: 23
; ScratchSize: 0
; MemoryBound: 0
; FloatMode: 240
; IeeeMode: 1
; LDSByteSize: 5152 bytes/workgroup (compile time only)
; SGPRBlocks: 5
; VGPRBlocks: 5
; NumSGPRsForWavesPerEU: 44
; NumVGPRsForWavesPerEU: 23
; Occupancy: 10
; WaveLimiterHint : 0
; COMPUTE_PGM_RSRC2:SCRATCH_EN: 0
; COMPUTE_PGM_RSRC2:USER_SGPR: 6
; COMPUTE_PGM_RSRC2:TRAP_HANDLER: 0
; COMPUTE_PGM_RSRC2:TGID_X_EN: 1
; COMPUTE_PGM_RSRC2:TGID_Y_EN: 0
; COMPUTE_PGM_RSRC2:TGID_Z_EN: 0
; COMPUTE_PGM_RSRC2:TIDIG_COMP_CNT: 2
	.section	.text._Z17sort_pairs_kernelI22helper_blocked_blockedxLj320ELj1ELj10EEvPKT0_PS1_,"axG",@progbits,_Z17sort_pairs_kernelI22helper_blocked_blockedxLj320ELj1ELj10EEvPKT0_PS1_,comdat
	.protected	_Z17sort_pairs_kernelI22helper_blocked_blockedxLj320ELj1ELj10EEvPKT0_PS1_ ; -- Begin function _Z17sort_pairs_kernelI22helper_blocked_blockedxLj320ELj1ELj10EEvPKT0_PS1_
	.globl	_Z17sort_pairs_kernelI22helper_blocked_blockedxLj320ELj1ELj10EEvPKT0_PS1_
	.p2align	8
	.type	_Z17sort_pairs_kernelI22helper_blocked_blockedxLj320ELj1ELj10EEvPKT0_PS1_,@function
_Z17sort_pairs_kernelI22helper_blocked_blockedxLj320ELj1ELj10EEvPKT0_PS1_: ; @_Z17sort_pairs_kernelI22helper_blocked_blockedxLj320ELj1ELj10EEvPKT0_PS1_
; %bb.0:
	s_load_dwordx4 s[28:31], s[4:5], 0x0
	s_load_dword s26, s[4:5], 0x1c
	s_mul_i32 s36, s6, 0x140
	s_mov_b32 s37, 0
	s_lshl_b64 s[34:35], s[36:37], 3
	s_waitcnt lgkmcnt(0)
	s_add_u32 s0, s28, s34
	s_addc_u32 s1, s29, s35
	v_lshlrev_b32_e32 v3, 3, v0
	global_load_dwordx2 v[9:10], v3, s[0:1]
	s_lshr_b32 s27, s26, 16
	v_mbcnt_lo_u32_b32 v4, -1, 0
	s_and_b32 s26, s26, 0xffff
	v_mad_u32_u24 v1, v2, s27, v1
	v_mbcnt_hi_u32_b32 v4, -1, v4
	v_mad_u64_u32 v[1:2], s[26:27], v1, s26, v[0:1]
	v_subrev_co_u32_e64 v16, s[8:9], 1, v4
	v_and_b32_e32 v17, 64, v4
	v_and_b32_e32 v5, 0x1c0, v0
	;; [unrolled: 1-line block ×3, first 2 shown]
	v_cmp_lt_i32_e32 vcc, v16, v17
	v_lshlrev_b32_e32 v13, 4, v0
	v_lshrrev_b32_e32 v6, 4, v0
	v_and_b32_e32 v8, 15, v4
	v_min_u32_e32 v12, 0x100, v5
	v_cmp_eq_u32_e64 s[18:19], 0, v11
	v_cndmask_b32_e32 v11, v16, v4, vcc
	v_lshlrev_b32_e32 v7, 2, v0
	v_and_b32_e32 v14, 28, v6
	v_mad_i32_i24 v15, v0, -12, v13
	v_and_b32_e32 v6, 7, v4
	v_lshlrev_b32_e32 v5, 3, v5
	v_cmp_eq_u32_e64 s[10:11], 0, v8
	v_cmp_lt_u32_e64 s[12:13], 1, v8
	v_cmp_lt_u32_e64 s[14:15], 3, v8
	;; [unrolled: 1-line block ×3, first 2 shown]
	v_or_b32_e32 v8, 63, v12
	v_lshlrev_b32_e32 v18, 2, v11
	v_lshrrev_b32_e32 v1, 4, v1
	v_mov_b32_e32 v3, 0
	v_cmp_gt_u32_e64 s[0:1], 5, v0
	v_cmp_lt_u32_e64 s[2:3], 63, v0
	v_cmp_eq_u32_e64 s[4:5], 0, v0
	v_cmp_lt_u32_e64 s[6:7], 31, v4
	v_cmp_eq_u32_e64 s[20:21], 0, v6
	v_cmp_lt_u32_e64 s[22:23], 1, v6
	v_cmp_lt_u32_e64 s[24:25], 3, v6
	v_lshl_add_u32 v16, v4, 3, v5
	v_add_u32_e32 v17, v15, v7
	v_cmp_eq_u32_e64 s[26:27], v0, v8
	v_and_b32_e32 v19, 0xffffffc, v1
	s_waitcnt vmcnt(0)
	v_add_co_u32_e32 v11, vcc, 1, v9
	v_addc_co_u32_e32 v12, vcc, 0, v10, vcc
	v_xor_b32_e32 v10, 0x80000000, v10
	s_branch .LBB129_2
.LBB129_1:                              ;   in Loop: Header=BB129_2 Depth=1
	v_lshlrev_b32_e32 v4, 3, v4
	s_barrier
	ds_write_b64 v4, v[7:8]
	s_waitcnt lgkmcnt(0)
	s_barrier
	ds_read_b64 v[9:10], v17
	s_waitcnt lgkmcnt(0)
	s_barrier
	ds_write_b64 v4, v[1:2]
	s_waitcnt lgkmcnt(0)
	s_barrier
	ds_read_b64 v[11:12], v17
	s_add_i32 s37, s37, 1
	s_cmp_eq_u32 s37, 10
	s_cbranch_scc1 .LBB129_14
.LBB129_2:                              ; =>This Loop Header: Depth=1
                                        ;     Child Loop BB129_4 Depth 2
	v_mov_b32_e32 v5, 0
	v_mov_b32_e32 v6, 0
	s_branch .LBB129_4
.LBB129_3:                              ;   in Loop: Header=BB129_4 Depth=2
	s_andn2_b64 vcc, exec, s[28:29]
	s_cbranch_vccz .LBB129_1
.LBB129_4:                              ;   Parent Loop BB129_2 Depth=1
                                        ; =>  This Inner Loop Header: Depth=2
	v_mov_b32_e32 v7, v9
	v_mov_b32_e32 v8, v10
	v_lshrrev_b64 v[9:10], v5, v[7:8]
	s_waitcnt lgkmcnt(0)
	v_mov_b32_e32 v1, v11
	v_mov_b32_e32 v4, 20
	;; [unrolled: 1-line block ×3, first 2 shown]
	v_mul_u32_u24_sdwa v11, v9, v4 dst_sel:DWORD dst_unused:UNUSED_PAD src0_sel:BYTE_0 src1_sel:DWORD
	v_and_b32_e32 v4, 1, v9
	v_add_co_u32_e32 v10, vcc, -1, v4
	v_addc_co_u32_e64 v12, s[28:29], 0, -1, vcc
	v_cmp_ne_u32_e32 vcc, 0, v4
	v_xor_b32_e32 v4, vcc_hi, v12
	v_and_b32_e32 v12, exec_hi, v4
	v_lshlrev_b32_e32 v4, 30, v9
	v_xor_b32_e32 v10, vcc_lo, v10
	v_cmp_gt_i64_e32 vcc, 0, v[3:4]
	v_not_b32_e32 v4, v4
	v_ashrrev_i32_e32 v4, 31, v4
	v_and_b32_e32 v10, exec_lo, v10
	v_xor_b32_e32 v20, vcc_hi, v4
	v_xor_b32_e32 v4, vcc_lo, v4
	v_and_b32_e32 v10, v10, v4
	v_lshlrev_b32_e32 v4, 29, v9
	v_cmp_gt_i64_e32 vcc, 0, v[3:4]
	v_not_b32_e32 v4, v4
	v_ashrrev_i32_e32 v4, 31, v4
	v_and_b32_e32 v12, v12, v20
	v_xor_b32_e32 v20, vcc_hi, v4
	v_xor_b32_e32 v4, vcc_lo, v4
	v_and_b32_e32 v10, v10, v4
	v_lshlrev_b32_e32 v4, 28, v9
	v_cmp_gt_i64_e32 vcc, 0, v[3:4]
	v_not_b32_e32 v4, v4
	v_ashrrev_i32_e32 v4, 31, v4
	v_and_b32_e32 v12, v12, v20
	;; [unrolled: 8-line block ×5, first 2 shown]
	v_xor_b32_e32 v20, vcc_hi, v4
	v_xor_b32_e32 v4, vcc_lo, v4
	v_and_b32_e32 v12, v12, v20
	v_and_b32_e32 v20, v10, v4
	v_lshlrev_b32_e32 v4, 24, v9
	v_cmp_gt_i64_e32 vcc, 0, v[3:4]
	v_not_b32_e32 v4, v4
	v_ashrrev_i32_e32 v4, 31, v4
	v_xor_b32_e32 v9, vcc_hi, v4
	v_xor_b32_e32 v4, vcc_lo, v4
	v_and_b32_e32 v10, v12, v9
	v_and_b32_e32 v9, v20, v4
	v_mbcnt_lo_u32_b32 v4, v9, 0
	v_mbcnt_hi_u32_b32 v4, v10, v4
	v_cmp_ne_u64_e32 vcc, 0, v[9:10]
	v_cmp_eq_u32_e64 s[28:29], 0, v4
	s_and_b64 s[38:39], vcc, s[28:29]
	v_add_u32_e32 v20, v19, v11
	ds_write2_b32 v13, v3, v3 offset0:5 offset1:6
	ds_write2_b32 v13, v3, v3 offset0:7 offset1:8
	s_waitcnt lgkmcnt(0)
	s_barrier
	; wave barrier
	s_and_saveexec_b64 s[28:29], s[38:39]
; %bb.5:                                ;   in Loop: Header=BB129_4 Depth=2
	v_bcnt_u32_b32 v9, v9, 0
	v_bcnt_u32_b32 v9, v10, v9
	ds_write_b32 v20, v9 offset:20
; %bb.6:                                ;   in Loop: Header=BB129_4 Depth=2
	s_or_b64 exec, exec, s[28:29]
	; wave barrier
	s_waitcnt lgkmcnt(0)
	s_barrier
	ds_read2_b32 v[11:12], v13 offset0:5 offset1:6
	ds_read2_b32 v[9:10], v13 offset0:7 offset1:8
	s_waitcnt lgkmcnt(1)
	v_add_u32_e32 v21, v12, v11
	s_waitcnt lgkmcnt(0)
	v_add3_u32 v10, v21, v9, v10
	s_nop 1
	v_mov_b32_dpp v21, v10 row_shr:1 row_mask:0xf bank_mask:0xf
	v_cndmask_b32_e64 v21, v21, 0, s[10:11]
	v_add_u32_e32 v10, v21, v10
	s_nop 1
	v_mov_b32_dpp v21, v10 row_shr:2 row_mask:0xf bank_mask:0xf
	v_cndmask_b32_e64 v21, 0, v21, s[12:13]
	v_add_u32_e32 v10, v10, v21
	;; [unrolled: 4-line block ×4, first 2 shown]
	s_nop 1
	v_mov_b32_dpp v21, v10 row_bcast:15 row_mask:0xf bank_mask:0xf
	v_cndmask_b32_e64 v21, v21, 0, s[18:19]
	v_add_u32_e32 v10, v10, v21
	s_nop 1
	v_mov_b32_dpp v21, v10 row_bcast:31 row_mask:0xf bank_mask:0xf
	v_cndmask_b32_e64 v21, 0, v21, s[6:7]
	v_add_u32_e32 v10, v10, v21
	s_and_saveexec_b64 s[28:29], s[26:27]
; %bb.7:                                ;   in Loop: Header=BB129_4 Depth=2
	ds_write_b32 v14, v10
; %bb.8:                                ;   in Loop: Header=BB129_4 Depth=2
	s_or_b64 exec, exec, s[28:29]
	s_waitcnt lgkmcnt(0)
	s_barrier
	s_and_saveexec_b64 s[28:29], s[0:1]
	s_cbranch_execz .LBB129_10
; %bb.9:                                ;   in Loop: Header=BB129_4 Depth=2
	ds_read_b32 v21, v15
	s_waitcnt lgkmcnt(0)
	s_nop 0
	v_mov_b32_dpp v22, v21 row_shr:1 row_mask:0xf bank_mask:0xf
	v_cndmask_b32_e64 v22, v22, 0, s[20:21]
	v_add_u32_e32 v21, v22, v21
	s_nop 1
	v_mov_b32_dpp v22, v21 row_shr:2 row_mask:0xf bank_mask:0xf
	v_cndmask_b32_e64 v22, 0, v22, s[22:23]
	v_add_u32_e32 v21, v21, v22
	;; [unrolled: 4-line block ×3, first 2 shown]
	ds_write_b32 v15, v21
.LBB129_10:                             ;   in Loop: Header=BB129_4 Depth=2
	s_or_b64 exec, exec, s[28:29]
	v_mov_b32_e32 v21, 0
	s_waitcnt lgkmcnt(0)
	s_barrier
	s_and_saveexec_b64 s[28:29], s[2:3]
; %bb.11:                               ;   in Loop: Header=BB129_4 Depth=2
	v_add_u32_e32 v21, -4, v14
	ds_read_b32 v21, v21
; %bb.12:                               ;   in Loop: Header=BB129_4 Depth=2
	s_or_b64 exec, exec, s[28:29]
	s_waitcnt lgkmcnt(0)
	v_add_u32_e32 v10, v21, v10
	ds_bpermute_b32 v10, v18, v10
	v_cmp_lt_u32_e32 vcc, 55, v5
	s_and_b64 vcc, exec, vcc
	s_mov_b64 s[28:29], -1
	s_waitcnt lgkmcnt(0)
	v_cndmask_b32_e64 v10, v10, v21, s[8:9]
	v_cndmask_b32_e64 v10, v10, 0, s[4:5]
	v_add_u32_e32 v11, v10, v11
	v_add_u32_e32 v12, v11, v12
	;; [unrolled: 1-line block ×3, first 2 shown]
	ds_write2_b32 v13, v10, v11 offset0:5 offset1:6
	ds_write2_b32 v13, v12, v9 offset0:7 offset1:8
	s_waitcnt lgkmcnt(0)
	s_barrier
	ds_read_b32 v9, v20 offset:20
                                        ; implicit-def: $vgpr11_vgpr12
	s_waitcnt lgkmcnt(0)
	v_add_u32_e32 v4, v9, v4
                                        ; implicit-def: $vgpr9_vgpr10
	s_cbranch_vccnz .LBB129_3
; %bb.13:                               ;   in Loop: Header=BB129_4 Depth=2
	v_lshlrev_b32_e32 v11, 3, v4
	s_barrier
	ds_write_b64 v11, v[7:8]
	s_waitcnt lgkmcnt(0)
	s_barrier
	ds_read_b64 v[9:10], v16
	s_waitcnt lgkmcnt(0)
	s_barrier
	ds_write_b64 v11, v[1:2]
	s_waitcnt lgkmcnt(0)
	s_barrier
	ds_read_b64 v[11:12], v16
	v_add_co_u32_e32 v5, vcc, 8, v5
	v_addc_co_u32_e32 v6, vcc, 0, v6, vcc
	s_mov_b64 s[28:29], 0
	s_waitcnt lgkmcnt(0)
	s_barrier
	s_branch .LBB129_3
.LBB129_14:
	s_waitcnt lgkmcnt(0)
	v_add_co_u32_e32 v1, vcc, v11, v9
	v_addc_co_u32_e32 v2, vcc, v12, v10, vcc
	s_add_u32 s0, s30, s34
	v_add_u32_e32 v2, 0x80000000, v2
	s_addc_u32 s1, s31, s35
	v_lshlrev_b32_e32 v0, 3, v0
	global_store_dwordx2 v0, v[1:2], s[0:1]
	s_endpgm
	.section	.rodata,"a",@progbits
	.p2align	6, 0x0
	.amdhsa_kernel _Z17sort_pairs_kernelI22helper_blocked_blockedxLj320ELj1ELj10EEvPKT0_PS1_
		.amdhsa_group_segment_fixed_size 5152
		.amdhsa_private_segment_fixed_size 0
		.amdhsa_kernarg_size 272
		.amdhsa_user_sgpr_count 6
		.amdhsa_user_sgpr_private_segment_buffer 1
		.amdhsa_user_sgpr_dispatch_ptr 0
		.amdhsa_user_sgpr_queue_ptr 0
		.amdhsa_user_sgpr_kernarg_segment_ptr 1
		.amdhsa_user_sgpr_dispatch_id 0
		.amdhsa_user_sgpr_flat_scratch_init 0
		.amdhsa_user_sgpr_private_segment_size 0
		.amdhsa_uses_dynamic_stack 0
		.amdhsa_system_sgpr_private_segment_wavefront_offset 0
		.amdhsa_system_sgpr_workgroup_id_x 1
		.amdhsa_system_sgpr_workgroup_id_y 0
		.amdhsa_system_sgpr_workgroup_id_z 0
		.amdhsa_system_sgpr_workgroup_info 0
		.amdhsa_system_vgpr_workitem_id 2
		.amdhsa_next_free_vgpr 23
		.amdhsa_next_free_sgpr 40
		.amdhsa_reserve_vcc 1
		.amdhsa_reserve_flat_scratch 0
		.amdhsa_float_round_mode_32 0
		.amdhsa_float_round_mode_16_64 0
		.amdhsa_float_denorm_mode_32 3
		.amdhsa_float_denorm_mode_16_64 3
		.amdhsa_dx10_clamp 1
		.amdhsa_ieee_mode 1
		.amdhsa_fp16_overflow 0
		.amdhsa_exception_fp_ieee_invalid_op 0
		.amdhsa_exception_fp_denorm_src 0
		.amdhsa_exception_fp_ieee_div_zero 0
		.amdhsa_exception_fp_ieee_overflow 0
		.amdhsa_exception_fp_ieee_underflow 0
		.amdhsa_exception_fp_ieee_inexact 0
		.amdhsa_exception_int_div_zero 0
	.end_amdhsa_kernel
	.section	.text._Z17sort_pairs_kernelI22helper_blocked_blockedxLj320ELj1ELj10EEvPKT0_PS1_,"axG",@progbits,_Z17sort_pairs_kernelI22helper_blocked_blockedxLj320ELj1ELj10EEvPKT0_PS1_,comdat
.Lfunc_end129:
	.size	_Z17sort_pairs_kernelI22helper_blocked_blockedxLj320ELj1ELj10EEvPKT0_PS1_, .Lfunc_end129-_Z17sort_pairs_kernelI22helper_blocked_blockedxLj320ELj1ELj10EEvPKT0_PS1_
                                        ; -- End function
	.set _Z17sort_pairs_kernelI22helper_blocked_blockedxLj320ELj1ELj10EEvPKT0_PS1_.num_vgpr, 23
	.set _Z17sort_pairs_kernelI22helper_blocked_blockedxLj320ELj1ELj10EEvPKT0_PS1_.num_agpr, 0
	.set _Z17sort_pairs_kernelI22helper_blocked_blockedxLj320ELj1ELj10EEvPKT0_PS1_.numbered_sgpr, 40
	.set _Z17sort_pairs_kernelI22helper_blocked_blockedxLj320ELj1ELj10EEvPKT0_PS1_.num_named_barrier, 0
	.set _Z17sort_pairs_kernelI22helper_blocked_blockedxLj320ELj1ELj10EEvPKT0_PS1_.private_seg_size, 0
	.set _Z17sort_pairs_kernelI22helper_blocked_blockedxLj320ELj1ELj10EEvPKT0_PS1_.uses_vcc, 1
	.set _Z17sort_pairs_kernelI22helper_blocked_blockedxLj320ELj1ELj10EEvPKT0_PS1_.uses_flat_scratch, 0
	.set _Z17sort_pairs_kernelI22helper_blocked_blockedxLj320ELj1ELj10EEvPKT0_PS1_.has_dyn_sized_stack, 0
	.set _Z17sort_pairs_kernelI22helper_blocked_blockedxLj320ELj1ELj10EEvPKT0_PS1_.has_recursion, 0
	.set _Z17sort_pairs_kernelI22helper_blocked_blockedxLj320ELj1ELj10EEvPKT0_PS1_.has_indirect_call, 0
	.section	.AMDGPU.csdata,"",@progbits
; Kernel info:
; codeLenInByte = 1412
; TotalNumSgprs: 44
; NumVgprs: 23
; ScratchSize: 0
; MemoryBound: 0
; FloatMode: 240
; IeeeMode: 1
; LDSByteSize: 5152 bytes/workgroup (compile time only)
; SGPRBlocks: 5
; VGPRBlocks: 5
; NumSGPRsForWavesPerEU: 44
; NumVGPRsForWavesPerEU: 23
; Occupancy: 10
; WaveLimiterHint : 0
; COMPUTE_PGM_RSRC2:SCRATCH_EN: 0
; COMPUTE_PGM_RSRC2:USER_SGPR: 6
; COMPUTE_PGM_RSRC2:TRAP_HANDLER: 0
; COMPUTE_PGM_RSRC2:TGID_X_EN: 1
; COMPUTE_PGM_RSRC2:TGID_Y_EN: 0
; COMPUTE_PGM_RSRC2:TGID_Z_EN: 0
; COMPUTE_PGM_RSRC2:TIDIG_COMP_CNT: 2
	.section	.text._Z16sort_keys_kernelI22helper_blocked_blockedxLj320ELj3ELj10EEvPKT0_PS1_,"axG",@progbits,_Z16sort_keys_kernelI22helper_blocked_blockedxLj320ELj3ELj10EEvPKT0_PS1_,comdat
	.protected	_Z16sort_keys_kernelI22helper_blocked_blockedxLj320ELj3ELj10EEvPKT0_PS1_ ; -- Begin function _Z16sort_keys_kernelI22helper_blocked_blockedxLj320ELj3ELj10EEvPKT0_PS1_
	.globl	_Z16sort_keys_kernelI22helper_blocked_blockedxLj320ELj3ELj10EEvPKT0_PS1_
	.p2align	8
	.type	_Z16sort_keys_kernelI22helper_blocked_blockedxLj320ELj3ELj10EEvPKT0_PS1_,@function
_Z16sort_keys_kernelI22helper_blocked_blockedxLj320ELj3ELj10EEvPKT0_PS1_: ; @_Z16sort_keys_kernelI22helper_blocked_blockedxLj320ELj3ELj10EEvPKT0_PS1_
; %bb.0:
	s_load_dwordx4 s[28:31], s[4:5], 0x0
	s_load_dword s2, s[4:5], 0x1c
	s_mul_i32 s34, s6, 0x3c0
	s_mov_b32 s35, 0
	s_lshl_b64 s[36:37], s[34:35], 3
	s_waitcnt lgkmcnt(0)
	s_add_u32 s0, s28, s36
	s_addc_u32 s1, s29, s37
	v_lshlrev_b32_e32 v7, 3, v0
	v_mov_b32_e32 v3, s1
	v_add_co_u32_e32 v4, vcc, s0, v7
	v_addc_co_u32_e32 v3, vcc, 0, v3, vcc
	s_movk_i32 s3, 0x1000
	v_add_co_u32_e32 v10, vcc, s3, v4
	v_addc_co_u32_e32 v11, vcc, 0, v3, vcc
	global_load_dwordx2 v[3:4], v7, s[0:1]
	global_load_dwordx2 v[5:6], v7, s[0:1] offset:2560
	global_load_dwordx2 v[8:9], v[10:11], off offset:1024
	s_lshr_b32 s0, s2, 16
	v_mbcnt_lo_u32_b32 v10, -1, 0
	s_and_b32 s1, s2, 0xffff
	v_mad_u32_u24 v1, v2, s0, v1
	v_mbcnt_hi_u32_b32 v10, -1, v10
	v_mad_u64_u32 v[1:2], s[0:1], v1, s1, v[0:1]
	v_lshrrev_b32_e32 v11, 6, v0
	v_and_b32_e32 v2, 15, v10
	v_mul_u32_u24_e32 v12, 0xc0, v11
	v_cmp_eq_u32_e64 s[0:1], 0, v2
	v_cmp_lt_u32_e64 s[2:3], 1, v2
	v_cmp_lt_u32_e64 s[4:5], 3, v2
	;; [unrolled: 1-line block ×3, first 2 shown]
	v_and_b32_e32 v2, 16, v10
	v_lshlrev_b32_e32 v12, 3, v12
	v_lshlrev_b32_e32 v13, 3, v10
	v_cmp_eq_u32_e64 s[8:9], 0, v2
	v_and_b32_e32 v2, 0x1c0, v0
	v_mad_u32_u24 v17, v10, 24, v12
	v_add_u32_e32 v18, v13, v12
	v_min_u32_e32 v12, 0x100, v2
	v_or_b32_e32 v12, 63, v12
	v_cmp_eq_u32_e64 s[10:11], v0, v12
	v_subrev_co_u32_e64 v12, s[12:13], 1, v10
	v_and_b32_e32 v14, 64, v10
	v_lshlrev_b32_e32 v19, 4, v0
	v_cmp_lt_i32_e32 vcc, v12, v14
	v_lshrrev_b32_e32 v1, 4, v1
	v_cmp_lt_u32_e64 s[14:15], 31, v10
	v_cndmask_b32_e32 v12, v12, v10, vcc
	v_lshlrev_b32_e32 v21, 2, v11
	v_and_b32_e32 v10, 7, v10
	v_mad_i32_i24 v22, v0, -12, v19
	v_mul_u32_u24_e32 v2, 24, v2
	v_and_b32_e32 v24, 0xffffffc, v1
	v_mul_u32_u24_e32 v1, 20, v0
	v_mov_b32_e32 v7, 0
	v_cmp_gt_u32_e64 s[16:17], 5, v0
	v_cmp_lt_u32_e64 s[18:19], 63, v0
	v_lshlrev_b32_e32 v20, 2, v12
	v_cmp_eq_u32_e64 s[20:21], 0, v0
	v_cmp_eq_u32_e64 s[22:23], 0, v10
	v_cmp_lt_u32_e64 s[24:25], 1, v10
	v_cmp_lt_u32_e64 s[26:27], 3, v10
	v_add_u32_e32 v23, -4, v21
	v_add_u32_e32 v25, v13, v2
	v_add_u32_e32 v26, v22, v1
	v_mov_b32_e32 v27, 20
	s_branch .LBB130_2
.LBB130_1:                              ;   in Loop: Header=BB130_2 Depth=1
	v_lshlrev_b32_e32 v1, 3, v30
	s_barrier
	ds_write_b64 v1, v[13:14]
	v_lshlrev_b32_e32 v1, 3, v28
	ds_write_b64 v1, v[11:12]
	v_lshlrev_b32_e32 v1, 3, v8
	ds_write_b64 v1, v[5:6]
	s_waitcnt lgkmcnt(0)
	s_barrier
	ds_read2_b64 v[3:6], v26 offset1:1
	ds_read_b64 v[8:9], v26 offset:16
	s_add_i32 s35, s35, 1
	s_cmp_eq_u32 s35, 10
	s_waitcnt lgkmcnt(1)
	v_xor_b32_e32 v4, 0x80000000, v4
	v_xor_b32_e32 v6, 0x80000000, v6
	s_waitcnt lgkmcnt(0)
	v_xor_b32_e32 v9, 0x80000000, v9
	s_cbranch_scc1 .LBB130_18
.LBB130_2:                              ; =>This Loop Header: Depth=1
                                        ;     Child Loop BB130_4 Depth 2
	s_waitcnt vmcnt(2)
	v_xor_b32_e32 v4, 0x80000000, v4
	s_waitcnt vmcnt(1)
	v_xor_b32_e32 v6, 0x80000000, v6
	;; [unrolled: 2-line block ×3, first 2 shown]
	ds_write2_b64 v17, v[3:4], v[5:6] offset1:1
	ds_write_b64 v17, v[8:9] offset:16
	; wave barrier
	ds_read2st64_b64 v[1:4], v18 offset1:1
	ds_read_b64 v[15:16], v18 offset:1024
	v_mov_b32_e32 v9, 0
	v_mov_b32_e32 v10, 0
	s_waitcnt lgkmcnt(0)
	s_barrier
	; wave barrier
	s_barrier
	s_branch .LBB130_4
.LBB130_3:                              ;   in Loop: Header=BB130_4 Depth=2
	s_andn2_b64 vcc, exec, s[28:29]
	s_cbranch_vccz .LBB130_1
.LBB130_4:                              ;   Parent Loop BB130_2 Depth=1
                                        ; =>  This Inner Loop Header: Depth=2
	v_mov_b32_e32 v14, v2
	v_mov_b32_e32 v13, v1
	v_lshrrev_b64 v[1:2], v9, v[13:14]
	v_mov_b32_e32 v12, v4
	v_and_b32_e32 v2, 1, v1
	v_mov_b32_e32 v11, v3
	v_add_co_u32_e32 v4, vcc, -1, v2
	v_addc_co_u32_e64 v8, s[28:29], 0, -1, vcc
	v_cmp_ne_u32_e32 vcc, 0, v2
	v_xor_b32_e32 v2, vcc_hi, v8
	v_lshlrev_b32_e32 v8, 30, v1
	v_xor_b32_e32 v4, vcc_lo, v4
	v_cmp_gt_i64_e32 vcc, 0, v[7:8]
	v_not_b32_e32 v8, v8
	v_mov_b32_e32 v5, v15
	v_ashrrev_i32_e32 v8, 31, v8
	v_mov_b32_e32 v6, v16
	v_and_b32_e32 v4, exec_lo, v4
	v_xor_b32_e32 v15, vcc_hi, v8
	v_xor_b32_e32 v8, vcc_lo, v8
	v_and_b32_e32 v4, v4, v8
	v_lshlrev_b32_e32 v8, 29, v1
	v_cmp_gt_i64_e32 vcc, 0, v[7:8]
	v_not_b32_e32 v8, v8
	v_and_b32_e32 v2, exec_hi, v2
	v_ashrrev_i32_e32 v8, 31, v8
	v_and_b32_e32 v2, v2, v15
	v_xor_b32_e32 v15, vcc_hi, v8
	v_xor_b32_e32 v8, vcc_lo, v8
	v_and_b32_e32 v4, v4, v8
	v_lshlrev_b32_e32 v8, 28, v1
	v_cmp_gt_i64_e32 vcc, 0, v[7:8]
	v_not_b32_e32 v8, v8
	v_ashrrev_i32_e32 v8, 31, v8
	v_and_b32_e32 v2, v2, v15
	v_xor_b32_e32 v15, vcc_hi, v8
	v_xor_b32_e32 v8, vcc_lo, v8
	v_and_b32_e32 v4, v4, v8
	v_lshlrev_b32_e32 v8, 27, v1
	v_cmp_gt_i64_e32 vcc, 0, v[7:8]
	v_not_b32_e32 v8, v8
	;; [unrolled: 8-line block ×4, first 2 shown]
	v_ashrrev_i32_e32 v8, 31, v8
	v_and_b32_e32 v2, v2, v15
	v_xor_b32_e32 v15, vcc_hi, v8
	v_xor_b32_e32 v8, vcc_lo, v8
	v_and_b32_e32 v4, v4, v8
	v_lshlrev_b32_e32 v8, 24, v1
	v_mul_u32_u24_sdwa v3, v1, v27 dst_sel:DWORD dst_unused:UNUSED_PAD src0_sel:BYTE_0 src1_sel:DWORD
	v_cmp_gt_i64_e32 vcc, 0, v[7:8]
	v_not_b32_e32 v1, v8
	v_ashrrev_i32_e32 v1, 31, v1
	v_xor_b32_e32 v8, vcc_hi, v1
	v_xor_b32_e32 v1, vcc_lo, v1
	v_and_b32_e32 v2, v2, v15
	v_and_b32_e32 v1, v4, v1
	;; [unrolled: 1-line block ×3, first 2 shown]
	v_mbcnt_lo_u32_b32 v4, v1, 0
	v_mbcnt_hi_u32_b32 v15, v2, v4
	v_cmp_ne_u64_e32 vcc, 0, v[1:2]
	v_cmp_eq_u32_e64 s[28:29], 0, v15
	s_and_b64 s[38:39], vcc, s[28:29]
	v_add_u32_e32 v16, v24, v3
	ds_write2_b32 v19, v7, v7 offset0:5 offset1:6
	ds_write2_b32 v19, v7, v7 offset0:7 offset1:8
	s_waitcnt lgkmcnt(0)
	s_barrier
	; wave barrier
	s_and_saveexec_b64 s[28:29], s[38:39]
; %bb.5:                                ;   in Loop: Header=BB130_4 Depth=2
	v_bcnt_u32_b32 v1, v1, 0
	v_bcnt_u32_b32 v1, v2, v1
	ds_write_b32 v16, v1 offset:20
; %bb.6:                                ;   in Loop: Header=BB130_4 Depth=2
	s_or_b64 exec, exec, s[28:29]
	v_lshrrev_b64 v[1:2], v9, v[11:12]
	v_and_b32_e32 v2, 0xff, v1
	v_mul_u32_u24_e32 v3, 20, v2
	v_mad_u32_u24 v2, v2, 20, v24
	; wave barrier
	ds_read_b32 v28, v2 offset:20
	v_and_b32_e32 v2, 1, v1
	v_add_co_u32_e32 v4, vcc, -1, v2
	v_addc_co_u32_e64 v8, s[28:29], 0, -1, vcc
	v_cmp_ne_u32_e32 vcc, 0, v2
	v_xor_b32_e32 v2, vcc_hi, v8
	v_lshlrev_b32_e32 v8, 30, v1
	v_xor_b32_e32 v4, vcc_lo, v4
	v_cmp_gt_i64_e32 vcc, 0, v[7:8]
	v_not_b32_e32 v8, v8
	v_ashrrev_i32_e32 v8, 31, v8
	v_and_b32_e32 v4, exec_lo, v4
	v_xor_b32_e32 v29, vcc_hi, v8
	v_xor_b32_e32 v8, vcc_lo, v8
	v_and_b32_e32 v4, v4, v8
	v_lshlrev_b32_e32 v8, 29, v1
	v_cmp_gt_i64_e32 vcc, 0, v[7:8]
	v_not_b32_e32 v8, v8
	v_and_b32_e32 v2, exec_hi, v2
	v_ashrrev_i32_e32 v8, 31, v8
	v_and_b32_e32 v2, v2, v29
	v_xor_b32_e32 v29, vcc_hi, v8
	v_xor_b32_e32 v8, vcc_lo, v8
	v_and_b32_e32 v4, v4, v8
	v_lshlrev_b32_e32 v8, 28, v1
	v_cmp_gt_i64_e32 vcc, 0, v[7:8]
	v_not_b32_e32 v8, v8
	v_ashrrev_i32_e32 v8, 31, v8
	v_and_b32_e32 v2, v2, v29
	v_xor_b32_e32 v29, vcc_hi, v8
	v_xor_b32_e32 v8, vcc_lo, v8
	v_and_b32_e32 v4, v4, v8
	v_lshlrev_b32_e32 v8, 27, v1
	v_cmp_gt_i64_e32 vcc, 0, v[7:8]
	v_not_b32_e32 v8, v8
	v_ashrrev_i32_e32 v8, 31, v8
	v_and_b32_e32 v2, v2, v29
	v_xor_b32_e32 v29, vcc_hi, v8
	v_xor_b32_e32 v8, vcc_lo, v8
	v_and_b32_e32 v4, v4, v8
	v_lshlrev_b32_e32 v8, 26, v1
	v_cmp_gt_i64_e32 vcc, 0, v[7:8]
	v_not_b32_e32 v8, v8
	v_ashrrev_i32_e32 v8, 31, v8
	v_and_b32_e32 v2, v2, v29
	v_xor_b32_e32 v29, vcc_hi, v8
	v_xor_b32_e32 v8, vcc_lo, v8
	v_and_b32_e32 v4, v4, v8
	v_lshlrev_b32_e32 v8, 25, v1
	v_cmp_gt_i64_e32 vcc, 0, v[7:8]
	v_not_b32_e32 v8, v8
	v_ashrrev_i32_e32 v8, 31, v8
	v_and_b32_e32 v2, v2, v29
	v_xor_b32_e32 v29, vcc_hi, v8
	v_xor_b32_e32 v8, vcc_lo, v8
	v_and_b32_e32 v4, v4, v8
	v_lshlrev_b32_e32 v8, 24, v1
	v_cmp_gt_i64_e32 vcc, 0, v[7:8]
	v_not_b32_e32 v1, v8
	v_ashrrev_i32_e32 v1, 31, v1
	v_xor_b32_e32 v8, vcc_hi, v1
	v_xor_b32_e32 v1, vcc_lo, v1
	v_and_b32_e32 v2, v2, v29
	v_and_b32_e32 v1, v4, v1
	v_and_b32_e32 v2, v2, v8
	v_mbcnt_lo_u32_b32 v4, v1, 0
	v_mbcnt_hi_u32_b32 v29, v2, v4
	v_cmp_ne_u64_e32 vcc, 0, v[1:2]
	v_cmp_eq_u32_e64 s[28:29], 0, v29
	s_and_b64 s[38:39], vcc, s[28:29]
	v_add_u32_e32 v30, v24, v3
	; wave barrier
	s_and_saveexec_b64 s[28:29], s[38:39]
	s_cbranch_execz .LBB130_8
; %bb.7:                                ;   in Loop: Header=BB130_4 Depth=2
	v_bcnt_u32_b32 v1, v1, 0
	v_bcnt_u32_b32 v1, v2, v1
	s_waitcnt lgkmcnt(0)
	v_add_u32_e32 v1, v28, v1
	ds_write_b32 v30, v1 offset:20
.LBB130_8:                              ;   in Loop: Header=BB130_4 Depth=2
	s_or_b64 exec, exec, s[28:29]
	v_lshrrev_b64 v[1:2], v9, v[5:6]
	v_and_b32_e32 v2, 0xff, v1
	v_mul_u32_u24_e32 v3, 20, v2
	v_mad_u32_u24 v2, v2, 20, v24
	; wave barrier
	ds_read_b32 v31, v2 offset:20
	v_and_b32_e32 v2, 1, v1
	v_add_co_u32_e32 v4, vcc, -1, v2
	v_addc_co_u32_e64 v8, s[28:29], 0, -1, vcc
	v_cmp_ne_u32_e32 vcc, 0, v2
	v_xor_b32_e32 v2, vcc_hi, v8
	v_lshlrev_b32_e32 v8, 30, v1
	v_xor_b32_e32 v4, vcc_lo, v4
	v_cmp_gt_i64_e32 vcc, 0, v[7:8]
	v_not_b32_e32 v8, v8
	v_ashrrev_i32_e32 v8, 31, v8
	v_and_b32_e32 v4, exec_lo, v4
	v_xor_b32_e32 v32, vcc_hi, v8
	v_xor_b32_e32 v8, vcc_lo, v8
	v_and_b32_e32 v4, v4, v8
	v_lshlrev_b32_e32 v8, 29, v1
	v_cmp_gt_i64_e32 vcc, 0, v[7:8]
	v_not_b32_e32 v8, v8
	v_and_b32_e32 v2, exec_hi, v2
	v_ashrrev_i32_e32 v8, 31, v8
	v_and_b32_e32 v2, v2, v32
	v_xor_b32_e32 v32, vcc_hi, v8
	v_xor_b32_e32 v8, vcc_lo, v8
	v_and_b32_e32 v4, v4, v8
	v_lshlrev_b32_e32 v8, 28, v1
	v_cmp_gt_i64_e32 vcc, 0, v[7:8]
	v_not_b32_e32 v8, v8
	v_ashrrev_i32_e32 v8, 31, v8
	v_and_b32_e32 v2, v2, v32
	v_xor_b32_e32 v32, vcc_hi, v8
	v_xor_b32_e32 v8, vcc_lo, v8
	v_and_b32_e32 v4, v4, v8
	v_lshlrev_b32_e32 v8, 27, v1
	v_cmp_gt_i64_e32 vcc, 0, v[7:8]
	v_not_b32_e32 v8, v8
	;; [unrolled: 8-line block ×5, first 2 shown]
	v_ashrrev_i32_e32 v1, 31, v1
	v_xor_b32_e32 v8, vcc_hi, v1
	v_xor_b32_e32 v1, vcc_lo, v1
	v_and_b32_e32 v2, v2, v32
	v_and_b32_e32 v1, v4, v1
	;; [unrolled: 1-line block ×3, first 2 shown]
	v_mbcnt_lo_u32_b32 v4, v1, 0
	v_mbcnt_hi_u32_b32 v8, v2, v4
	v_cmp_ne_u64_e32 vcc, 0, v[1:2]
	v_cmp_eq_u32_e64 s[28:29], 0, v8
	s_and_b64 s[38:39], vcc, s[28:29]
	v_add_u32_e32 v32, v24, v3
	; wave barrier
	s_and_saveexec_b64 s[28:29], s[38:39]
	s_cbranch_execz .LBB130_10
; %bb.9:                                ;   in Loop: Header=BB130_4 Depth=2
	v_bcnt_u32_b32 v1, v1, 0
	v_bcnt_u32_b32 v1, v2, v1
	s_waitcnt lgkmcnt(0)
	v_add_u32_e32 v1, v31, v1
	ds_write_b32 v32, v1 offset:20
.LBB130_10:                             ;   in Loop: Header=BB130_4 Depth=2
	s_or_b64 exec, exec, s[28:29]
	; wave barrier
	s_waitcnt lgkmcnt(0)
	s_barrier
	ds_read2_b32 v[3:4], v19 offset0:5 offset1:6
	ds_read2_b32 v[1:2], v19 offset0:7 offset1:8
	s_waitcnt lgkmcnt(1)
	v_add_u32_e32 v33, v4, v3
	s_waitcnt lgkmcnt(0)
	v_add3_u32 v2, v33, v1, v2
	s_nop 1
	v_mov_b32_dpp v33, v2 row_shr:1 row_mask:0xf bank_mask:0xf
	v_cndmask_b32_e64 v33, v33, 0, s[0:1]
	v_add_u32_e32 v2, v33, v2
	s_nop 1
	v_mov_b32_dpp v33, v2 row_shr:2 row_mask:0xf bank_mask:0xf
	v_cndmask_b32_e64 v33, 0, v33, s[2:3]
	v_add_u32_e32 v2, v2, v33
	;; [unrolled: 4-line block ×4, first 2 shown]
	s_nop 1
	v_mov_b32_dpp v33, v2 row_bcast:15 row_mask:0xf bank_mask:0xf
	v_cndmask_b32_e64 v33, v33, 0, s[8:9]
	v_add_u32_e32 v2, v2, v33
	s_nop 1
	v_mov_b32_dpp v33, v2 row_bcast:31 row_mask:0xf bank_mask:0xf
	v_cndmask_b32_e64 v33, 0, v33, s[14:15]
	v_add_u32_e32 v2, v2, v33
	s_and_saveexec_b64 s[28:29], s[10:11]
; %bb.11:                               ;   in Loop: Header=BB130_4 Depth=2
	ds_write_b32 v21, v2
; %bb.12:                               ;   in Loop: Header=BB130_4 Depth=2
	s_or_b64 exec, exec, s[28:29]
	s_waitcnt lgkmcnt(0)
	s_barrier
	s_and_saveexec_b64 s[28:29], s[16:17]
	s_cbranch_execz .LBB130_14
; %bb.13:                               ;   in Loop: Header=BB130_4 Depth=2
	ds_read_b32 v33, v22
	s_waitcnt lgkmcnt(0)
	s_nop 0
	v_mov_b32_dpp v34, v33 row_shr:1 row_mask:0xf bank_mask:0xf
	v_cndmask_b32_e64 v34, v34, 0, s[22:23]
	v_add_u32_e32 v33, v34, v33
	s_nop 1
	v_mov_b32_dpp v34, v33 row_shr:2 row_mask:0xf bank_mask:0xf
	v_cndmask_b32_e64 v34, 0, v34, s[24:25]
	v_add_u32_e32 v33, v33, v34
	;; [unrolled: 4-line block ×3, first 2 shown]
	ds_write_b32 v22, v33
.LBB130_14:                             ;   in Loop: Header=BB130_4 Depth=2
	s_or_b64 exec, exec, s[28:29]
	v_mov_b32_e32 v33, 0
	s_waitcnt lgkmcnt(0)
	s_barrier
	s_and_saveexec_b64 s[28:29], s[18:19]
; %bb.15:                               ;   in Loop: Header=BB130_4 Depth=2
	ds_read_b32 v33, v23
; %bb.16:                               ;   in Loop: Header=BB130_4 Depth=2
	s_or_b64 exec, exec, s[28:29]
	s_waitcnt lgkmcnt(0)
	v_add_u32_e32 v2, v33, v2
	ds_bpermute_b32 v2, v20, v2
	v_cmp_lt_u32_e32 vcc, 55, v9
	s_and_b64 vcc, exec, vcc
	s_mov_b64 s[28:29], -1
	s_waitcnt lgkmcnt(0)
	v_cndmask_b32_e64 v2, v2, v33, s[12:13]
	v_cndmask_b32_e64 v2, v2, 0, s[20:21]
	v_add_u32_e32 v3, v2, v3
	v_add_u32_e32 v4, v3, v4
	;; [unrolled: 1-line block ×3, first 2 shown]
	ds_write2_b32 v19, v2, v3 offset0:5 offset1:6
	ds_write2_b32 v19, v4, v1 offset0:7 offset1:8
	s_waitcnt lgkmcnt(0)
	s_barrier
	ds_read_b32 v1, v16 offset:20
	ds_read_b32 v2, v30 offset:20
	;; [unrolled: 1-line block ×3, first 2 shown]
	s_waitcnt lgkmcnt(2)
	v_add_u32_e32 v30, v1, v15
	s_waitcnt lgkmcnt(1)
	v_add3_u32 v28, v29, v28, v2
	s_waitcnt lgkmcnt(0)
	v_add3_u32 v8, v8, v31, v3
                                        ; implicit-def: $vgpr15_vgpr16
                                        ; implicit-def: $vgpr3_vgpr4
	s_cbranch_vccnz .LBB130_3
; %bb.17:                               ;   in Loop: Header=BB130_4 Depth=2
	v_lshlrev_b32_e32 v1, 3, v30
	s_barrier
	ds_write_b64 v1, v[13:14]
	v_lshlrev_b32_e32 v1, 3, v28
	ds_write_b64 v1, v[11:12]
	v_lshlrev_b32_e32 v1, 3, v8
	ds_write_b64 v1, v[5:6]
	s_waitcnt lgkmcnt(0)
	s_barrier
	ds_read2st64_b64 v[1:4], v25 offset1:1
	ds_read_b64 v[15:16], v25 offset:1024
	v_add_co_u32_e32 v9, vcc, 8, v9
	v_addc_co_u32_e32 v10, vcc, 0, v10, vcc
	s_mov_b64 s[28:29], 0
	s_waitcnt lgkmcnt(0)
	s_barrier
	s_branch .LBB130_3
.LBB130_18:
	s_add_u32 s0, s30, s36
	s_addc_u32 s1, s31, s37
	v_lshlrev_b32_e32 v0, 3, v0
	v_mov_b32_e32 v1, s1
	v_add_co_u32_e32 v2, vcc, s0, v0
	v_addc_co_u32_e32 v1, vcc, 0, v1, vcc
	global_store_dwordx2 v0, v[3:4], s[0:1]
	global_store_dwordx2 v0, v[5:6], s[0:1] offset:2560
	v_add_co_u32_e32 v0, vcc, 0x1000, v2
	v_addc_co_u32_e32 v1, vcc, 0, v1, vcc
	global_store_dwordx2 v[0:1], v[8:9], off offset:1024
	s_endpgm
	.section	.rodata,"a",@progbits
	.p2align	6, 0x0
	.amdhsa_kernel _Z16sort_keys_kernelI22helper_blocked_blockedxLj320ELj3ELj10EEvPKT0_PS1_
		.amdhsa_group_segment_fixed_size 7680
		.amdhsa_private_segment_fixed_size 0
		.amdhsa_kernarg_size 272
		.amdhsa_user_sgpr_count 6
		.amdhsa_user_sgpr_private_segment_buffer 1
		.amdhsa_user_sgpr_dispatch_ptr 0
		.amdhsa_user_sgpr_queue_ptr 0
		.amdhsa_user_sgpr_kernarg_segment_ptr 1
		.amdhsa_user_sgpr_dispatch_id 0
		.amdhsa_user_sgpr_flat_scratch_init 0
		.amdhsa_user_sgpr_private_segment_size 0
		.amdhsa_uses_dynamic_stack 0
		.amdhsa_system_sgpr_private_segment_wavefront_offset 0
		.amdhsa_system_sgpr_workgroup_id_x 1
		.amdhsa_system_sgpr_workgroup_id_y 0
		.amdhsa_system_sgpr_workgroup_id_z 0
		.amdhsa_system_sgpr_workgroup_info 0
		.amdhsa_system_vgpr_workitem_id 2
		.amdhsa_next_free_vgpr 35
		.amdhsa_next_free_sgpr 40
		.amdhsa_reserve_vcc 1
		.amdhsa_reserve_flat_scratch 0
		.amdhsa_float_round_mode_32 0
		.amdhsa_float_round_mode_16_64 0
		.amdhsa_float_denorm_mode_32 3
		.amdhsa_float_denorm_mode_16_64 3
		.amdhsa_dx10_clamp 1
		.amdhsa_ieee_mode 1
		.amdhsa_fp16_overflow 0
		.amdhsa_exception_fp_ieee_invalid_op 0
		.amdhsa_exception_fp_denorm_src 0
		.amdhsa_exception_fp_ieee_div_zero 0
		.amdhsa_exception_fp_ieee_overflow 0
		.amdhsa_exception_fp_ieee_underflow 0
		.amdhsa_exception_fp_ieee_inexact 0
		.amdhsa_exception_int_div_zero 0
	.end_amdhsa_kernel
	.section	.text._Z16sort_keys_kernelI22helper_blocked_blockedxLj320ELj3ELj10EEvPKT0_PS1_,"axG",@progbits,_Z16sort_keys_kernelI22helper_blocked_blockedxLj320ELj3ELj10EEvPKT0_PS1_,comdat
.Lfunc_end130:
	.size	_Z16sort_keys_kernelI22helper_blocked_blockedxLj320ELj3ELj10EEvPKT0_PS1_, .Lfunc_end130-_Z16sort_keys_kernelI22helper_blocked_blockedxLj320ELj3ELj10EEvPKT0_PS1_
                                        ; -- End function
	.set _Z16sort_keys_kernelI22helper_blocked_blockedxLj320ELj3ELj10EEvPKT0_PS1_.num_vgpr, 35
	.set _Z16sort_keys_kernelI22helper_blocked_blockedxLj320ELj3ELj10EEvPKT0_PS1_.num_agpr, 0
	.set _Z16sort_keys_kernelI22helper_blocked_blockedxLj320ELj3ELj10EEvPKT0_PS1_.numbered_sgpr, 40
	.set _Z16sort_keys_kernelI22helper_blocked_blockedxLj320ELj3ELj10EEvPKT0_PS1_.num_named_barrier, 0
	.set _Z16sort_keys_kernelI22helper_blocked_blockedxLj320ELj3ELj10EEvPKT0_PS1_.private_seg_size, 0
	.set _Z16sort_keys_kernelI22helper_blocked_blockedxLj320ELj3ELj10EEvPKT0_PS1_.uses_vcc, 1
	.set _Z16sort_keys_kernelI22helper_blocked_blockedxLj320ELj3ELj10EEvPKT0_PS1_.uses_flat_scratch, 0
	.set _Z16sort_keys_kernelI22helper_blocked_blockedxLj320ELj3ELj10EEvPKT0_PS1_.has_dyn_sized_stack, 0
	.set _Z16sort_keys_kernelI22helper_blocked_blockedxLj320ELj3ELj10EEvPKT0_PS1_.has_recursion, 0
	.set _Z16sort_keys_kernelI22helper_blocked_blockedxLj320ELj3ELj10EEvPKT0_PS1_.has_indirect_call, 0
	.section	.AMDGPU.csdata,"",@progbits
; Kernel info:
; codeLenInByte = 2384
; TotalNumSgprs: 44
; NumVgprs: 35
; ScratchSize: 0
; MemoryBound: 0
; FloatMode: 240
; IeeeMode: 1
; LDSByteSize: 7680 bytes/workgroup (compile time only)
; SGPRBlocks: 5
; VGPRBlocks: 8
; NumSGPRsForWavesPerEU: 44
; NumVGPRsForWavesPerEU: 35
; Occupancy: 7
; WaveLimiterHint : 1
; COMPUTE_PGM_RSRC2:SCRATCH_EN: 0
; COMPUTE_PGM_RSRC2:USER_SGPR: 6
; COMPUTE_PGM_RSRC2:TRAP_HANDLER: 0
; COMPUTE_PGM_RSRC2:TGID_X_EN: 1
; COMPUTE_PGM_RSRC2:TGID_Y_EN: 0
; COMPUTE_PGM_RSRC2:TGID_Z_EN: 0
; COMPUTE_PGM_RSRC2:TIDIG_COMP_CNT: 2
	.section	.text._Z17sort_pairs_kernelI22helper_blocked_blockedxLj320ELj3ELj10EEvPKT0_PS1_,"axG",@progbits,_Z17sort_pairs_kernelI22helper_blocked_blockedxLj320ELj3ELj10EEvPKT0_PS1_,comdat
	.protected	_Z17sort_pairs_kernelI22helper_blocked_blockedxLj320ELj3ELj10EEvPKT0_PS1_ ; -- Begin function _Z17sort_pairs_kernelI22helper_blocked_blockedxLj320ELj3ELj10EEvPKT0_PS1_
	.globl	_Z17sort_pairs_kernelI22helper_blocked_blockedxLj320ELj3ELj10EEvPKT0_PS1_
	.p2align	8
	.type	_Z17sort_pairs_kernelI22helper_blocked_blockedxLj320ELj3ELj10EEvPKT0_PS1_,@function
_Z17sort_pairs_kernelI22helper_blocked_blockedxLj320ELj3ELj10EEvPKT0_PS1_: ; @_Z17sort_pairs_kernelI22helper_blocked_blockedxLj320ELj3ELj10EEvPKT0_PS1_
; %bb.0:
	s_load_dwordx4 s[28:31], s[4:5], 0x0
	s_load_dword s26, s[4:5], 0x1c
	s_mul_i32 s36, s6, 0x3c0
	s_mov_b32 s37, 0
	s_lshl_b64 s[34:35], s[36:37], 3
	s_waitcnt lgkmcnt(0)
	s_add_u32 s0, s28, s34
	s_addc_u32 s1, s29, s35
	v_lshlrev_b32_e32 v5, 3, v0
	v_mov_b32_e32 v6, s1
	global_load_dwordx2 v[3:4], v5, s[0:1]
	v_add_co_u32_e32 v7, vcc, s0, v5
	v_addc_co_u32_e32 v8, vcc, 0, v6, vcc
	global_load_dwordx2 v[5:6], v5, s[0:1] offset:2560
	s_movk_i32 s0, 0x1000
	v_add_co_u32_e32 v7, vcc, s0, v7
	v_addc_co_u32_e32 v8, vcc, 0, v8, vcc
	global_load_dwordx2 v[12:13], v[7:8], off offset:1024
	v_mbcnt_lo_u32_b32 v7, -1, 0
	v_mbcnt_hi_u32_b32 v7, -1, v7
	v_lshrrev_b32_e32 v8, 6, v0
	v_mul_u32_u24_e32 v11, 0xc0, v8
	v_subrev_co_u32_e64 v18, s[8:9], 1, v7
	v_and_b32_e32 v19, 64, v7
	v_lshlrev_b32_e32 v31, 2, v8
	v_and_b32_e32 v8, 7, v7
	s_lshr_b32 s27, s26, 16
	v_and_b32_e32 v15, 15, v7
	v_cmp_eq_u32_e64 s[20:21], 0, v8
	v_cmp_lt_u32_e64 s[22:23], 1, v8
	v_cmp_lt_u32_e64 s[24:25], 3, v8
	v_lshlrev_b32_e32 v8, 3, v11
	v_cmp_lt_i32_e32 vcc, v18, v19
	s_and_b32 s26, s26, 0xffff
	v_mad_u32_u24 v1, v2, s27, v1
	v_and_b32_e32 v9, 0x1c0, v0
	v_lshlrev_b32_e32 v14, 3, v7
	v_and_b32_e32 v16, 16, v7
	v_cmp_lt_u32_e64 s[6:7], 31, v7
	v_cmp_eq_u32_e64 s[10:11], 0, v15
	v_cmp_lt_u32_e64 s[12:13], 1, v15
	v_cmp_lt_u32_e64 s[14:15], 3, v15
	;; [unrolled: 1-line block ×3, first 2 shown]
	v_cndmask_b32_e32 v15, v18, v7, vcc
	v_mad_u32_u24 v36, v7, 24, v8
	v_mad_u64_u32 v[1:2], s[26:27], v1, s26, v[0:1]
	v_lshlrev_b32_e32 v30, 4, v0
	v_min_u32_e32 v17, 0x100, v9
	v_mul_u32_u24_e32 v9, 24, v9
	v_add_u32_e32 v37, v14, v8
	v_mul_u32_u24_e32 v10, 20, v0
	v_mad_i32_i24 v32, v0, -12, v30
	v_add_u32_e32 v33, v14, v9
	v_add_u32_e32 v34, v32, v10
	v_or_b32_e32 v11, 63, v17
	v_lshrrev_b32_e32 v1, 4, v1
	v_mov_b32_e32 v29, 20
	v_cmp_gt_u32_e64 s[0:1], 5, v0
	v_cmp_lt_u32_e64 s[2:3], 63, v0
	v_cmp_eq_u32_e64 s[4:5], 0, v0
	v_cmp_eq_u32_e64 s[18:19], 0, v16
	v_add_u32_e32 v35, -4, v31
	v_cmp_eq_u32_e64 s[26:27], v0, v11
	v_lshlrev_b32_e32 v38, 2, v15
	v_and_b32_e32 v39, 0xffffffc, v1
	v_mov_b32_e32 v11, 0
	s_waitcnt vmcnt(2)
	v_add_co_u32_e32 v7, vcc, 1, v3
	v_addc_co_u32_e32 v8, vcc, 0, v4, vcc
	s_waitcnt vmcnt(1)
	v_add_co_u32_e32 v9, vcc, 1, v5
	v_addc_co_u32_e32 v10, vcc, 0, v6, vcc
	;; [unrolled: 3-line block ×3, first 2 shown]
	s_branch .LBB131_2
.LBB131_1:                              ;   in Loop: Header=BB131_2 Depth=1
	v_lshlrev_b32_e32 v1, 3, v41
	v_lshlrev_b32_e32 v2, 3, v40
	;; [unrolled: 1-line block ×3, first 2 shown]
	s_barrier
	ds_write_b64 v1, v[19:20]
	ds_write_b64 v2, v[15:16]
	ds_write_b64 v7, v[23:24]
	s_waitcnt lgkmcnt(0)
	s_barrier
	ds_read2_b64 v[3:6], v34 offset1:1
	ds_read_b64 v[12:13], v34 offset:16
	s_waitcnt lgkmcnt(0)
	s_barrier
	ds_write_b64 v1, v[17:18]
	ds_write_b64 v2, v[9:10]
	;; [unrolled: 1-line block ×3, first 2 shown]
	s_waitcnt lgkmcnt(0)
	s_barrier
	ds_read2_b64 v[7:10], v34 offset1:1
	ds_read_b64 v[14:15], v34 offset:16
	s_add_i32 s37, s37, 1
	v_xor_b32_e32 v4, 0x80000000, v4
	v_xor_b32_e32 v6, 0x80000000, v6
	s_cmp_eq_u32 s37, 10
	v_xor_b32_e32 v13, 0x80000000, v13
	s_cbranch_scc1 .LBB131_18
.LBB131_2:                              ; =>This Loop Header: Depth=1
                                        ;     Child Loop BB131_4 Depth 2
	v_xor_b32_e32 v4, 0x80000000, v4
	v_xor_b32_e32 v6, 0x80000000, v6
	;; [unrolled: 1-line block ×3, first 2 shown]
	ds_write2_b64 v36, v[3:4], v[5:6] offset1:1
	ds_write_b64 v36, v[12:13] offset:16
	; wave barrier
	ds_read2st64_b64 v[1:4], v37 offset1:1
	ds_read_b64 v[25:26], v37 offset:1024
	; wave barrier
	s_waitcnt lgkmcnt(5)
	ds_write2_b64 v36, v[7:8], v[9:10] offset1:1
	s_waitcnt lgkmcnt(5)
	ds_write_b64 v36, v[14:15] offset:16
	; wave barrier
	ds_read2st64_b64 v[5:8], v37 offset1:1
	ds_read_b64 v[27:28], v37 offset:1024
	v_mov_b32_e32 v13, 0
	v_mov_b32_e32 v14, 0
	s_waitcnt lgkmcnt(0)
	s_barrier
	s_branch .LBB131_4
.LBB131_3:                              ;   in Loop: Header=BB131_4 Depth=2
	s_andn2_b64 vcc, exec, s[28:29]
	s_cbranch_vccz .LBB131_1
.LBB131_4:                              ;   Parent Loop BB131_2 Depth=1
                                        ; =>  This Inner Loop Header: Depth=2
	v_mov_b32_e32 v20, v2
	v_mov_b32_e32 v19, v1
	v_lshrrev_b64 v[1:2], v13, v[19:20]
	v_mov_b32_e32 v16, v4
	v_and_b32_e32 v2, 1, v1
	v_mov_b32_e32 v15, v3
	v_add_co_u32_e32 v3, vcc, -1, v2
	v_addc_co_u32_e64 v4, s[28:29], 0, -1, vcc
	v_cmp_ne_u32_e32 vcc, 0, v2
	v_lshlrev_b32_e32 v12, 30, v1
	v_xor_b32_e32 v2, vcc_hi, v4
	v_cmp_gt_i64_e64 s[28:29], 0, v[11:12]
	v_not_b32_e32 v4, v12
	v_mov_b32_e32 v18, v6
	v_ashrrev_i32_e32 v4, 31, v4
	v_xor_b32_e32 v3, vcc_lo, v3
	v_mov_b32_e32 v17, v5
	v_xor_b32_e32 v5, s29, v4
	v_and_b32_e32 v3, exec_lo, v3
	v_xor_b32_e32 v4, s28, v4
	v_lshlrev_b32_e32 v12, 29, v1
	v_and_b32_e32 v3, v3, v4
	v_cmp_gt_i64_e32 vcc, 0, v[11:12]
	v_not_b32_e32 v4, v12
	v_and_b32_e32 v2, exec_hi, v2
	v_ashrrev_i32_e32 v4, 31, v4
	v_and_b32_e32 v2, v2, v5
	v_xor_b32_e32 v5, vcc_hi, v4
	v_xor_b32_e32 v4, vcc_lo, v4
	v_lshlrev_b32_e32 v12, 28, v1
	v_and_b32_e32 v3, v3, v4
	v_cmp_gt_i64_e32 vcc, 0, v[11:12]
	v_not_b32_e32 v4, v12
	v_ashrrev_i32_e32 v4, 31, v4
	v_and_b32_e32 v2, v2, v5
	v_xor_b32_e32 v5, vcc_hi, v4
	v_xor_b32_e32 v4, vcc_lo, v4
	v_lshlrev_b32_e32 v12, 27, v1
	v_and_b32_e32 v3, v3, v4
	v_cmp_gt_i64_e32 vcc, 0, v[11:12]
	v_not_b32_e32 v4, v12
	v_ashrrev_i32_e32 v4, 31, v4
	v_and_b32_e32 v2, v2, v5
	v_xor_b32_e32 v5, vcc_hi, v4
	v_xor_b32_e32 v4, vcc_lo, v4
	v_lshlrev_b32_e32 v12, 26, v1
	v_and_b32_e32 v3, v3, v4
	v_cmp_gt_i64_e32 vcc, 0, v[11:12]
	v_not_b32_e32 v4, v12
	v_ashrrev_i32_e32 v4, 31, v4
	v_and_b32_e32 v2, v2, v5
	v_xor_b32_e32 v5, vcc_hi, v4
	v_xor_b32_e32 v4, vcc_lo, v4
	v_lshlrev_b32_e32 v12, 25, v1
	v_and_b32_e32 v3, v3, v4
	v_cmp_gt_i64_e32 vcc, 0, v[11:12]
	v_not_b32_e32 v4, v12
	v_ashrrev_i32_e32 v4, 31, v4
	v_and_b32_e32 v2, v2, v5
	v_xor_b32_e32 v5, vcc_hi, v4
	v_xor_b32_e32 v4, vcc_lo, v4
	v_lshlrev_b32_e32 v12, 24, v1
	v_and_b32_e32 v3, v3, v4
	v_mul_u32_u24_sdwa v4, v1, v29 dst_sel:DWORD dst_unused:UNUSED_PAD src0_sel:BYTE_0 src1_sel:DWORD
	v_cmp_gt_i64_e32 vcc, 0, v[11:12]
	v_not_b32_e32 v1, v12
	v_ashrrev_i32_e32 v1, 31, v1
	v_and_b32_e32 v2, v2, v5
	v_xor_b32_e32 v5, vcc_hi, v1
	v_xor_b32_e32 v1, vcc_lo, v1
	v_and_b32_e32 v1, v3, v1
	v_and_b32_e32 v2, v2, v5
	v_mbcnt_lo_u32_b32 v3, v1, 0
	v_mbcnt_hi_u32_b32 v5, v2, v3
	v_cmp_ne_u64_e32 vcc, 0, v[1:2]
	v_mov_b32_e32 v10, v8
	v_mov_b32_e32 v23, v25
	;; [unrolled: 1-line block ×3, first 2 shown]
	v_cmp_eq_u32_e64 s[28:29], 0, v5
	v_mov_b32_e32 v9, v7
	v_mov_b32_e32 v24, v26
	;; [unrolled: 1-line block ×3, first 2 shown]
	s_and_b64 s[38:39], vcc, s[28:29]
	v_add_u32_e32 v6, v39, v4
	ds_write2_b32 v30, v11, v11 offset0:5 offset1:6
	ds_write2_b32 v30, v11, v11 offset0:7 offset1:8
	s_waitcnt lgkmcnt(0)
	s_barrier
	; wave barrier
	s_and_saveexec_b64 s[28:29], s[38:39]
; %bb.5:                                ;   in Loop: Header=BB131_4 Depth=2
	v_bcnt_u32_b32 v1, v1, 0
	v_bcnt_u32_b32 v1, v2, v1
	ds_write_b32 v6, v1 offset:20
; %bb.6:                                ;   in Loop: Header=BB131_4 Depth=2
	s_or_b64 exec, exec, s[28:29]
	v_lshrrev_b64 v[1:2], v13, v[15:16]
	v_and_b32_e32 v2, 0xff, v1
	v_mul_u32_u24_e32 v3, 20, v2
	v_mad_u32_u24 v2, v2, 20, v39
	; wave barrier
	ds_read_b32 v7, v2 offset:20
	v_and_b32_e32 v2, 1, v1
	v_add_co_u32_e32 v4, vcc, -1, v2
	v_addc_co_u32_e64 v8, s[28:29], 0, -1, vcc
	v_cmp_ne_u32_e32 vcc, 0, v2
	v_lshlrev_b32_e32 v12, 30, v1
	v_xor_b32_e32 v2, vcc_hi, v8
	v_xor_b32_e32 v4, vcc_lo, v4
	v_cmp_gt_i64_e32 vcc, 0, v[11:12]
	v_not_b32_e32 v8, v12
	v_ashrrev_i32_e32 v8, 31, v8
	v_and_b32_e32 v2, exec_hi, v2
	v_xor_b32_e32 v12, vcc_hi, v8
	v_and_b32_e32 v4, exec_lo, v4
	v_xor_b32_e32 v8, vcc_lo, v8
	v_and_b32_e32 v2, v2, v12
	v_lshlrev_b32_e32 v12, 29, v1
	v_and_b32_e32 v4, v4, v8
	v_cmp_gt_i64_e32 vcc, 0, v[11:12]
	v_not_b32_e32 v8, v12
	v_ashrrev_i32_e32 v8, 31, v8
	v_xor_b32_e32 v12, vcc_hi, v8
	v_xor_b32_e32 v8, vcc_lo, v8
	v_and_b32_e32 v2, v2, v12
	v_lshlrev_b32_e32 v12, 28, v1
	v_and_b32_e32 v4, v4, v8
	v_cmp_gt_i64_e32 vcc, 0, v[11:12]
	v_not_b32_e32 v8, v12
	v_ashrrev_i32_e32 v8, 31, v8
	v_xor_b32_e32 v12, vcc_hi, v8
	;; [unrolled: 8-line block ×5, first 2 shown]
	v_and_b32_e32 v2, v2, v12
	v_lshlrev_b32_e32 v12, 24, v1
	v_xor_b32_e32 v8, vcc_lo, v8
	v_cmp_gt_i64_e32 vcc, 0, v[11:12]
	v_not_b32_e32 v1, v12
	v_ashrrev_i32_e32 v1, 31, v1
	v_and_b32_e32 v4, v4, v8
	v_xor_b32_e32 v8, vcc_hi, v1
	v_xor_b32_e32 v1, vcc_lo, v1
	v_and_b32_e32 v1, v4, v1
	v_and_b32_e32 v2, v2, v8
	v_mbcnt_lo_u32_b32 v4, v1, 0
	v_mbcnt_hi_u32_b32 v8, v2, v4
	v_cmp_ne_u64_e32 vcc, 0, v[1:2]
	v_cmp_eq_u32_e64 s[28:29], 0, v8
	s_and_b64 s[38:39], vcc, s[28:29]
	v_add_u32_e32 v25, v39, v3
	; wave barrier
	s_and_saveexec_b64 s[28:29], s[38:39]
	s_cbranch_execz .LBB131_8
; %bb.7:                                ;   in Loop: Header=BB131_4 Depth=2
	v_bcnt_u32_b32 v1, v1, 0
	v_bcnt_u32_b32 v1, v2, v1
	s_waitcnt lgkmcnt(0)
	v_add_u32_e32 v1, v7, v1
	ds_write_b32 v25, v1 offset:20
.LBB131_8:                              ;   in Loop: Header=BB131_4 Depth=2
	s_or_b64 exec, exec, s[28:29]
	v_lshrrev_b64 v[1:2], v13, v[23:24]
	v_and_b32_e32 v2, 0xff, v1
	v_mul_u32_u24_e32 v3, 20, v2
	v_mad_u32_u24 v2, v2, 20, v39
	; wave barrier
	ds_read_b32 v26, v2 offset:20
	v_and_b32_e32 v2, 1, v1
	v_add_co_u32_e32 v4, vcc, -1, v2
	v_addc_co_u32_e64 v12, s[28:29], 0, -1, vcc
	v_cmp_ne_u32_e32 vcc, 0, v2
	v_xor_b32_e32 v2, vcc_hi, v12
	v_lshlrev_b32_e32 v12, 30, v1
	v_xor_b32_e32 v4, vcc_lo, v4
	v_cmp_gt_i64_e32 vcc, 0, v[11:12]
	v_not_b32_e32 v12, v12
	v_ashrrev_i32_e32 v12, 31, v12
	v_and_b32_e32 v4, exec_lo, v4
	v_xor_b32_e32 v27, vcc_hi, v12
	v_xor_b32_e32 v12, vcc_lo, v12
	v_and_b32_e32 v4, v4, v12
	v_lshlrev_b32_e32 v12, 29, v1
	v_cmp_gt_i64_e32 vcc, 0, v[11:12]
	v_not_b32_e32 v12, v12
	v_and_b32_e32 v2, exec_hi, v2
	v_ashrrev_i32_e32 v12, 31, v12
	v_and_b32_e32 v2, v2, v27
	v_xor_b32_e32 v27, vcc_hi, v12
	v_xor_b32_e32 v12, vcc_lo, v12
	v_and_b32_e32 v4, v4, v12
	v_lshlrev_b32_e32 v12, 28, v1
	v_cmp_gt_i64_e32 vcc, 0, v[11:12]
	v_not_b32_e32 v12, v12
	v_ashrrev_i32_e32 v12, 31, v12
	v_and_b32_e32 v2, v2, v27
	v_xor_b32_e32 v27, vcc_hi, v12
	v_xor_b32_e32 v12, vcc_lo, v12
	v_and_b32_e32 v4, v4, v12
	v_lshlrev_b32_e32 v12, 27, v1
	v_cmp_gt_i64_e32 vcc, 0, v[11:12]
	v_not_b32_e32 v12, v12
	v_ashrrev_i32_e32 v12, 31, v12
	v_and_b32_e32 v2, v2, v27
	v_xor_b32_e32 v27, vcc_hi, v12
	v_xor_b32_e32 v12, vcc_lo, v12
	v_and_b32_e32 v4, v4, v12
	v_lshlrev_b32_e32 v12, 26, v1
	v_cmp_gt_i64_e32 vcc, 0, v[11:12]
	v_not_b32_e32 v12, v12
	v_ashrrev_i32_e32 v12, 31, v12
	v_and_b32_e32 v2, v2, v27
	v_xor_b32_e32 v27, vcc_hi, v12
	v_xor_b32_e32 v12, vcc_lo, v12
	v_and_b32_e32 v4, v4, v12
	v_lshlrev_b32_e32 v12, 25, v1
	v_cmp_gt_i64_e32 vcc, 0, v[11:12]
	v_not_b32_e32 v12, v12
	v_ashrrev_i32_e32 v12, 31, v12
	v_and_b32_e32 v2, v2, v27
	v_xor_b32_e32 v27, vcc_hi, v12
	v_xor_b32_e32 v12, vcc_lo, v12
	v_and_b32_e32 v4, v4, v12
	v_lshlrev_b32_e32 v12, 24, v1
	v_cmp_gt_i64_e32 vcc, 0, v[11:12]
	v_not_b32_e32 v1, v12
	v_ashrrev_i32_e32 v1, 31, v1
	v_xor_b32_e32 v12, vcc_hi, v1
	v_xor_b32_e32 v1, vcc_lo, v1
	v_and_b32_e32 v2, v2, v27
	v_and_b32_e32 v1, v4, v1
	v_and_b32_e32 v2, v2, v12
	v_mbcnt_lo_u32_b32 v4, v1, 0
	v_mbcnt_hi_u32_b32 v12, v2, v4
	v_cmp_ne_u64_e32 vcc, 0, v[1:2]
	v_cmp_eq_u32_e64 s[28:29], 0, v12
	s_and_b64 s[38:39], vcc, s[28:29]
	v_add_u32_e32 v27, v39, v3
	; wave barrier
	s_and_saveexec_b64 s[28:29], s[38:39]
	s_cbranch_execz .LBB131_10
; %bb.9:                                ;   in Loop: Header=BB131_4 Depth=2
	v_bcnt_u32_b32 v1, v1, 0
	v_bcnt_u32_b32 v1, v2, v1
	s_waitcnt lgkmcnt(0)
	v_add_u32_e32 v1, v26, v1
	ds_write_b32 v27, v1 offset:20
.LBB131_10:                             ;   in Loop: Header=BB131_4 Depth=2
	s_or_b64 exec, exec, s[28:29]
	; wave barrier
	s_waitcnt lgkmcnt(0)
	s_barrier
	ds_read2_b32 v[3:4], v30 offset0:5 offset1:6
	ds_read2_b32 v[1:2], v30 offset0:7 offset1:8
	s_waitcnt lgkmcnt(1)
	v_add_u32_e32 v28, v4, v3
	s_waitcnt lgkmcnt(0)
	v_add3_u32 v2, v28, v1, v2
	s_nop 1
	v_mov_b32_dpp v28, v2 row_shr:1 row_mask:0xf bank_mask:0xf
	v_cndmask_b32_e64 v28, v28, 0, s[10:11]
	v_add_u32_e32 v2, v28, v2
	s_nop 1
	v_mov_b32_dpp v28, v2 row_shr:2 row_mask:0xf bank_mask:0xf
	v_cndmask_b32_e64 v28, 0, v28, s[12:13]
	v_add_u32_e32 v2, v2, v28
	s_nop 1
	v_mov_b32_dpp v28, v2 row_shr:4 row_mask:0xf bank_mask:0xf
	v_cndmask_b32_e64 v28, 0, v28, s[14:15]
	v_add_u32_e32 v2, v2, v28
	s_nop 1
	v_mov_b32_dpp v28, v2 row_shr:8 row_mask:0xf bank_mask:0xf
	v_cndmask_b32_e64 v28, 0, v28, s[16:17]
	v_add_u32_e32 v2, v2, v28
	s_nop 1
	v_mov_b32_dpp v28, v2 row_bcast:15 row_mask:0xf bank_mask:0xf
	v_cndmask_b32_e64 v28, v28, 0, s[18:19]
	v_add_u32_e32 v2, v2, v28
	s_nop 1
	v_mov_b32_dpp v28, v2 row_bcast:31 row_mask:0xf bank_mask:0xf
	v_cndmask_b32_e64 v28, 0, v28, s[6:7]
	v_add_u32_e32 v2, v2, v28
	s_and_saveexec_b64 s[28:29], s[26:27]
; %bb.11:                               ;   in Loop: Header=BB131_4 Depth=2
	ds_write_b32 v31, v2
; %bb.12:                               ;   in Loop: Header=BB131_4 Depth=2
	s_or_b64 exec, exec, s[28:29]
	s_waitcnt lgkmcnt(0)
	s_barrier
	s_and_saveexec_b64 s[28:29], s[0:1]
	s_cbranch_execz .LBB131_14
; %bb.13:                               ;   in Loop: Header=BB131_4 Depth=2
	ds_read_b32 v28, v32
	s_waitcnt lgkmcnt(0)
	s_nop 0
	v_mov_b32_dpp v40, v28 row_shr:1 row_mask:0xf bank_mask:0xf
	v_cndmask_b32_e64 v40, v40, 0, s[20:21]
	v_add_u32_e32 v28, v40, v28
	s_nop 1
	v_mov_b32_dpp v40, v28 row_shr:2 row_mask:0xf bank_mask:0xf
	v_cndmask_b32_e64 v40, 0, v40, s[22:23]
	v_add_u32_e32 v28, v28, v40
	;; [unrolled: 4-line block ×3, first 2 shown]
	ds_write_b32 v32, v28
.LBB131_14:                             ;   in Loop: Header=BB131_4 Depth=2
	s_or_b64 exec, exec, s[28:29]
	v_mov_b32_e32 v28, 0
	s_waitcnt lgkmcnt(0)
	s_barrier
	s_and_saveexec_b64 s[28:29], s[2:3]
; %bb.15:                               ;   in Loop: Header=BB131_4 Depth=2
	ds_read_b32 v28, v35
; %bb.16:                               ;   in Loop: Header=BB131_4 Depth=2
	s_or_b64 exec, exec, s[28:29]
	s_waitcnt lgkmcnt(0)
	v_add_u32_e32 v2, v28, v2
	ds_bpermute_b32 v2, v38, v2
	v_cmp_lt_u32_e32 vcc, 55, v13
	s_and_b64 vcc, exec, vcc
	s_mov_b64 s[28:29], -1
	s_waitcnt lgkmcnt(0)
	v_cndmask_b32_e64 v2, v2, v28, s[8:9]
	v_cndmask_b32_e64 v2, v2, 0, s[4:5]
	v_add_u32_e32 v3, v2, v3
	v_add_u32_e32 v4, v3, v4
	;; [unrolled: 1-line block ×3, first 2 shown]
	ds_write2_b32 v30, v2, v3 offset0:5 offset1:6
	ds_write2_b32 v30, v4, v1 offset0:7 offset1:8
	s_waitcnt lgkmcnt(0)
	s_barrier
	ds_read_b32 v1, v6 offset:20
	ds_read_b32 v2, v25 offset:20
	;; [unrolled: 1-line block ×3, first 2 shown]
                                        ; implicit-def: $vgpr27_vgpr28
	s_waitcnt lgkmcnt(2)
	v_add_u32_e32 v41, v1, v5
	s_waitcnt lgkmcnt(1)
	v_add3_u32 v40, v8, v7, v2
	s_waitcnt lgkmcnt(0)
	v_add3_u32 v12, v12, v26, v3
                                        ; implicit-def: $vgpr25_vgpr26
                                        ; implicit-def: $vgpr3_vgpr4
                                        ; implicit-def: $vgpr7_vgpr8
	s_cbranch_vccnz .LBB131_3
; %bb.17:                               ;   in Loop: Header=BB131_4 Depth=2
	v_lshlrev_b32_e32 v5, 3, v41
	v_lshlrev_b32_e32 v6, 3, v40
	;; [unrolled: 1-line block ×3, first 2 shown]
	s_barrier
	ds_write_b64 v5, v[19:20]
	ds_write_b64 v6, v[15:16]
	;; [unrolled: 1-line block ×3, first 2 shown]
	s_waitcnt lgkmcnt(0)
	s_barrier
	ds_read2st64_b64 v[1:4], v33 offset1:1
	ds_read_b64 v[25:26], v33 offset:1024
	s_waitcnt lgkmcnt(0)
	s_barrier
	ds_write_b64 v5, v[17:18]
	ds_write_b64 v6, v[9:10]
	ds_write_b64 v7, v[21:22]
	s_waitcnt lgkmcnt(0)
	s_barrier
	ds_read2st64_b64 v[5:8], v33 offset1:1
	ds_read_b64 v[27:28], v33 offset:1024
	v_add_co_u32_e32 v13, vcc, 8, v13
	v_addc_co_u32_e32 v14, vcc, 0, v14, vcc
	s_mov_b64 s[28:29], 0
	s_waitcnt lgkmcnt(0)
	s_barrier
	s_branch .LBB131_3
.LBB131_18:
	s_waitcnt lgkmcnt(1)
	v_add_co_u32_e32 v1, vcc, v3, v7
	v_addc_co_u32_e32 v2, vcc, v4, v8, vcc
	v_add_co_u32_e32 v3, vcc, v5, v9
	v_addc_co_u32_e32 v4, vcc, v6, v10, vcc
	s_waitcnt lgkmcnt(0)
	v_add_co_u32_e32 v5, vcc, v12, v14
	s_add_u32 s0, s30, s34
	v_addc_co_u32_e32 v6, vcc, v13, v15, vcc
	s_addc_u32 s1, s31, s35
	v_lshlrev_b32_e32 v0, 3, v0
	v_mov_b32_e32 v7, s1
	v_add_co_u32_e32 v8, vcc, s0, v0
	v_addc_co_u32_e32 v7, vcc, 0, v7, vcc
	global_store_dwordx2 v0, v[1:2], s[0:1]
	global_store_dwordx2 v0, v[3:4], s[0:1] offset:2560
	v_add_co_u32_e32 v0, vcc, 0x1000, v8
	v_addc_co_u32_e32 v1, vcc, 0, v7, vcc
	global_store_dwordx2 v[0:1], v[5:6], off offset:1024
	s_endpgm
	.section	.rodata,"a",@progbits
	.p2align	6, 0x0
	.amdhsa_kernel _Z17sort_pairs_kernelI22helper_blocked_blockedxLj320ELj3ELj10EEvPKT0_PS1_
		.amdhsa_group_segment_fixed_size 7680
		.amdhsa_private_segment_fixed_size 0
		.amdhsa_kernarg_size 272
		.amdhsa_user_sgpr_count 6
		.amdhsa_user_sgpr_private_segment_buffer 1
		.amdhsa_user_sgpr_dispatch_ptr 0
		.amdhsa_user_sgpr_queue_ptr 0
		.amdhsa_user_sgpr_kernarg_segment_ptr 1
		.amdhsa_user_sgpr_dispatch_id 0
		.amdhsa_user_sgpr_flat_scratch_init 0
		.amdhsa_user_sgpr_private_segment_size 0
		.amdhsa_uses_dynamic_stack 0
		.amdhsa_system_sgpr_private_segment_wavefront_offset 0
		.amdhsa_system_sgpr_workgroup_id_x 1
		.amdhsa_system_sgpr_workgroup_id_y 0
		.amdhsa_system_sgpr_workgroup_id_z 0
		.amdhsa_system_sgpr_workgroup_info 0
		.amdhsa_system_vgpr_workitem_id 2
		.amdhsa_next_free_vgpr 42
		.amdhsa_next_free_sgpr 40
		.amdhsa_reserve_vcc 1
		.amdhsa_reserve_flat_scratch 0
		.amdhsa_float_round_mode_32 0
		.amdhsa_float_round_mode_16_64 0
		.amdhsa_float_denorm_mode_32 3
		.amdhsa_float_denorm_mode_16_64 3
		.amdhsa_dx10_clamp 1
		.amdhsa_ieee_mode 1
		.amdhsa_fp16_overflow 0
		.amdhsa_exception_fp_ieee_invalid_op 0
		.amdhsa_exception_fp_denorm_src 0
		.amdhsa_exception_fp_ieee_div_zero 0
		.amdhsa_exception_fp_ieee_overflow 0
		.amdhsa_exception_fp_ieee_underflow 0
		.amdhsa_exception_fp_ieee_inexact 0
		.amdhsa_exception_int_div_zero 0
	.end_amdhsa_kernel
	.section	.text._Z17sort_pairs_kernelI22helper_blocked_blockedxLj320ELj3ELj10EEvPKT0_PS1_,"axG",@progbits,_Z17sort_pairs_kernelI22helper_blocked_blockedxLj320ELj3ELj10EEvPKT0_PS1_,comdat
.Lfunc_end131:
	.size	_Z17sort_pairs_kernelI22helper_blocked_blockedxLj320ELj3ELj10EEvPKT0_PS1_, .Lfunc_end131-_Z17sort_pairs_kernelI22helper_blocked_blockedxLj320ELj3ELj10EEvPKT0_PS1_
                                        ; -- End function
	.set _Z17sort_pairs_kernelI22helper_blocked_blockedxLj320ELj3ELj10EEvPKT0_PS1_.num_vgpr, 42
	.set _Z17sort_pairs_kernelI22helper_blocked_blockedxLj320ELj3ELj10EEvPKT0_PS1_.num_agpr, 0
	.set _Z17sort_pairs_kernelI22helper_blocked_blockedxLj320ELj3ELj10EEvPKT0_PS1_.numbered_sgpr, 40
	.set _Z17sort_pairs_kernelI22helper_blocked_blockedxLj320ELj3ELj10EEvPKT0_PS1_.num_named_barrier, 0
	.set _Z17sort_pairs_kernelI22helper_blocked_blockedxLj320ELj3ELj10EEvPKT0_PS1_.private_seg_size, 0
	.set _Z17sort_pairs_kernelI22helper_blocked_blockedxLj320ELj3ELj10EEvPKT0_PS1_.uses_vcc, 1
	.set _Z17sort_pairs_kernelI22helper_blocked_blockedxLj320ELj3ELj10EEvPKT0_PS1_.uses_flat_scratch, 0
	.set _Z17sort_pairs_kernelI22helper_blocked_blockedxLj320ELj3ELj10EEvPKT0_PS1_.has_dyn_sized_stack, 0
	.set _Z17sort_pairs_kernelI22helper_blocked_blockedxLj320ELj3ELj10EEvPKT0_PS1_.has_recursion, 0
	.set _Z17sort_pairs_kernelI22helper_blocked_blockedxLj320ELj3ELj10EEvPKT0_PS1_.has_indirect_call, 0
	.section	.AMDGPU.csdata,"",@progbits
; Kernel info:
; codeLenInByte = 2608
; TotalNumSgprs: 44
; NumVgprs: 42
; ScratchSize: 0
; MemoryBound: 0
; FloatMode: 240
; IeeeMode: 1
; LDSByteSize: 7680 bytes/workgroup (compile time only)
; SGPRBlocks: 5
; VGPRBlocks: 10
; NumSGPRsForWavesPerEU: 44
; NumVGPRsForWavesPerEU: 42
; Occupancy: 5
; WaveLimiterHint : 1
; COMPUTE_PGM_RSRC2:SCRATCH_EN: 0
; COMPUTE_PGM_RSRC2:USER_SGPR: 6
; COMPUTE_PGM_RSRC2:TRAP_HANDLER: 0
; COMPUTE_PGM_RSRC2:TGID_X_EN: 1
; COMPUTE_PGM_RSRC2:TGID_Y_EN: 0
; COMPUTE_PGM_RSRC2:TGID_Z_EN: 0
; COMPUTE_PGM_RSRC2:TIDIG_COMP_CNT: 2
	.section	.text._Z16sort_keys_kernelI22helper_blocked_blockedxLj320ELj4ELj10EEvPKT0_PS1_,"axG",@progbits,_Z16sort_keys_kernelI22helper_blocked_blockedxLj320ELj4ELj10EEvPKT0_PS1_,comdat
	.protected	_Z16sort_keys_kernelI22helper_blocked_blockedxLj320ELj4ELj10EEvPKT0_PS1_ ; -- Begin function _Z16sort_keys_kernelI22helper_blocked_blockedxLj320ELj4ELj10EEvPKT0_PS1_
	.globl	_Z16sort_keys_kernelI22helper_blocked_blockedxLj320ELj4ELj10EEvPKT0_PS1_
	.p2align	8
	.type	_Z16sort_keys_kernelI22helper_blocked_blockedxLj320ELj4ELj10EEvPKT0_PS1_,@function
_Z16sort_keys_kernelI22helper_blocked_blockedxLj320ELj4ELj10EEvPKT0_PS1_: ; @_Z16sort_keys_kernelI22helper_blocked_blockedxLj320ELj4ELj10EEvPKT0_PS1_
; %bb.0:
	s_load_dwordx4 s[40:43], s[4:5], 0x0
	s_load_dword s8, s[4:5], 0x1c
	s_mul_i32 s44, s6, 0x500
	s_mov_b32 s45, 0
	s_lshl_b64 s[46:47], s[44:45], 3
	s_waitcnt lgkmcnt(0)
	s_add_u32 s0, s40, s46
	s_addc_u32 s1, s41, s47
	v_lshlrev_b32_e32 v13, 3, v0
	v_mov_b32_e32 v3, s1
	v_add_co_u32_e32 v4, vcc, s0, v13
	v_addc_co_u32_e32 v3, vcc, 0, v3, vcc
	s_movk_i32 s2, 0x1000
	v_add_co_u32_e32 v11, vcc, s2, v4
	v_addc_co_u32_e32 v12, vcc, 0, v3, vcc
	global_load_dwordx2 v[7:8], v13, s[0:1]
	global_load_dwordx2 v[9:10], v13, s[0:1] offset:2560
	global_load_dwordx2 v[3:4], v[11:12], off offset:1024
	global_load_dwordx2 v[5:6], v[11:12], off offset:3584
	v_mbcnt_lo_u32_b32 v12, -1, 0
	v_mbcnt_hi_u32_b32 v12, -1, v12
	v_and_b32_e32 v14, 3, v12
	v_lshrrev_b32_e32 v13, 2, v12
	v_cmp_eq_u32_e64 s[0:1], 3, v14
	v_cmp_eq_u32_e64 s[2:3], 2, v14
	;; [unrolled: 1-line block ×4, first 2 shown]
	v_and_b32_e32 v14, 64, v12
	v_or_b32_e32 v15, v13, v14
	v_add_u32_e32 v13, 48, v13
	s_lshr_b32 s9, s8, 16
	v_and_or_b32 v13, v13, 63, v14
	s_and_b32 s8, s8, 0xffff
	v_mad_u32_u24 v1, v2, s9, v1
	v_lshlrev_b32_e32 v23, 2, v13
	v_mad_u64_u32 v[1:2], s[8:9], v1, s8, v[0:1]
	v_and_b32_e32 v13, 15, v12
	v_cmp_eq_u32_e64 s[8:9], 0, v13
	v_cmp_lt_u32_e64 s[10:11], 1, v13
	v_cmp_lt_u32_e64 s[12:13], 3, v13
	;; [unrolled: 1-line block ×3, first 2 shown]
	v_and_b32_e32 v13, 16, v12
	v_cmp_eq_u32_e64 s[16:17], 0, v13
	v_and_b32_e32 v13, 0x1c0, v0
	v_min_u32_e32 v13, 0x100, v13
	v_or_b32_e32 v13, 63, v13
	v_lshlrev_b32_e32 v2, 2, v0
	v_cmp_eq_u32_e64 s[20:21], v0, v13
	v_subrev_co_u32_e64 v13, s[26:27], 1, v12
	s_movk_i32 s33, 0x700
	v_cmp_lt_i32_e32 vcc, v13, v14
	v_and_or_b32 v2, v2, s33, v12
	v_cmp_lt_u32_e64 s[18:19], 31, v12
	v_cndmask_b32_e32 v13, v13, v12, vcc
	v_and_b32_e32 v14, 7, v12
	v_lshrrev_b32_e32 v12, 2, v2
	v_cmp_eq_u32_e64 s[30:31], 0, v14
	v_cmp_lt_u32_e64 s[34:35], 1, v14
	v_cmp_lt_u32_e64 s[36:37], 3, v14
	v_and_b32_e32 v12, 0x1d8, v12
	v_lshlrev_b32_e32 v14, 3, v2
	v_add_u32_e32 v28, v12, v14
	v_add_u32_e32 v12, 64, v2
	v_lshrrev_b32_e32 v12, 2, v12
	v_and_b32_e32 v12, 0x1f8, v12
	v_add_u32_e32 v29, v12, v14
	v_or_b32_e32 v12, 0x80, v2
	v_add_u32_e32 v2, 0xc0, v2
	v_lshlrev_b32_e32 v25, 2, v13
	v_lshrrev_b32_e32 v13, 4, v0
	v_lshrrev_b32_e32 v12, 2, v12
	;; [unrolled: 1-line block ×4, first 2 shown]
	v_lshlrev_b32_e32 v20, 2, v15
	v_lshlrev_b32_e32 v24, 4, v0
	v_and_b32_e32 v26, 28, v13
	v_mul_i32_i24_e32 v13, -12, v0
	v_and_b32_e32 v12, 0x1f8, v12
	v_and_b32_e32 v2, 0x3f8, v2
	;; [unrolled: 1-line block ×4, first 2 shown]
	v_mov_b32_e32 v11, 0
	v_add_u32_e32 v21, 64, v20
	v_or_b32_e32 v22, 0x80, v20
	v_cmp_gt_u32_e64 s[22:23], 5, v0
	v_cmp_lt_u32_e64 s[24:25], 63, v0
	v_cmp_eq_u32_e64 s[28:29], 0, v0
	v_add_u32_e32 v27, -4, v26
	v_add_u32_e32 v30, v12, v14
	v_add_u32_e32 v31, v2, v14
	v_lshl_add_u32 v33, v0, 5, v1
	v_add_u32_e32 v34, v24, v13
	v_mov_b32_e32 v35, 20
	s_branch .LBB132_2
.LBB132_1:                              ;   in Loop: Header=BB132_2 Depth=1
	v_lshrrev_b32_e32 v7, 2, v42
	v_and_b32_e32 v7, 0x3ffffff8, v7
	v_lshl_add_u32 v7, v42, 3, v7
	s_barrier
	ds_write_b64 v7, v[9:10]
	v_lshrrev_b32_e32 v7, 2, v39
	v_and_b32_e32 v7, 0x3ffffff8, v7
	v_lshl_add_u32 v7, v39, 3, v7
	ds_write_b64 v7, v[5:6]
	v_lshrrev_b32_e32 v5, 2, v37
	v_and_b32_e32 v5, 0x3ffffff8, v5
	v_lshl_add_u32 v5, v37, 3, v5
	;; [unrolled: 4-line block ×3, first 2 shown]
	ds_write_b64 v3, v[1:2]
	s_waitcnt lgkmcnt(0)
	s_barrier
	ds_read2_b64 v[7:10], v33 offset1:1
	ds_read2_b64 v[3:6], v33 offset0:2 offset1:3
	s_add_i32 s45, s45, 1
	s_cmp_eq_u32 s45, 10
	s_waitcnt lgkmcnt(1)
	v_xor_b32_e32 v8, 0x80000000, v8
	v_xor_b32_e32 v10, 0x80000000, v10
	s_waitcnt lgkmcnt(0)
	v_xor_b32_e32 v4, 0x80000000, v4
	v_xor_b32_e32 v6, 0x80000000, v6
	s_cbranch_scc1 .LBB132_20
.LBB132_2:                              ; =>This Loop Header: Depth=1
                                        ;     Child Loop BB132_4 Depth 2
	s_waitcnt vmcnt(3)
	v_xor_b32_e32 v1, 0x80000000, v8
	ds_bpermute_b32 v2, v20, v7
	ds_bpermute_b32 v8, v20, v1
	s_waitcnt vmcnt(2)
	v_xor_b32_e32 v10, 0x80000000, v10
	ds_bpermute_b32 v12, v20, v9
	ds_bpermute_b32 v13, v20, v10
	s_waitcnt vmcnt(1)
	v_xor_b32_e32 v4, 0x80000000, v4
	s_waitcnt lgkmcnt(3)
	v_cndmask_b32_e64 v2, 0, v2, s[6:7]
	ds_bpermute_b32 v14, v20, v4
	ds_bpermute_b32 v15, v20, v3
	s_waitcnt lgkmcnt(4)
	v_cndmask_b32_e64 v8, 0, v8, s[6:7]
	s_waitcnt lgkmcnt(3)
	v_cndmask_b32_e64 v2, v2, v12, s[4:5]
	s_waitcnt vmcnt(0)
	ds_bpermute_b32 v12, v20, v5
	v_xor_b32_e32 v6, 0x80000000, v6
	s_waitcnt lgkmcnt(3)
	v_cndmask_b32_e64 v8, v8, v13, s[4:5]
	ds_bpermute_b32 v13, v20, v6
	s_waitcnt lgkmcnt(3)
	v_cndmask_b32_e64 v8, v8, v14, s[2:3]
	s_waitcnt lgkmcnt(2)
	v_cndmask_b32_e64 v2, v2, v15, s[2:3]
	ds_bpermute_b32 v14, v21, v7
	s_waitcnt lgkmcnt(2)
	v_cndmask_b32_e64 v12, v2, v12, s[0:1]
	ds_bpermute_b32 v2, v21, v1
	ds_bpermute_b32 v15, v21, v9
	s_waitcnt lgkmcnt(3)
	v_cndmask_b32_e64 v13, v8, v13, s[0:1]
	ds_bpermute_b32 v8, v21, v10
	s_waitcnt lgkmcnt(3)
	v_cndmask_b32_e64 v14, 0, v14, s[6:7]
	s_waitcnt lgkmcnt(2)
	v_cndmask_b32_e64 v2, 0, v2, s[6:7]
	;; [unrolled: 2-line block ×3, first 2 shown]
	ds_bpermute_b32 v15, v21, v4
	s_waitcnt lgkmcnt(1)
	v_cndmask_b32_e64 v2, v2, v8, s[4:5]
	ds_bpermute_b32 v8, v21, v3
	ds_bpermute_b32 v17, v21, v6
	;; [unrolled: 1-line block ×3, first 2 shown]
	s_waitcnt lgkmcnt(3)
	v_cndmask_b32_e64 v2, v2, v15, s[2:3]
	ds_bpermute_b32 v18, v22, v1
	s_waitcnt lgkmcnt(3)
	v_cndmask_b32_e64 v8, v14, v8, s[2:3]
	s_waitcnt lgkmcnt(2)
	v_cndmask_b32_e64 v15, v2, v17, s[0:1]
	ds_bpermute_b32 v2, v22, v7
	s_waitcnt lgkmcnt(2)
	v_cndmask_b32_e64 v14, v8, v16, s[0:1]
	ds_bpermute_b32 v16, v22, v9
	ds_bpermute_b32 v17, v22, v10
	s_waitcnt lgkmcnt(3)
	v_cndmask_b32_e64 v8, 0, v18, s[6:7]
	ds_bpermute_b32 v18, v22, v4
	s_waitcnt lgkmcnt(3)
	v_cndmask_b32_e64 v2, 0, v2, s[6:7]
	;; [unrolled: 3-line block ×3, first 2 shown]
	s_waitcnt lgkmcnt(2)
	v_cndmask_b32_e64 v8, v8, v17, s[4:5]
	ds_bpermute_b32 v16, v22, v5
	ds_bpermute_b32 v17, v22, v6
	s_waitcnt lgkmcnt(3)
	v_cndmask_b32_e64 v8, v8, v18, s[2:3]
	s_waitcnt lgkmcnt(2)
	v_cndmask_b32_e64 v2, v2, v19, s[2:3]
	ds_bpermute_b32 v1, v23, v1
	ds_bpermute_b32 v7, v23, v7
	s_waitcnt lgkmcnt(3)
	v_cndmask_b32_e64 v16, v2, v16, s[0:1]
	ds_bpermute_b32 v2, v23, v9
	s_waitcnt lgkmcnt(3)
	v_cndmask_b32_e64 v17, v8, v17, s[0:1]
	ds_bpermute_b32 v8, v23, v10
	ds_bpermute_b32 v4, v23, v4
	;; [unrolled: 1-line block ×5, first 2 shown]
	s_waitcnt lgkmcnt(7)
	v_cndmask_b32_e64 v1, 0, v1, s[6:7]
	s_waitcnt lgkmcnt(6)
	v_cndmask_b32_e64 v7, 0, v7, s[6:7]
	;; [unrolled: 2-line block ×6, first 2 shown]
	v_mov_b32_e32 v7, 0
	s_waitcnt lgkmcnt(1)
	v_cndmask_b32_e64 v18, v2, v5, s[0:1]
	s_waitcnt lgkmcnt(0)
	v_cndmask_b32_e64 v19, v1, v6, s[0:1]
	v_mov_b32_e32 v8, 0
	s_barrier
	s_branch .LBB132_4
.LBB132_3:                              ;   in Loop: Header=BB132_4 Depth=2
	s_andn2_b64 vcc, exec, s[38:39]
	s_cbranch_vccz .LBB132_1
.LBB132_4:                              ;   Parent Loop BB132_2 Depth=1
                                        ; =>  This Inner Loop Header: Depth=2
	v_mov_b32_e32 v9, v12
	v_mov_b32_e32 v5, v14
	;; [unrolled: 1-line block ×4, first 2 shown]
	v_lshrrev_b64 v[13:14], v7, v[9:10]
	v_mov_b32_e32 v3, v16
	v_and_b32_e32 v12, 1, v13
	v_add_co_u32_e32 v15, vcc, -1, v12
	v_mov_b32_e32 v4, v17
	v_addc_co_u32_e64 v16, s[38:39], 0, -1, vcc
	v_cmp_ne_u32_e32 vcc, 0, v12
	v_xor_b32_e32 v12, vcc_hi, v16
	v_and_b32_e32 v16, exec_hi, v12
	v_lshlrev_b32_e32 v12, 30, v13
	v_xor_b32_e32 v15, vcc_lo, v15
	v_cmp_gt_i64_e32 vcc, 0, v[11:12]
	v_not_b32_e32 v12, v12
	v_ashrrev_i32_e32 v12, 31, v12
	v_and_b32_e32 v15, exec_lo, v15
	v_xor_b32_e32 v17, vcc_hi, v12
	v_xor_b32_e32 v12, vcc_lo, v12
	v_and_b32_e32 v15, v15, v12
	v_lshlrev_b32_e32 v12, 29, v13
	v_cmp_gt_i64_e32 vcc, 0, v[11:12]
	v_not_b32_e32 v12, v12
	v_ashrrev_i32_e32 v12, 31, v12
	v_and_b32_e32 v16, v16, v17
	v_xor_b32_e32 v17, vcc_hi, v12
	v_xor_b32_e32 v12, vcc_lo, v12
	v_and_b32_e32 v15, v15, v12
	v_lshlrev_b32_e32 v12, 28, v13
	v_cmp_gt_i64_e32 vcc, 0, v[11:12]
	v_not_b32_e32 v12, v12
	v_ashrrev_i32_e32 v12, 31, v12
	v_and_b32_e32 v16, v16, v17
	;; [unrolled: 8-line block ×5, first 2 shown]
	v_xor_b32_e32 v17, vcc_hi, v12
	v_xor_b32_e32 v12, vcc_lo, v12
	v_and_b32_e32 v15, v15, v12
	v_lshlrev_b32_e32 v12, 24, v13
	v_cmp_gt_i64_e32 vcc, 0, v[11:12]
	v_not_b32_e32 v12, v12
	v_ashrrev_i32_e32 v12, 31, v12
	v_mul_u32_u24_sdwa v14, v13, v35 dst_sel:DWORD dst_unused:UNUSED_PAD src0_sel:BYTE_0 src1_sel:DWORD
	v_xor_b32_e32 v13, vcc_hi, v12
	v_xor_b32_e32 v12, vcc_lo, v12
	v_and_b32_e32 v16, v16, v17
	v_and_b32_e32 v12, v15, v12
	;; [unrolled: 1-line block ×3, first 2 shown]
	v_mbcnt_lo_u32_b32 v15, v12, 0
	v_mbcnt_hi_u32_b32 v16, v13, v15
	v_cmp_ne_u64_e32 vcc, 0, v[12:13]
	v_mov_b32_e32 v1, v18
	v_cmp_eq_u32_e64 s[38:39], 0, v16
	v_mov_b32_e32 v2, v19
	s_and_b64 s[40:41], vcc, s[38:39]
	v_add_u32_e32 v17, v32, v14
	ds_write2_b32 v24, v11, v11 offset0:5 offset1:6
	ds_write2_b32 v24, v11, v11 offset0:7 offset1:8
	s_waitcnt lgkmcnt(0)
	s_barrier
	; wave barrier
	s_and_saveexec_b64 s[38:39], s[40:41]
; %bb.5:                                ;   in Loop: Header=BB132_4 Depth=2
	v_bcnt_u32_b32 v12, v12, 0
	v_bcnt_u32_b32 v12, v13, v12
	ds_write_b32 v17, v12 offset:20
; %bb.6:                                ;   in Loop: Header=BB132_4 Depth=2
	s_or_b64 exec, exec, s[38:39]
	v_lshrrev_b64 v[13:14], v7, v[5:6]
	v_and_b32_e32 v12, 0xff, v13
	v_mul_u32_u24_e32 v14, 20, v12
	v_mad_u32_u24 v12, v12, 20, v32
	; wave barrier
	ds_read_b32 v18, v12 offset:20
	v_and_b32_e32 v12, 1, v13
	v_add_co_u32_e32 v15, vcc, -1, v12
	v_addc_co_u32_e64 v19, s[38:39], 0, -1, vcc
	v_cmp_ne_u32_e32 vcc, 0, v12
	v_xor_b32_e32 v12, vcc_hi, v19
	v_and_b32_e32 v19, exec_hi, v12
	v_lshlrev_b32_e32 v12, 30, v13
	v_xor_b32_e32 v15, vcc_lo, v15
	v_cmp_gt_i64_e32 vcc, 0, v[11:12]
	v_not_b32_e32 v12, v12
	v_ashrrev_i32_e32 v12, 31, v12
	v_and_b32_e32 v15, exec_lo, v15
	v_xor_b32_e32 v36, vcc_hi, v12
	v_xor_b32_e32 v12, vcc_lo, v12
	v_and_b32_e32 v15, v15, v12
	v_lshlrev_b32_e32 v12, 29, v13
	v_cmp_gt_i64_e32 vcc, 0, v[11:12]
	v_not_b32_e32 v12, v12
	v_ashrrev_i32_e32 v12, 31, v12
	v_and_b32_e32 v19, v19, v36
	v_xor_b32_e32 v36, vcc_hi, v12
	v_xor_b32_e32 v12, vcc_lo, v12
	v_and_b32_e32 v15, v15, v12
	v_lshlrev_b32_e32 v12, 28, v13
	v_cmp_gt_i64_e32 vcc, 0, v[11:12]
	v_not_b32_e32 v12, v12
	v_ashrrev_i32_e32 v12, 31, v12
	v_and_b32_e32 v19, v19, v36
	v_xor_b32_e32 v36, vcc_hi, v12
	v_xor_b32_e32 v12, vcc_lo, v12
	v_and_b32_e32 v15, v15, v12
	v_lshlrev_b32_e32 v12, 27, v13
	v_cmp_gt_i64_e32 vcc, 0, v[11:12]
	v_not_b32_e32 v12, v12
	v_ashrrev_i32_e32 v12, 31, v12
	v_and_b32_e32 v19, v19, v36
	v_xor_b32_e32 v36, vcc_hi, v12
	v_xor_b32_e32 v12, vcc_lo, v12
	v_and_b32_e32 v15, v15, v12
	v_lshlrev_b32_e32 v12, 26, v13
	v_cmp_gt_i64_e32 vcc, 0, v[11:12]
	v_not_b32_e32 v12, v12
	v_ashrrev_i32_e32 v12, 31, v12
	v_and_b32_e32 v19, v19, v36
	v_xor_b32_e32 v36, vcc_hi, v12
	v_xor_b32_e32 v12, vcc_lo, v12
	v_and_b32_e32 v15, v15, v12
	v_lshlrev_b32_e32 v12, 25, v13
	v_cmp_gt_i64_e32 vcc, 0, v[11:12]
	v_not_b32_e32 v12, v12
	v_ashrrev_i32_e32 v12, 31, v12
	v_and_b32_e32 v19, v19, v36
	v_xor_b32_e32 v36, vcc_hi, v12
	v_xor_b32_e32 v12, vcc_lo, v12
	v_and_b32_e32 v15, v15, v12
	v_lshlrev_b32_e32 v12, 24, v13
	v_cmp_gt_i64_e32 vcc, 0, v[11:12]
	v_not_b32_e32 v12, v12
	v_ashrrev_i32_e32 v12, 31, v12
	v_xor_b32_e32 v13, vcc_hi, v12
	v_xor_b32_e32 v12, vcc_lo, v12
	v_and_b32_e32 v19, v19, v36
	v_and_b32_e32 v12, v15, v12
	;; [unrolled: 1-line block ×3, first 2 shown]
	v_mbcnt_lo_u32_b32 v15, v12, 0
	v_mbcnt_hi_u32_b32 v19, v13, v15
	v_cmp_ne_u64_e32 vcc, 0, v[12:13]
	v_cmp_eq_u32_e64 s[38:39], 0, v19
	s_and_b64 s[40:41], vcc, s[38:39]
	v_add_u32_e32 v36, v32, v14
	; wave barrier
	s_and_saveexec_b64 s[38:39], s[40:41]
	s_cbranch_execz .LBB132_8
; %bb.7:                                ;   in Loop: Header=BB132_4 Depth=2
	v_bcnt_u32_b32 v12, v12, 0
	v_bcnt_u32_b32 v12, v13, v12
	s_waitcnt lgkmcnt(0)
	v_add_u32_e32 v12, v18, v12
	ds_write_b32 v36, v12 offset:20
.LBB132_8:                              ;   in Loop: Header=BB132_4 Depth=2
	s_or_b64 exec, exec, s[38:39]
	v_lshrrev_b64 v[13:14], v7, v[3:4]
	v_and_b32_e32 v12, 0xff, v13
	v_mul_u32_u24_e32 v14, 20, v12
	v_mad_u32_u24 v12, v12, 20, v32
	; wave barrier
	ds_read_b32 v37, v12 offset:20
	v_and_b32_e32 v12, 1, v13
	v_add_co_u32_e32 v15, vcc, -1, v12
	v_addc_co_u32_e64 v38, s[38:39], 0, -1, vcc
	v_cmp_ne_u32_e32 vcc, 0, v12
	v_xor_b32_e32 v12, vcc_hi, v38
	v_and_b32_e32 v38, exec_hi, v12
	v_lshlrev_b32_e32 v12, 30, v13
	v_xor_b32_e32 v15, vcc_lo, v15
	v_cmp_gt_i64_e32 vcc, 0, v[11:12]
	v_not_b32_e32 v12, v12
	v_ashrrev_i32_e32 v12, 31, v12
	v_and_b32_e32 v15, exec_lo, v15
	v_xor_b32_e32 v39, vcc_hi, v12
	v_xor_b32_e32 v12, vcc_lo, v12
	v_and_b32_e32 v15, v15, v12
	v_lshlrev_b32_e32 v12, 29, v13
	v_cmp_gt_i64_e32 vcc, 0, v[11:12]
	v_not_b32_e32 v12, v12
	v_ashrrev_i32_e32 v12, 31, v12
	v_and_b32_e32 v38, v38, v39
	v_xor_b32_e32 v39, vcc_hi, v12
	v_xor_b32_e32 v12, vcc_lo, v12
	v_and_b32_e32 v15, v15, v12
	v_lshlrev_b32_e32 v12, 28, v13
	v_cmp_gt_i64_e32 vcc, 0, v[11:12]
	v_not_b32_e32 v12, v12
	v_ashrrev_i32_e32 v12, 31, v12
	v_and_b32_e32 v38, v38, v39
	;; [unrolled: 8-line block ×5, first 2 shown]
	v_xor_b32_e32 v39, vcc_hi, v12
	v_xor_b32_e32 v12, vcc_lo, v12
	v_and_b32_e32 v15, v15, v12
	v_lshlrev_b32_e32 v12, 24, v13
	v_cmp_gt_i64_e32 vcc, 0, v[11:12]
	v_not_b32_e32 v12, v12
	v_ashrrev_i32_e32 v12, 31, v12
	v_xor_b32_e32 v13, vcc_hi, v12
	v_xor_b32_e32 v12, vcc_lo, v12
	v_and_b32_e32 v38, v38, v39
	v_and_b32_e32 v12, v15, v12
	;; [unrolled: 1-line block ×3, first 2 shown]
	v_mbcnt_lo_u32_b32 v15, v12, 0
	v_mbcnt_hi_u32_b32 v38, v13, v15
	v_cmp_ne_u64_e32 vcc, 0, v[12:13]
	v_cmp_eq_u32_e64 s[38:39], 0, v38
	s_and_b64 s[40:41], vcc, s[38:39]
	v_add_u32_e32 v39, v32, v14
	; wave barrier
	s_and_saveexec_b64 s[38:39], s[40:41]
	s_cbranch_execz .LBB132_10
; %bb.9:                                ;   in Loop: Header=BB132_4 Depth=2
	v_bcnt_u32_b32 v12, v12, 0
	v_bcnt_u32_b32 v12, v13, v12
	s_waitcnt lgkmcnt(0)
	v_add_u32_e32 v12, v37, v12
	ds_write_b32 v39, v12 offset:20
.LBB132_10:                             ;   in Loop: Header=BB132_4 Depth=2
	s_or_b64 exec, exec, s[38:39]
	v_lshrrev_b64 v[13:14], v7, v[1:2]
	v_and_b32_e32 v12, 0xff, v13
	v_mul_u32_u24_e32 v14, 20, v12
	v_mad_u32_u24 v12, v12, 20, v32
	; wave barrier
	ds_read_b32 v40, v12 offset:20
	v_and_b32_e32 v12, 1, v13
	v_add_co_u32_e32 v15, vcc, -1, v12
	v_addc_co_u32_e64 v41, s[38:39], 0, -1, vcc
	v_cmp_ne_u32_e32 vcc, 0, v12
	v_xor_b32_e32 v12, vcc_hi, v41
	v_and_b32_e32 v41, exec_hi, v12
	v_lshlrev_b32_e32 v12, 30, v13
	v_xor_b32_e32 v15, vcc_lo, v15
	v_cmp_gt_i64_e32 vcc, 0, v[11:12]
	v_not_b32_e32 v12, v12
	v_ashrrev_i32_e32 v12, 31, v12
	v_and_b32_e32 v15, exec_lo, v15
	v_xor_b32_e32 v42, vcc_hi, v12
	v_xor_b32_e32 v12, vcc_lo, v12
	v_and_b32_e32 v15, v15, v12
	v_lshlrev_b32_e32 v12, 29, v13
	v_cmp_gt_i64_e32 vcc, 0, v[11:12]
	v_not_b32_e32 v12, v12
	v_ashrrev_i32_e32 v12, 31, v12
	v_and_b32_e32 v41, v41, v42
	v_xor_b32_e32 v42, vcc_hi, v12
	v_xor_b32_e32 v12, vcc_lo, v12
	v_and_b32_e32 v15, v15, v12
	v_lshlrev_b32_e32 v12, 28, v13
	v_cmp_gt_i64_e32 vcc, 0, v[11:12]
	v_not_b32_e32 v12, v12
	v_ashrrev_i32_e32 v12, 31, v12
	v_and_b32_e32 v41, v41, v42
	;; [unrolled: 8-line block ×5, first 2 shown]
	v_xor_b32_e32 v42, vcc_hi, v12
	v_xor_b32_e32 v12, vcc_lo, v12
	v_and_b32_e32 v15, v15, v12
	v_lshlrev_b32_e32 v12, 24, v13
	v_cmp_gt_i64_e32 vcc, 0, v[11:12]
	v_not_b32_e32 v12, v12
	v_ashrrev_i32_e32 v12, 31, v12
	v_xor_b32_e32 v13, vcc_hi, v12
	v_xor_b32_e32 v12, vcc_lo, v12
	v_and_b32_e32 v41, v41, v42
	v_and_b32_e32 v12, v15, v12
	v_and_b32_e32 v13, v41, v13
	v_mbcnt_lo_u32_b32 v15, v12, 0
	v_mbcnt_hi_u32_b32 v41, v13, v15
	v_cmp_ne_u64_e32 vcc, 0, v[12:13]
	v_cmp_eq_u32_e64 s[38:39], 0, v41
	s_and_b64 s[40:41], vcc, s[38:39]
	v_add_u32_e32 v42, v32, v14
	; wave barrier
	s_and_saveexec_b64 s[38:39], s[40:41]
	s_cbranch_execz .LBB132_12
; %bb.11:                               ;   in Loop: Header=BB132_4 Depth=2
	v_bcnt_u32_b32 v12, v12, 0
	v_bcnt_u32_b32 v12, v13, v12
	s_waitcnt lgkmcnt(0)
	v_add_u32_e32 v12, v40, v12
	ds_write_b32 v42, v12 offset:20
.LBB132_12:                             ;   in Loop: Header=BB132_4 Depth=2
	s_or_b64 exec, exec, s[38:39]
	; wave barrier
	s_waitcnt lgkmcnt(0)
	s_barrier
	ds_read2_b32 v[14:15], v24 offset0:5 offset1:6
	ds_read2_b32 v[12:13], v24 offset0:7 offset1:8
	s_waitcnt lgkmcnt(1)
	v_add_u32_e32 v43, v15, v14
	s_waitcnt lgkmcnt(0)
	v_add3_u32 v13, v43, v12, v13
	s_nop 1
	v_mov_b32_dpp v43, v13 row_shr:1 row_mask:0xf bank_mask:0xf
	v_cndmask_b32_e64 v43, v43, 0, s[8:9]
	v_add_u32_e32 v13, v43, v13
	s_nop 1
	v_mov_b32_dpp v43, v13 row_shr:2 row_mask:0xf bank_mask:0xf
	v_cndmask_b32_e64 v43, 0, v43, s[10:11]
	v_add_u32_e32 v13, v13, v43
	;; [unrolled: 4-line block ×4, first 2 shown]
	s_nop 1
	v_mov_b32_dpp v43, v13 row_bcast:15 row_mask:0xf bank_mask:0xf
	v_cndmask_b32_e64 v43, v43, 0, s[16:17]
	v_add_u32_e32 v13, v13, v43
	s_nop 1
	v_mov_b32_dpp v43, v13 row_bcast:31 row_mask:0xf bank_mask:0xf
	v_cndmask_b32_e64 v43, 0, v43, s[18:19]
	v_add_u32_e32 v13, v13, v43
	s_and_saveexec_b64 s[38:39], s[20:21]
; %bb.13:                               ;   in Loop: Header=BB132_4 Depth=2
	ds_write_b32 v26, v13
; %bb.14:                               ;   in Loop: Header=BB132_4 Depth=2
	s_or_b64 exec, exec, s[38:39]
	s_waitcnt lgkmcnt(0)
	s_barrier
	s_and_saveexec_b64 s[38:39], s[22:23]
	s_cbranch_execz .LBB132_16
; %bb.15:                               ;   in Loop: Header=BB132_4 Depth=2
	ds_read_b32 v43, v34
	s_waitcnt lgkmcnt(0)
	s_nop 0
	v_mov_b32_dpp v44, v43 row_shr:1 row_mask:0xf bank_mask:0xf
	v_cndmask_b32_e64 v44, v44, 0, s[30:31]
	v_add_u32_e32 v43, v44, v43
	s_nop 1
	v_mov_b32_dpp v44, v43 row_shr:2 row_mask:0xf bank_mask:0xf
	v_cndmask_b32_e64 v44, 0, v44, s[34:35]
	v_add_u32_e32 v43, v43, v44
	;; [unrolled: 4-line block ×3, first 2 shown]
	ds_write_b32 v34, v43
.LBB132_16:                             ;   in Loop: Header=BB132_4 Depth=2
	s_or_b64 exec, exec, s[38:39]
	v_mov_b32_e32 v43, 0
	s_waitcnt lgkmcnt(0)
	s_barrier
	s_and_saveexec_b64 s[38:39], s[24:25]
; %bb.17:                               ;   in Loop: Header=BB132_4 Depth=2
	ds_read_b32 v43, v27
; %bb.18:                               ;   in Loop: Header=BB132_4 Depth=2
	s_or_b64 exec, exec, s[38:39]
	s_waitcnt lgkmcnt(0)
	v_add_u32_e32 v13, v43, v13
	ds_bpermute_b32 v13, v25, v13
	v_cmp_lt_u32_e32 vcc, 55, v7
	s_and_b64 vcc, exec, vcc
	s_mov_b64 s[38:39], -1
	s_waitcnt lgkmcnt(0)
	v_cndmask_b32_e64 v13, v13, v43, s[26:27]
	v_cndmask_b32_e64 v13, v13, 0, s[28:29]
	v_add_u32_e32 v14, v13, v14
	v_add_u32_e32 v15, v14, v15
	;; [unrolled: 1-line block ×3, first 2 shown]
	ds_write2_b32 v24, v13, v14 offset0:5 offset1:6
	ds_write2_b32 v24, v15, v12 offset0:7 offset1:8
	s_waitcnt lgkmcnt(0)
	s_barrier
	ds_read_b32 v12, v17 offset:20
	ds_read_b32 v13, v36 offset:20
	;; [unrolled: 1-line block ×4, first 2 shown]
	s_waitcnt lgkmcnt(3)
	v_add_u32_e32 v42, v12, v16
	s_waitcnt lgkmcnt(2)
	v_add3_u32 v39, v19, v18, v13
	s_waitcnt lgkmcnt(1)
	v_add3_u32 v37, v38, v37, v14
	s_waitcnt lgkmcnt(0)
	v_add3_u32 v36, v41, v40, v15
                                        ; implicit-def: $vgpr18_vgpr19
                                        ; implicit-def: $vgpr16_vgpr17
                                        ; implicit-def: $vgpr14_vgpr15
                                        ; implicit-def: $vgpr12_vgpr13
	s_cbranch_vccnz .LBB132_3
; %bb.19:                               ;   in Loop: Header=BB132_4 Depth=2
	v_lshrrev_b32_e32 v12, 2, v42
	v_and_b32_e32 v12, 0x3ffffff8, v12
	v_lshl_add_u32 v12, v42, 3, v12
	s_barrier
	ds_write_b64 v12, v[9:10]
	v_lshrrev_b32_e32 v12, 2, v39
	v_and_b32_e32 v12, 0x3ffffff8, v12
	v_lshl_add_u32 v12, v39, 3, v12
	ds_write_b64 v12, v[5:6]
	v_lshrrev_b32_e32 v12, 2, v37
	v_and_b32_e32 v12, 0x3ffffff8, v12
	v_lshl_add_u32 v12, v37, 3, v12
	;; [unrolled: 4-line block ×3, first 2 shown]
	ds_write_b64 v12, v[1:2]
	s_waitcnt lgkmcnt(0)
	s_barrier
	ds_read_b64 v[12:13], v28
	ds_read_b64 v[14:15], v29 offset:512
	ds_read_b64 v[16:17], v30 offset:1024
	;; [unrolled: 1-line block ×3, first 2 shown]
	v_add_co_u32_e32 v7, vcc, 8, v7
	v_addc_co_u32_e32 v8, vcc, 0, v8, vcc
	s_mov_b64 s[38:39], 0
	s_waitcnt lgkmcnt(0)
	s_barrier
	s_branch .LBB132_3
.LBB132_20:
	s_add_u32 s0, s42, s46
	s_addc_u32 s1, s43, s47
	v_lshlrev_b32_e32 v0, 3, v0
	v_mov_b32_e32 v1, s1
	v_add_co_u32_e32 v2, vcc, s0, v0
	v_addc_co_u32_e32 v1, vcc, 0, v1, vcc
	global_store_dwordx2 v0, v[7:8], s[0:1]
	global_store_dwordx2 v0, v[9:10], s[0:1] offset:2560
	v_add_co_u32_e32 v0, vcc, 0x1000, v2
	v_addc_co_u32_e32 v1, vcc, 0, v1, vcc
	global_store_dwordx2 v[0:1], v[3:4], off offset:1024
	global_store_dwordx2 v[0:1], v[5:6], off offset:3584
	s_endpgm
	.section	.rodata,"a",@progbits
	.p2align	6, 0x0
	.amdhsa_kernel _Z16sort_keys_kernelI22helper_blocked_blockedxLj320ELj4ELj10EEvPKT0_PS1_
		.amdhsa_group_segment_fixed_size 10560
		.amdhsa_private_segment_fixed_size 0
		.amdhsa_kernarg_size 272
		.amdhsa_user_sgpr_count 6
		.amdhsa_user_sgpr_private_segment_buffer 1
		.amdhsa_user_sgpr_dispatch_ptr 0
		.amdhsa_user_sgpr_queue_ptr 0
		.amdhsa_user_sgpr_kernarg_segment_ptr 1
		.amdhsa_user_sgpr_dispatch_id 0
		.amdhsa_user_sgpr_flat_scratch_init 0
		.amdhsa_user_sgpr_private_segment_size 0
		.amdhsa_uses_dynamic_stack 0
		.amdhsa_system_sgpr_private_segment_wavefront_offset 0
		.amdhsa_system_sgpr_workgroup_id_x 1
		.amdhsa_system_sgpr_workgroup_id_y 0
		.amdhsa_system_sgpr_workgroup_id_z 0
		.amdhsa_system_sgpr_workgroup_info 0
		.amdhsa_system_vgpr_workitem_id 2
		.amdhsa_next_free_vgpr 45
		.amdhsa_next_free_sgpr 61
		.amdhsa_reserve_vcc 1
		.amdhsa_reserve_flat_scratch 0
		.amdhsa_float_round_mode_32 0
		.amdhsa_float_round_mode_16_64 0
		.amdhsa_float_denorm_mode_32 3
		.amdhsa_float_denorm_mode_16_64 3
		.amdhsa_dx10_clamp 1
		.amdhsa_ieee_mode 1
		.amdhsa_fp16_overflow 0
		.amdhsa_exception_fp_ieee_invalid_op 0
		.amdhsa_exception_fp_denorm_src 0
		.amdhsa_exception_fp_ieee_div_zero 0
		.amdhsa_exception_fp_ieee_overflow 0
		.amdhsa_exception_fp_ieee_underflow 0
		.amdhsa_exception_fp_ieee_inexact 0
		.amdhsa_exception_int_div_zero 0
	.end_amdhsa_kernel
	.section	.text._Z16sort_keys_kernelI22helper_blocked_blockedxLj320ELj4ELj10EEvPKT0_PS1_,"axG",@progbits,_Z16sort_keys_kernelI22helper_blocked_blockedxLj320ELj4ELj10EEvPKT0_PS1_,comdat
.Lfunc_end132:
	.size	_Z16sort_keys_kernelI22helper_blocked_blockedxLj320ELj4ELj10EEvPKT0_PS1_, .Lfunc_end132-_Z16sort_keys_kernelI22helper_blocked_blockedxLj320ELj4ELj10EEvPKT0_PS1_
                                        ; -- End function
	.set _Z16sort_keys_kernelI22helper_blocked_blockedxLj320ELj4ELj10EEvPKT0_PS1_.num_vgpr, 45
	.set _Z16sort_keys_kernelI22helper_blocked_blockedxLj320ELj4ELj10EEvPKT0_PS1_.num_agpr, 0
	.set _Z16sort_keys_kernelI22helper_blocked_blockedxLj320ELj4ELj10EEvPKT0_PS1_.numbered_sgpr, 48
	.set _Z16sort_keys_kernelI22helper_blocked_blockedxLj320ELj4ELj10EEvPKT0_PS1_.num_named_barrier, 0
	.set _Z16sort_keys_kernelI22helper_blocked_blockedxLj320ELj4ELj10EEvPKT0_PS1_.private_seg_size, 0
	.set _Z16sort_keys_kernelI22helper_blocked_blockedxLj320ELj4ELj10EEvPKT0_PS1_.uses_vcc, 1
	.set _Z16sort_keys_kernelI22helper_blocked_blockedxLj320ELj4ELj10EEvPKT0_PS1_.uses_flat_scratch, 0
	.set _Z16sort_keys_kernelI22helper_blocked_blockedxLj320ELj4ELj10EEvPKT0_PS1_.has_dyn_sized_stack, 0
	.set _Z16sort_keys_kernelI22helper_blocked_blockedxLj320ELj4ELj10EEvPKT0_PS1_.has_recursion, 0
	.set _Z16sort_keys_kernelI22helper_blocked_blockedxLj320ELj4ELj10EEvPKT0_PS1_.has_indirect_call, 0
	.section	.AMDGPU.csdata,"",@progbits
; Kernel info:
; codeLenInByte = 3744
; TotalNumSgprs: 52
; NumVgprs: 45
; ScratchSize: 0
; MemoryBound: 0
; FloatMode: 240
; IeeeMode: 1
; LDSByteSize: 10560 bytes/workgroup (compile time only)
; SGPRBlocks: 8
; VGPRBlocks: 11
; NumSGPRsForWavesPerEU: 65
; NumVGPRsForWavesPerEU: 45
; Occupancy: 5
; WaveLimiterHint : 1
; COMPUTE_PGM_RSRC2:SCRATCH_EN: 0
; COMPUTE_PGM_RSRC2:USER_SGPR: 6
; COMPUTE_PGM_RSRC2:TRAP_HANDLER: 0
; COMPUTE_PGM_RSRC2:TGID_X_EN: 1
; COMPUTE_PGM_RSRC2:TGID_Y_EN: 0
; COMPUTE_PGM_RSRC2:TGID_Z_EN: 0
; COMPUTE_PGM_RSRC2:TIDIG_COMP_CNT: 2
	.section	.text._Z17sort_pairs_kernelI22helper_blocked_blockedxLj320ELj4ELj10EEvPKT0_PS1_,"axG",@progbits,_Z17sort_pairs_kernelI22helper_blocked_blockedxLj320ELj4ELj10EEvPKT0_PS1_,comdat
	.protected	_Z17sort_pairs_kernelI22helper_blocked_blockedxLj320ELj4ELj10EEvPKT0_PS1_ ; -- Begin function _Z17sort_pairs_kernelI22helper_blocked_blockedxLj320ELj4ELj10EEvPKT0_PS1_
	.globl	_Z17sort_pairs_kernelI22helper_blocked_blockedxLj320ELj4ELj10EEvPKT0_PS1_
	.p2align	8
	.type	_Z17sort_pairs_kernelI22helper_blocked_blockedxLj320ELj4ELj10EEvPKT0_PS1_,@function
_Z17sort_pairs_kernelI22helper_blocked_blockedxLj320ELj4ELj10EEvPKT0_PS1_: ; @_Z17sort_pairs_kernelI22helper_blocked_blockedxLj320ELj4ELj10EEvPKT0_PS1_
; %bb.0:
	s_load_dwordx4 s[40:43], s[4:5], 0x0
	s_load_dword s33, s[4:5], 0x1c
	s_mul_i32 s46, s6, 0x500
	s_mov_b32 s47, 0
	s_lshl_b64 s[44:45], s[46:47], 3
	s_waitcnt lgkmcnt(0)
	s_add_u32 s0, s40, s44
	s_addc_u32 s1, s41, s45
	v_lshlrev_b32_e32 v3, 3, v0
	global_load_dwordx2 v[7:8], v3, s[0:1]
	global_load_dwordx2 v[9:10], v3, s[0:1] offset:2560
	v_mov_b32_e32 v4, s1
	v_add_co_u32_e32 v5, vcc, s0, v3
	v_addc_co_u32_e32 v4, vcc, 0, v4, vcc
	s_movk_i32 s0, 0x1000
	v_add_co_u32_e32 v11, vcc, s0, v5
	v_addc_co_u32_e32 v12, vcc, 0, v4, vcc
	global_load_dwordx2 v[3:4], v[11:12], off offset:1024
	global_load_dwordx2 v[5:6], v[11:12], off offset:3584
	v_mbcnt_lo_u32_b32 v11, -1, 0
	s_lshr_b32 s38, s33, 16
	s_movk_i32 s10, 0x700
	v_mbcnt_hi_u32_b32 v11, -1, v11
	v_lshlrev_b32_e32 v12, 2, v0
	s_and_b32 s33, s33, 0xffff
	v_mad_u32_u24 v1, v2, s38, v1
	v_and_or_b32 v21, v12, s10, v11
	v_mad_u64_u32 v[1:2], s[38:39], v1, s33, v[0:1]
	v_and_b32_e32 v16, 64, v11
	v_subrev_co_u32_e64 v19, s[8:9], 1, v11
	v_add_u32_e32 v2, 64, v21
	v_cmp_lt_i32_e32 vcc, v19, v16
	v_lshrrev_b32_e32 v2, 2, v2
	v_lshrrev_b32_e32 v14, 2, v11
	v_and_b32_e32 v15, 3, v11
	v_and_b32_e32 v17, 15, v11
	;; [unrolled: 1-line block ×3, first 2 shown]
	v_cmp_lt_u32_e64 s[6:7], 31, v11
	v_and_b32_e32 v20, 7, v11
	v_cndmask_b32_e32 v11, v19, v11, vcc
	v_lshlrev_b32_e32 v19, 3, v21
	v_and_b32_e32 v2, 0x1f8, v2
	v_cmp_eq_u32_e64 s[10:11], 3, v15
	v_cmp_eq_u32_e64 s[12:13], 2, v15
	;; [unrolled: 1-line block ×4, first 2 shown]
	v_lshrrev_b32_e32 v15, 2, v21
	v_add_u32_e32 v41, v2, v19
	v_or_b32_e32 v2, 0x80, v21
	v_or_b32_e32 v12, v14, v16
	v_add_u32_e32 v14, 48, v14
	v_cmp_eq_u32_e64 s[28:29], 0, v20
	v_cmp_lt_u32_e64 s[30:31], 1, v20
	v_cmp_lt_u32_e64 s[34:35], 3, v20
	v_and_b32_e32 v20, 0x1d8, v15
	v_lshrrev_b32_e32 v2, 2, v2
	v_lshlrev_b32_e32 v37, 2, v12
	v_and_or_b32 v12, v14, 63, v16
	v_and_b32_e32 v2, 0x1f8, v2
	v_cmp_eq_u32_e64 s[18:19], 0, v17
	v_cmp_lt_u32_e64 s[20:21], 1, v17
	v_cmp_lt_u32_e64 s[22:23], 3, v17
	;; [unrolled: 1-line block ×3, first 2 shown]
	v_add_u32_e32 v42, v2, v19
	v_add_u32_e32 v2, 0xc0, v21
	v_and_b32_e32 v13, 0x1c0, v0
	v_cmp_eq_u32_e64 s[26:27], 0, v18
	v_lshrrev_b32_e32 v2, 2, v2
	v_min_u32_e32 v13, 0x100, v13
	v_lshlrev_b32_e32 v38, 2, v11
	v_and_b32_e32 v2, 0x3f8, v2
	v_lshrrev_b32_e32 v1, 4, v1
	v_or_b32_e32 v13, 63, v13
	v_lshlrev_b32_e32 v39, 2, v12
	v_add_u32_e32 v43, v2, v19
	v_lshrrev_b32_e32 v2, 4, v0
	v_and_b32_e32 v45, 0xffffffc, v1
	v_and_b32_e32 v1, 0x1f8, v0
	v_cmp_eq_u32_e64 s[36:37], v0, v13
	v_and_b32_e32 v44, 28, v2
	v_lshl_add_u32 v46, v0, 5, v1
	v_lshlrev_b32_e32 v47, 4, v0
	v_mul_i32_i24_e32 v1, -12, v0
	v_cmp_gt_u32_e64 s[0:1], 5, v0
	s_waitcnt vmcnt(3)
	v_add_co_u32_e32 v15, vcc, 1, v7
	v_addc_co_u32_e32 v16, vcc, 0, v8, vcc
	s_waitcnt vmcnt(2)
	v_add_co_u32_e32 v17, vcc, 1, v9
	v_addc_co_u32_e32 v18, vcc, 0, v10, vcc
	v_cmp_lt_u32_e64 s[2:3], 63, v0
	v_cmp_eq_u32_e64 s[4:5], 0, v0
	v_add_u32_e32 v40, v20, v19
	s_waitcnt vmcnt(1)
	v_add_co_u32_e32 v11, vcc, 1, v3
	v_addc_co_u32_e32 v12, vcc, 0, v4, vcc
	s_waitcnt vmcnt(0)
	v_add_co_u32_e32 v13, vcc, 1, v5
	v_addc_co_u32_e32 v14, vcc, 0, v6, vcc
	v_add_u32_e32 v48, v47, v1
	v_add_u32_e32 v49, 64, v37
	v_or_b32_e32 v50, 0x80, v37
	v_add_u32_e32 v51, -4, v44
	v_mov_b32_e32 v52, 20
	v_mov_b32_e32 v1, 0
	s_branch .LBB133_2
.LBB133_1:                              ;   in Loop: Header=BB133_2 Depth=1
	v_lshrrev_b32_e32 v7, 2, v55
	v_and_b32_e32 v7, 0x3ffffff8, v7
	v_lshl_add_u32 v21, v55, 3, v7
	v_lshrrev_b32_e32 v7, 2, v54
	v_and_b32_e32 v7, 0x3ffffff8, v7
	s_barrier
	ds_write_b64 v21, v[19:20]
	v_lshl_add_u32 v19, v54, 3, v7
	v_lshrrev_b32_e32 v7, 2, v53
	v_and_b32_e32 v7, 0x3ffffff8, v7
	v_lshl_add_u32 v20, v53, 3, v7
	ds_write_b64 v19, v[9:10]
	ds_write_b64 v20, v[5:6]
	v_lshrrev_b32_e32 v5, 2, v2
	v_and_b32_e32 v5, 0x3ffffff8, v5
	v_lshl_add_u32 v2, v2, 3, v5
	ds_write_b64 v2, v[3:4]
	s_waitcnt lgkmcnt(0)
	s_barrier
	ds_read2_b64 v[7:10], v46 offset1:1
	ds_read2_b64 v[3:6], v46 offset0:2 offset1:3
	s_waitcnt lgkmcnt(0)
	s_barrier
	ds_write_b64 v21, v[17:18]
	ds_write_b64 v19, v[15:16]
	;; [unrolled: 1-line block ×4, first 2 shown]
	s_waitcnt lgkmcnt(0)
	s_barrier
	ds_read2_b64 v[15:18], v46 offset1:1
	ds_read2_b64 v[11:14], v46 offset0:2 offset1:3
	s_add_i32 s47, s47, 1
	v_xor_b32_e32 v8, 0x80000000, v8
	v_xor_b32_e32 v10, 0x80000000, v10
	v_xor_b32_e32 v4, 0x80000000, v4
	s_cmp_lg_u32 s47, 10
	v_xor_b32_e32 v6, 0x80000000, v6
	s_cbranch_scc0 .LBB133_20
.LBB133_2:                              ; =>This Loop Header: Depth=1
                                        ;     Child Loop BB133_4 Depth 2
	v_xor_b32_e32 v2, 0x80000000, v8
	ds_bpermute_b32 v8, v37, v7
	ds_bpermute_b32 v20, v37, v9
	ds_bpermute_b32 v19, v37, v2
	v_xor_b32_e32 v10, 0x80000000, v10
	ds_bpermute_b32 v21, v37, v10
	s_waitcnt lgkmcnt(3)
	v_cndmask_b32_e64 v8, 0, v8, s[16:17]
	v_xor_b32_e32 v4, 0x80000000, v4
	ds_bpermute_b32 v23, v37, v3
	ds_bpermute_b32 v22, v37, v4
	s_waitcnt lgkmcnt(4)
	v_cndmask_b32_e64 v8, v8, v20, s[14:15]
	ds_bpermute_b32 v20, v37, v5
	s_waitcnt lgkmcnt(4)
	v_cndmask_b32_e64 v19, 0, v19, s[16:17]
	s_waitcnt lgkmcnt(3)
	v_cndmask_b32_e64 v19, v19, v21, s[14:15]
	;; [unrolled: 2-line block ×3, first 2 shown]
	v_xor_b32_e32 v6, 0x80000000, v6
	s_waitcnt lgkmcnt(1)
	v_cndmask_b32_e64 v19, v19, v22, s[12:13]
	ds_bpermute_b32 v22, v37, v6
	s_waitcnt lgkmcnt(1)
	v_cndmask_b32_e64 v21, v8, v20, s[10:11]
	ds_bpermute_b32 v20, v49, v7
	ds_bpermute_b32 v23, v49, v9
	ds_bpermute_b32 v8, v49, v2
	ds_bpermute_b32 v24, v49, v10
	s_waitcnt lgkmcnt(4)
	v_cndmask_b32_e64 v22, v19, v22, s[10:11]
	s_waitcnt lgkmcnt(3)
	v_cndmask_b32_e64 v19, 0, v20, s[16:17]
	;; [unrolled: 2-line block ×3, first 2 shown]
	ds_bpermute_b32 v20, v49, v4
	ds_bpermute_b32 v23, v49, v3
	s_waitcnt lgkmcnt(3)
	v_cndmask_b32_e64 v8, 0, v8, s[16:17]
	ds_bpermute_b32 v25, v49, v5
	s_waitcnt lgkmcnt(3)
	v_cndmask_b32_e64 v8, v8, v24, s[14:15]
	;; [unrolled: 3-line block ×3, first 2 shown]
	s_waitcnt lgkmcnt(2)
	v_cndmask_b32_e64 v19, v19, v23, s[12:13]
	ds_bpermute_b32 v20, v50, v7
	s_waitcnt lgkmcnt(2)
	v_cndmask_b32_e64 v23, v19, v25, s[10:11]
	ds_bpermute_b32 v19, v50, v2
	ds_bpermute_b32 v25, v50, v9
	s_waitcnt lgkmcnt(3)
	v_cndmask_b32_e64 v24, v8, v24, s[10:11]
	ds_bpermute_b32 v8, v50, v10
	s_waitcnt lgkmcnt(3)
	v_cndmask_b32_e64 v20, 0, v20, s[16:17]
	s_waitcnt lgkmcnt(2)
	v_cndmask_b32_e64 v19, 0, v19, s[16:17]
	s_waitcnt lgkmcnt(1)
	v_cndmask_b32_e64 v20, v20, v25, s[14:15]
	ds_bpermute_b32 v25, v50, v4
	ds_bpermute_b32 v26, v50, v3
	s_waitcnt lgkmcnt(2)
	v_cndmask_b32_e64 v8, v19, v8, s[14:15]
	ds_bpermute_b32 v19, v50, v6
	ds_bpermute_b32 v2, v39, v2
	s_waitcnt lgkmcnt(3)
	v_cndmask_b32_e64 v8, v8, v25, s[12:13]
	s_waitcnt lgkmcnt(2)
	v_cndmask_b32_e64 v20, v20, v26, s[12:13]
	ds_bpermute_b32 v4, v39, v4
	s_waitcnt lgkmcnt(2)
	v_cndmask_b32_e64 v26, v8, v19, s[10:11]
	ds_bpermute_b32 v8, v39, v9
	ds_bpermute_b32 v9, v39, v10
	;; [unrolled: 1-line block ×3, first 2 shown]
	s_waitcnt lgkmcnt(4)
	v_cndmask_b32_e64 v2, 0, v2, s[16:17]
	ds_bpermute_b32 v3, v39, v3
	ds_bpermute_b32 v27, v50, v5
	s_waitcnt lgkmcnt(3)
	v_cndmask_b32_e64 v2, v2, v9, s[14:15]
	v_cndmask_b32_e64 v2, v2, v4, s[12:13]
	ds_bpermute_b32 v4, v39, v5
	ds_bpermute_b32 v5, v39, v6
	s_waitcnt lgkmcnt(4)
	v_cndmask_b32_e64 v7, 0, v7, s[16:17]
	v_cndmask_b32_e64 v7, v7, v8, s[14:15]
	s_waitcnt lgkmcnt(3)
	v_cndmask_b32_e64 v3, v7, v3, s[12:13]
	ds_bpermute_b32 v7, v37, v16
	s_waitcnt lgkmcnt(3)
	v_cndmask_b32_e64 v25, v20, v27, s[10:11]
	ds_bpermute_b32 v6, v37, v15
	;; [unrolled: 3-line block ×8, first 2 shown]
	s_waitcnt lgkmcnt(3)
	v_cndmask_b32_e64 v3, v3, v7, s[12:13]
	s_waitcnt lgkmcnt(2)
	v_cndmask_b32_e64 v2, v2, v6, s[12:13]
	s_waitcnt lgkmcnt(1)
	v_cndmask_b32_e64 v30, v3, v4, s[10:11]
	ds_bpermute_b32 v3, v49, v15
	s_waitcnt lgkmcnt(1)
	v_cndmask_b32_e64 v29, v2, v5, s[10:11]
	ds_bpermute_b32 v2, v49, v17
	ds_bpermute_b32 v4, v49, v16
	;; [unrolled: 1-line block ×4, first 2 shown]
	s_waitcnt lgkmcnt(4)
	v_cndmask_b32_e64 v3, 0, v3, s[16:17]
	ds_bpermute_b32 v7, v49, v13
	s_waitcnt lgkmcnt(4)
	v_cndmask_b32_e64 v2, v3, v2, s[14:15]
	ds_bpermute_b32 v3, v49, v12
	s_waitcnt lgkmcnt(4)
	v_cndmask_b32_e64 v4, 0, v4, s[16:17]
	s_waitcnt lgkmcnt(3)
	v_cndmask_b32_e64 v2, v2, v5, s[12:13]
	;; [unrolled: 2-line block ×3, first 2 shown]
	ds_bpermute_b32 v6, v49, v14
	ds_bpermute_b32 v5, v50, v15
	s_waitcnt lgkmcnt(3)
	v_cndmask_b32_e64 v31, v2, v7, s[10:11]
	ds_bpermute_b32 v2, v50, v16
	s_waitcnt lgkmcnt(3)
	v_cndmask_b32_e64 v3, v4, v3, s[12:13]
	;; [unrolled: 3-line block ×3, first 2 shown]
	s_waitcnt lgkmcnt(2)
	v_cndmask_b32_e64 v3, 0, v5, s[16:17]
	ds_bpermute_b32 v5, v50, v17
	s_waitcnt lgkmcnt(2)
	v_cndmask_b32_e64 v2, 0, v2, s[16:17]
	ds_bpermute_b32 v7, v50, v12
	ds_bpermute_b32 v6, v50, v11
	s_waitcnt lgkmcnt(3)
	v_cndmask_b32_e64 v2, v2, v4, s[14:15]
	ds_bpermute_b32 v4, v50, v14
	s_waitcnt lgkmcnt(3)
	v_cndmask_b32_e64 v3, v3, v5, s[14:15]
	s_waitcnt lgkmcnt(2)
	v_cndmask_b32_e64 v2, v2, v7, s[12:13]
	ds_bpermute_b32 v5, v50, v13
	ds_bpermute_b32 v7, v39, v16
	s_waitcnt lgkmcnt(3)
	v_cndmask_b32_e64 v3, v3, v6, s[12:13]
	ds_bpermute_b32 v6, v39, v15
	s_waitcnt lgkmcnt(3)
	v_cndmask_b32_e64 v34, v2, v4, s[10:11]
	;; [unrolled: 3-line block ×3, first 2 shown]
	s_waitcnt lgkmcnt(2)
	v_cndmask_b32_e64 v4, 0, v7, s[16:17]
	ds_bpermute_b32 v5, v39, v17
	s_waitcnt lgkmcnt(2)
	v_cndmask_b32_e64 v3, 0, v6, s[16:17]
	s_waitcnt lgkmcnt(1)
	v_cndmask_b32_e64 v2, v4, v2, s[14:15]
	ds_bpermute_b32 v4, v39, v11
	ds_bpermute_b32 v6, v39, v12
	;; [unrolled: 1-line block ×4, first 2 shown]
	s_waitcnt lgkmcnt(4)
	v_cndmask_b32_e64 v3, v3, v5, s[14:15]
	s_waitcnt lgkmcnt(3)
	v_cndmask_b32_e64 v3, v3, v4, s[12:13]
	;; [unrolled: 2-line block ×5, first 2 shown]
	v_mov_b32_e32 v7, 0
	v_mov_b32_e32 v8, 0
	s_barrier
	s_branch .LBB133_4
.LBB133_3:                              ;   in Loop: Header=BB133_4 Depth=2
	s_andn2_b64 vcc, exec, s[38:39]
	s_cbranch_vccz .LBB133_1
.LBB133_4:                              ;   Parent Loop BB133_2 Depth=1
                                        ; =>  This Inner Loop Header: Depth=2
	v_mov_b32_e32 v19, v21
	v_mov_b32_e32 v20, v22
	v_lshrrev_b64 v[21:22], v7, v[19:20]
	v_mov_b32_e32 v9, v23
	v_and_b32_e32 v2, 1, v21
	v_add_co_u32_e32 v22, vcc, -1, v2
	v_mov_b32_e32 v10, v24
	v_addc_co_u32_e64 v24, s[38:39], 0, -1, vcc
	v_cmp_ne_u32_e32 vcc, 0, v2
	v_xor_b32_e32 v2, vcc_hi, v24
	v_and_b32_e32 v24, exec_hi, v2
	v_lshlrev_b32_e32 v2, 30, v21
	v_xor_b32_e32 v22, vcc_lo, v22
	v_cmp_gt_i64_e32 vcc, 0, v[1:2]
	v_not_b32_e32 v2, v2
	v_mov_b32_e32 v5, v25
	v_ashrrev_i32_e32 v2, 31, v2
	v_mov_b32_e32 v6, v26
	v_and_b32_e32 v22, exec_lo, v22
	v_xor_b32_e32 v25, vcc_hi, v2
	v_xor_b32_e32 v2, vcc_lo, v2
	v_and_b32_e32 v22, v22, v2
	v_lshlrev_b32_e32 v2, 29, v21
	v_cmp_gt_i64_e32 vcc, 0, v[1:2]
	v_not_b32_e32 v2, v2
	v_ashrrev_i32_e32 v2, 31, v2
	v_and_b32_e32 v24, v24, v25
	v_xor_b32_e32 v25, vcc_hi, v2
	v_xor_b32_e32 v2, vcc_lo, v2
	v_and_b32_e32 v22, v22, v2
	v_lshlrev_b32_e32 v2, 28, v21
	v_cmp_gt_i64_e32 vcc, 0, v[1:2]
	v_not_b32_e32 v2, v2
	v_ashrrev_i32_e32 v2, 31, v2
	v_and_b32_e32 v24, v24, v25
	;; [unrolled: 8-line block ×5, first 2 shown]
	v_xor_b32_e32 v25, vcc_hi, v2
	v_xor_b32_e32 v2, vcc_lo, v2
	v_and_b32_e32 v24, v24, v25
	v_and_b32_e32 v25, v22, v2
	v_lshlrev_b32_e32 v2, 24, v21
	v_cmp_gt_i64_e32 vcc, 0, v[1:2]
	v_not_b32_e32 v2, v2
	v_ashrrev_i32_e32 v2, 31, v2
	v_mul_u32_u24_sdwa v23, v21, v52 dst_sel:DWORD dst_unused:UNUSED_PAD src0_sel:BYTE_0 src1_sel:DWORD
	v_xor_b32_e32 v21, vcc_hi, v2
	v_xor_b32_e32 v2, vcc_lo, v2
	v_and_b32_e32 v22, v24, v21
	v_and_b32_e32 v21, v25, v2
	v_mbcnt_lo_u32_b32 v2, v21, 0
	v_mbcnt_hi_u32_b32 v25, v22, v2
	v_cmp_ne_u64_e32 vcc, 0, v[21:22]
	v_mov_b32_e32 v3, v27
	v_mov_b32_e32 v17, v29
	;; [unrolled: 1-line block ×5, first 2 shown]
	v_cmp_eq_u32_e64 s[38:39], 0, v25
	v_mov_b32_e32 v4, v28
	v_mov_b32_e32 v18, v30
	;; [unrolled: 1-line block ×5, first 2 shown]
	s_and_b64 s[40:41], vcc, s[38:39]
	v_add_u32_e32 v26, v45, v23
	ds_write2_b32 v47, v1, v1 offset0:5 offset1:6
	ds_write2_b32 v47, v1, v1 offset0:7 offset1:8
	s_waitcnt lgkmcnt(0)
	s_barrier
	; wave barrier
	s_and_saveexec_b64 s[38:39], s[40:41]
; %bb.5:                                ;   in Loop: Header=BB133_4 Depth=2
	v_bcnt_u32_b32 v2, v21, 0
	v_bcnt_u32_b32 v2, v22, v2
	ds_write_b32 v26, v2 offset:20
; %bb.6:                                ;   in Loop: Header=BB133_4 Depth=2
	s_or_b64 exec, exec, s[38:39]
	v_lshrrev_b64 v[21:22], v7, v[9:10]
	v_and_b32_e32 v2, 0xff, v21
	v_mul_u32_u24_e32 v23, 20, v2
	v_mad_u32_u24 v2, v2, 20, v45
	; wave barrier
	ds_read_b32 v27, v2 offset:20
	v_and_b32_e32 v2, 1, v21
	v_add_co_u32_e32 v22, vcc, -1, v2
	v_addc_co_u32_e64 v24, s[38:39], 0, -1, vcc
	v_cmp_ne_u32_e32 vcc, 0, v2
	v_xor_b32_e32 v2, vcc_hi, v24
	v_and_b32_e32 v24, exec_hi, v2
	v_lshlrev_b32_e32 v2, 30, v21
	v_xor_b32_e32 v22, vcc_lo, v22
	v_cmp_gt_i64_e32 vcc, 0, v[1:2]
	v_not_b32_e32 v2, v2
	v_ashrrev_i32_e32 v2, 31, v2
	v_and_b32_e32 v22, exec_lo, v22
	v_xor_b32_e32 v28, vcc_hi, v2
	v_xor_b32_e32 v2, vcc_lo, v2
	v_and_b32_e32 v22, v22, v2
	v_lshlrev_b32_e32 v2, 29, v21
	v_cmp_gt_i64_e32 vcc, 0, v[1:2]
	v_not_b32_e32 v2, v2
	v_ashrrev_i32_e32 v2, 31, v2
	v_and_b32_e32 v24, v24, v28
	v_xor_b32_e32 v28, vcc_hi, v2
	v_xor_b32_e32 v2, vcc_lo, v2
	v_and_b32_e32 v22, v22, v2
	v_lshlrev_b32_e32 v2, 28, v21
	v_cmp_gt_i64_e32 vcc, 0, v[1:2]
	v_not_b32_e32 v2, v2
	v_ashrrev_i32_e32 v2, 31, v2
	v_and_b32_e32 v24, v24, v28
	;; [unrolled: 8-line block ×5, first 2 shown]
	v_xor_b32_e32 v28, vcc_hi, v2
	v_xor_b32_e32 v2, vcc_lo, v2
	v_and_b32_e32 v24, v24, v28
	v_and_b32_e32 v28, v22, v2
	v_lshlrev_b32_e32 v2, 24, v21
	v_cmp_gt_i64_e32 vcc, 0, v[1:2]
	v_not_b32_e32 v2, v2
	v_ashrrev_i32_e32 v2, 31, v2
	v_xor_b32_e32 v21, vcc_hi, v2
	v_xor_b32_e32 v2, vcc_lo, v2
	v_and_b32_e32 v22, v24, v21
	v_and_b32_e32 v21, v28, v2
	v_mbcnt_lo_u32_b32 v2, v21, 0
	v_mbcnt_hi_u32_b32 v28, v22, v2
	v_cmp_ne_u64_e32 vcc, 0, v[21:22]
	v_cmp_eq_u32_e64 s[38:39], 0, v28
	s_and_b64 s[40:41], vcc, s[38:39]
	v_add_u32_e32 v29, v45, v23
	; wave barrier
	s_and_saveexec_b64 s[38:39], s[40:41]
	s_cbranch_execz .LBB133_8
; %bb.7:                                ;   in Loop: Header=BB133_4 Depth=2
	v_bcnt_u32_b32 v2, v21, 0
	v_bcnt_u32_b32 v2, v22, v2
	s_waitcnt lgkmcnt(0)
	v_add_u32_e32 v2, v27, v2
	ds_write_b32 v29, v2 offset:20
.LBB133_8:                              ;   in Loop: Header=BB133_4 Depth=2
	s_or_b64 exec, exec, s[38:39]
	v_lshrrev_b64 v[21:22], v7, v[5:6]
	v_and_b32_e32 v2, 0xff, v21
	v_mul_u32_u24_e32 v23, 20, v2
	v_mad_u32_u24 v2, v2, 20, v45
	; wave barrier
	ds_read_b32 v30, v2 offset:20
	v_and_b32_e32 v2, 1, v21
	v_add_co_u32_e32 v22, vcc, -1, v2
	v_addc_co_u32_e64 v24, s[38:39], 0, -1, vcc
	v_cmp_ne_u32_e32 vcc, 0, v2
	v_xor_b32_e32 v2, vcc_hi, v24
	v_and_b32_e32 v24, exec_hi, v2
	v_lshlrev_b32_e32 v2, 30, v21
	v_xor_b32_e32 v22, vcc_lo, v22
	v_cmp_gt_i64_e32 vcc, 0, v[1:2]
	v_not_b32_e32 v2, v2
	v_ashrrev_i32_e32 v2, 31, v2
	v_and_b32_e32 v22, exec_lo, v22
	v_xor_b32_e32 v31, vcc_hi, v2
	v_xor_b32_e32 v2, vcc_lo, v2
	v_and_b32_e32 v22, v22, v2
	v_lshlrev_b32_e32 v2, 29, v21
	v_cmp_gt_i64_e32 vcc, 0, v[1:2]
	v_not_b32_e32 v2, v2
	v_ashrrev_i32_e32 v2, 31, v2
	v_and_b32_e32 v24, v24, v31
	v_xor_b32_e32 v31, vcc_hi, v2
	v_xor_b32_e32 v2, vcc_lo, v2
	v_and_b32_e32 v22, v22, v2
	v_lshlrev_b32_e32 v2, 28, v21
	v_cmp_gt_i64_e32 vcc, 0, v[1:2]
	v_not_b32_e32 v2, v2
	v_ashrrev_i32_e32 v2, 31, v2
	v_and_b32_e32 v24, v24, v31
	;; [unrolled: 8-line block ×5, first 2 shown]
	v_xor_b32_e32 v31, vcc_hi, v2
	v_xor_b32_e32 v2, vcc_lo, v2
	v_and_b32_e32 v24, v24, v31
	v_and_b32_e32 v31, v22, v2
	v_lshlrev_b32_e32 v2, 24, v21
	v_cmp_gt_i64_e32 vcc, 0, v[1:2]
	v_not_b32_e32 v2, v2
	v_ashrrev_i32_e32 v2, 31, v2
	v_xor_b32_e32 v21, vcc_hi, v2
	v_xor_b32_e32 v2, vcc_lo, v2
	v_and_b32_e32 v22, v24, v21
	v_and_b32_e32 v21, v31, v2
	v_mbcnt_lo_u32_b32 v2, v21, 0
	v_mbcnt_hi_u32_b32 v31, v22, v2
	v_cmp_ne_u64_e32 vcc, 0, v[21:22]
	v_cmp_eq_u32_e64 s[38:39], 0, v31
	s_and_b64 s[40:41], vcc, s[38:39]
	v_add_u32_e32 v32, v45, v23
	; wave barrier
	s_and_saveexec_b64 s[38:39], s[40:41]
	s_cbranch_execz .LBB133_10
; %bb.9:                                ;   in Loop: Header=BB133_4 Depth=2
	v_bcnt_u32_b32 v2, v21, 0
	v_bcnt_u32_b32 v2, v22, v2
	s_waitcnt lgkmcnt(0)
	v_add_u32_e32 v2, v30, v2
	ds_write_b32 v32, v2 offset:20
.LBB133_10:                             ;   in Loop: Header=BB133_4 Depth=2
	s_or_b64 exec, exec, s[38:39]
	v_lshrrev_b64 v[21:22], v7, v[3:4]
	v_and_b32_e32 v2, 0xff, v21
	v_mul_u32_u24_e32 v23, 20, v2
	v_mad_u32_u24 v2, v2, 20, v45
	; wave barrier
	ds_read_b32 v33, v2 offset:20
	v_and_b32_e32 v2, 1, v21
	v_add_co_u32_e32 v22, vcc, -1, v2
	v_addc_co_u32_e64 v24, s[38:39], 0, -1, vcc
	v_cmp_ne_u32_e32 vcc, 0, v2
	v_xor_b32_e32 v2, vcc_hi, v24
	v_and_b32_e32 v24, exec_hi, v2
	v_lshlrev_b32_e32 v2, 30, v21
	v_xor_b32_e32 v22, vcc_lo, v22
	v_cmp_gt_i64_e32 vcc, 0, v[1:2]
	v_not_b32_e32 v2, v2
	v_ashrrev_i32_e32 v2, 31, v2
	v_and_b32_e32 v22, exec_lo, v22
	v_xor_b32_e32 v34, vcc_hi, v2
	v_xor_b32_e32 v2, vcc_lo, v2
	v_and_b32_e32 v22, v22, v2
	v_lshlrev_b32_e32 v2, 29, v21
	v_cmp_gt_i64_e32 vcc, 0, v[1:2]
	v_not_b32_e32 v2, v2
	v_ashrrev_i32_e32 v2, 31, v2
	v_and_b32_e32 v24, v24, v34
	v_xor_b32_e32 v34, vcc_hi, v2
	v_xor_b32_e32 v2, vcc_lo, v2
	v_and_b32_e32 v22, v22, v2
	v_lshlrev_b32_e32 v2, 28, v21
	v_cmp_gt_i64_e32 vcc, 0, v[1:2]
	v_not_b32_e32 v2, v2
	v_ashrrev_i32_e32 v2, 31, v2
	v_and_b32_e32 v24, v24, v34
	;; [unrolled: 8-line block ×5, first 2 shown]
	v_xor_b32_e32 v34, vcc_hi, v2
	v_xor_b32_e32 v2, vcc_lo, v2
	v_and_b32_e32 v24, v24, v34
	v_and_b32_e32 v34, v22, v2
	v_lshlrev_b32_e32 v2, 24, v21
	v_cmp_gt_i64_e32 vcc, 0, v[1:2]
	v_not_b32_e32 v2, v2
	v_ashrrev_i32_e32 v2, 31, v2
	v_xor_b32_e32 v21, vcc_hi, v2
	v_xor_b32_e32 v2, vcc_lo, v2
	v_and_b32_e32 v22, v24, v21
	v_and_b32_e32 v21, v34, v2
	v_mbcnt_lo_u32_b32 v2, v21, 0
	v_mbcnt_hi_u32_b32 v2, v22, v2
	v_cmp_ne_u64_e32 vcc, 0, v[21:22]
	v_cmp_eq_u32_e64 s[38:39], 0, v2
	s_and_b64 s[40:41], vcc, s[38:39]
	v_add_u32_e32 v34, v45, v23
	; wave barrier
	s_and_saveexec_b64 s[38:39], s[40:41]
	s_cbranch_execz .LBB133_12
; %bb.11:                               ;   in Loop: Header=BB133_4 Depth=2
	v_bcnt_u32_b32 v21, v21, 0
	v_bcnt_u32_b32 v21, v22, v21
	s_waitcnt lgkmcnt(0)
	v_add_u32_e32 v21, v33, v21
	ds_write_b32 v34, v21 offset:20
.LBB133_12:                             ;   in Loop: Header=BB133_4 Depth=2
	s_or_b64 exec, exec, s[38:39]
	; wave barrier
	s_waitcnt lgkmcnt(0)
	s_barrier
	ds_read2_b32 v[23:24], v47 offset0:5 offset1:6
	ds_read2_b32 v[21:22], v47 offset0:7 offset1:8
	s_waitcnt lgkmcnt(1)
	v_add_u32_e32 v35, v24, v23
	s_waitcnt lgkmcnt(0)
	v_add3_u32 v22, v35, v21, v22
	s_nop 1
	v_mov_b32_dpp v35, v22 row_shr:1 row_mask:0xf bank_mask:0xf
	v_cndmask_b32_e64 v35, v35, 0, s[18:19]
	v_add_u32_e32 v22, v35, v22
	s_nop 1
	v_mov_b32_dpp v35, v22 row_shr:2 row_mask:0xf bank_mask:0xf
	v_cndmask_b32_e64 v35, 0, v35, s[20:21]
	v_add_u32_e32 v22, v22, v35
	;; [unrolled: 4-line block ×4, first 2 shown]
	s_nop 1
	v_mov_b32_dpp v35, v22 row_bcast:15 row_mask:0xf bank_mask:0xf
	v_cndmask_b32_e64 v35, v35, 0, s[26:27]
	v_add_u32_e32 v22, v22, v35
	s_nop 1
	v_mov_b32_dpp v35, v22 row_bcast:31 row_mask:0xf bank_mask:0xf
	v_cndmask_b32_e64 v35, 0, v35, s[6:7]
	v_add_u32_e32 v22, v22, v35
	s_and_saveexec_b64 s[38:39], s[36:37]
; %bb.13:                               ;   in Loop: Header=BB133_4 Depth=2
	ds_write_b32 v44, v22
; %bb.14:                               ;   in Loop: Header=BB133_4 Depth=2
	s_or_b64 exec, exec, s[38:39]
	s_waitcnt lgkmcnt(0)
	s_barrier
	s_and_saveexec_b64 s[38:39], s[0:1]
	s_cbranch_execz .LBB133_16
; %bb.15:                               ;   in Loop: Header=BB133_4 Depth=2
	ds_read_b32 v35, v48
	s_waitcnt lgkmcnt(0)
	s_nop 0
	v_mov_b32_dpp v36, v35 row_shr:1 row_mask:0xf bank_mask:0xf
	v_cndmask_b32_e64 v36, v36, 0, s[28:29]
	v_add_u32_e32 v35, v36, v35
	s_nop 1
	v_mov_b32_dpp v36, v35 row_shr:2 row_mask:0xf bank_mask:0xf
	v_cndmask_b32_e64 v36, 0, v36, s[30:31]
	v_add_u32_e32 v35, v35, v36
	;; [unrolled: 4-line block ×3, first 2 shown]
	ds_write_b32 v48, v35
.LBB133_16:                             ;   in Loop: Header=BB133_4 Depth=2
	s_or_b64 exec, exec, s[38:39]
	v_mov_b32_e32 v35, 0
	s_waitcnt lgkmcnt(0)
	s_barrier
	s_and_saveexec_b64 s[38:39], s[2:3]
; %bb.17:                               ;   in Loop: Header=BB133_4 Depth=2
	ds_read_b32 v35, v51
; %bb.18:                               ;   in Loop: Header=BB133_4 Depth=2
	s_or_b64 exec, exec, s[38:39]
	s_waitcnt lgkmcnt(0)
	v_add_u32_e32 v22, v35, v22
	ds_bpermute_b32 v22, v38, v22
	v_cmp_lt_u32_e32 vcc, 55, v7
	s_and_b64 vcc, exec, vcc
	s_mov_b64 s[38:39], -1
	s_waitcnt lgkmcnt(0)
	v_cndmask_b32_e64 v22, v22, v35, s[8:9]
	v_cndmask_b32_e64 v22, v22, 0, s[4:5]
	v_add_u32_e32 v23, v22, v23
	v_add_u32_e32 v24, v23, v24
	;; [unrolled: 1-line block ×3, first 2 shown]
	ds_write2_b32 v47, v22, v23 offset0:5 offset1:6
	ds_write2_b32 v47, v24, v21 offset0:7 offset1:8
	s_waitcnt lgkmcnt(0)
	s_barrier
	ds_read_b32 v21, v26 offset:20
	ds_read_b32 v22, v29 offset:20
	;; [unrolled: 1-line block ×4, first 2 shown]
                                        ; implicit-def: $vgpr35_vgpr36
	s_waitcnt lgkmcnt(3)
	v_add_u32_e32 v55, v21, v25
	s_waitcnt lgkmcnt(2)
	v_add3_u32 v54, v28, v27, v22
	s_waitcnt lgkmcnt(1)
	v_add3_u32 v53, v31, v30, v23
	;; [unrolled: 2-line block ×3, first 2 shown]
                                        ; implicit-def: $vgpr27_vgpr28
                                        ; implicit-def: $vgpr25_vgpr26
                                        ; implicit-def: $vgpr23_vgpr24
                                        ; implicit-def: $vgpr21_vgpr22
                                        ; implicit-def: $vgpr29_vgpr30
                                        ; implicit-def: $vgpr31_vgpr32
                                        ; implicit-def: $vgpr33_vgpr34
	s_cbranch_vccnz .LBB133_3
; %bb.19:                               ;   in Loop: Header=BB133_4 Depth=2
	v_lshrrev_b32_e32 v21, 2, v55
	v_and_b32_e32 v21, 0x3ffffff8, v21
	v_lshl_add_u32 v29, v55, 3, v21
	v_lshrrev_b32_e32 v21, 2, v54
	v_and_b32_e32 v21, 0x3ffffff8, v21
	v_lshl_add_u32 v30, v54, 3, v21
	;; [unrolled: 3-line block ×4, first 2 shown]
	s_barrier
	ds_write_b64 v29, v[19:20]
	ds_write_b64 v30, v[9:10]
	;; [unrolled: 1-line block ×4, first 2 shown]
	s_waitcnt lgkmcnt(0)
	s_barrier
	ds_read_b64 v[21:22], v40
	ds_read_b64 v[23:24], v41 offset:512
	ds_read_b64 v[25:26], v42 offset:1024
	;; [unrolled: 1-line block ×3, first 2 shown]
	s_waitcnt lgkmcnt(0)
	s_barrier
	ds_write_b64 v29, v[17:18]
	ds_write_b64 v30, v[15:16]
	;; [unrolled: 1-line block ×4, first 2 shown]
	s_waitcnt lgkmcnt(0)
	s_barrier
	ds_read_b64 v[29:30], v40
	ds_read_b64 v[31:32], v41 offset:512
	ds_read_b64 v[33:34], v42 offset:1024
	;; [unrolled: 1-line block ×3, first 2 shown]
	v_add_co_u32_e32 v7, vcc, 8, v7
	v_addc_co_u32_e32 v8, vcc, 0, v8, vcc
	s_mov_b64 s[38:39], 0
	s_waitcnt lgkmcnt(0)
	s_barrier
	s_branch .LBB133_3
.LBB133_20:
	s_waitcnt lgkmcnt(1)
	v_add_co_u32_e32 v1, vcc, v15, v7
	v_addc_co_u32_e32 v2, vcc, v16, v8, vcc
	v_add_co_u32_e32 v7, vcc, v17, v9
	v_addc_co_u32_e32 v8, vcc, v18, v10, vcc
	s_waitcnt lgkmcnt(0)
	v_add_co_u32_e32 v3, vcc, v11, v3
	v_addc_co_u32_e32 v4, vcc, v12, v4, vcc
	v_add_co_u32_e32 v5, vcc, v13, v5
	s_add_u32 s0, s42, s44
	v_addc_co_u32_e32 v6, vcc, v14, v6, vcc
	s_addc_u32 s1, s43, s45
	v_lshlrev_b32_e32 v0, 3, v0
	v_mov_b32_e32 v9, s1
	v_add_co_u32_e32 v10, vcc, s0, v0
	v_addc_co_u32_e32 v9, vcc, 0, v9, vcc
	global_store_dwordx2 v0, v[1:2], s[0:1]
	global_store_dwordx2 v0, v[7:8], s[0:1] offset:2560
	v_add_co_u32_e32 v0, vcc, 0x1000, v10
	v_addc_co_u32_e32 v1, vcc, 0, v9, vcc
	global_store_dwordx2 v[0:1], v[3:4], off offset:1024
	global_store_dwordx2 v[0:1], v[5:6], off offset:3584
	s_endpgm
	.section	.rodata,"a",@progbits
	.p2align	6, 0x0
	.amdhsa_kernel _Z17sort_pairs_kernelI22helper_blocked_blockedxLj320ELj4ELj10EEvPKT0_PS1_
		.amdhsa_group_segment_fixed_size 10560
		.amdhsa_private_segment_fixed_size 0
		.amdhsa_kernarg_size 272
		.amdhsa_user_sgpr_count 6
		.amdhsa_user_sgpr_private_segment_buffer 1
		.amdhsa_user_sgpr_dispatch_ptr 0
		.amdhsa_user_sgpr_queue_ptr 0
		.amdhsa_user_sgpr_kernarg_segment_ptr 1
		.amdhsa_user_sgpr_dispatch_id 0
		.amdhsa_user_sgpr_flat_scratch_init 0
		.amdhsa_user_sgpr_private_segment_size 0
		.amdhsa_uses_dynamic_stack 0
		.amdhsa_system_sgpr_private_segment_wavefront_offset 0
		.amdhsa_system_sgpr_workgroup_id_x 1
		.amdhsa_system_sgpr_workgroup_id_y 0
		.amdhsa_system_sgpr_workgroup_id_z 0
		.amdhsa_system_sgpr_workgroup_info 0
		.amdhsa_system_vgpr_workitem_id 2
		.amdhsa_next_free_vgpr 56
		.amdhsa_next_free_sgpr 61
		.amdhsa_reserve_vcc 1
		.amdhsa_reserve_flat_scratch 0
		.amdhsa_float_round_mode_32 0
		.amdhsa_float_round_mode_16_64 0
		.amdhsa_float_denorm_mode_32 3
		.amdhsa_float_denorm_mode_16_64 3
		.amdhsa_dx10_clamp 1
		.amdhsa_ieee_mode 1
		.amdhsa_fp16_overflow 0
		.amdhsa_exception_fp_ieee_invalid_op 0
		.amdhsa_exception_fp_denorm_src 0
		.amdhsa_exception_fp_ieee_div_zero 0
		.amdhsa_exception_fp_ieee_overflow 0
		.amdhsa_exception_fp_ieee_underflow 0
		.amdhsa_exception_fp_ieee_inexact 0
		.amdhsa_exception_int_div_zero 0
	.end_amdhsa_kernel
	.section	.text._Z17sort_pairs_kernelI22helper_blocked_blockedxLj320ELj4ELj10EEvPKT0_PS1_,"axG",@progbits,_Z17sort_pairs_kernelI22helper_blocked_blockedxLj320ELj4ELj10EEvPKT0_PS1_,comdat
.Lfunc_end133:
	.size	_Z17sort_pairs_kernelI22helper_blocked_blockedxLj320ELj4ELj10EEvPKT0_PS1_, .Lfunc_end133-_Z17sort_pairs_kernelI22helper_blocked_blockedxLj320ELj4ELj10EEvPKT0_PS1_
                                        ; -- End function
	.set _Z17sort_pairs_kernelI22helper_blocked_blockedxLj320ELj4ELj10EEvPKT0_PS1_.num_vgpr, 56
	.set _Z17sort_pairs_kernelI22helper_blocked_blockedxLj320ELj4ELj10EEvPKT0_PS1_.num_agpr, 0
	.set _Z17sort_pairs_kernelI22helper_blocked_blockedxLj320ELj4ELj10EEvPKT0_PS1_.numbered_sgpr, 48
	.set _Z17sort_pairs_kernelI22helper_blocked_blockedxLj320ELj4ELj10EEvPKT0_PS1_.num_named_barrier, 0
	.set _Z17sort_pairs_kernelI22helper_blocked_blockedxLj320ELj4ELj10EEvPKT0_PS1_.private_seg_size, 0
	.set _Z17sort_pairs_kernelI22helper_blocked_blockedxLj320ELj4ELj10EEvPKT0_PS1_.uses_vcc, 1
	.set _Z17sort_pairs_kernelI22helper_blocked_blockedxLj320ELj4ELj10EEvPKT0_PS1_.uses_flat_scratch, 0
	.set _Z17sort_pairs_kernelI22helper_blocked_blockedxLj320ELj4ELj10EEvPKT0_PS1_.has_dyn_sized_stack, 0
	.set _Z17sort_pairs_kernelI22helper_blocked_blockedxLj320ELj4ELj10EEvPKT0_PS1_.has_recursion, 0
	.set _Z17sort_pairs_kernelI22helper_blocked_blockedxLj320ELj4ELj10EEvPKT0_PS1_.has_indirect_call, 0
	.section	.AMDGPU.csdata,"",@progbits
; Kernel info:
; codeLenInByte = 4616
; TotalNumSgprs: 52
; NumVgprs: 56
; ScratchSize: 0
; MemoryBound: 0
; FloatMode: 240
; IeeeMode: 1
; LDSByteSize: 10560 bytes/workgroup (compile time only)
; SGPRBlocks: 8
; VGPRBlocks: 13
; NumSGPRsForWavesPerEU: 65
; NumVGPRsForWavesPerEU: 56
; Occupancy: 4
; WaveLimiterHint : 1
; COMPUTE_PGM_RSRC2:SCRATCH_EN: 0
; COMPUTE_PGM_RSRC2:USER_SGPR: 6
; COMPUTE_PGM_RSRC2:TRAP_HANDLER: 0
; COMPUTE_PGM_RSRC2:TGID_X_EN: 1
; COMPUTE_PGM_RSRC2:TGID_Y_EN: 0
; COMPUTE_PGM_RSRC2:TGID_Z_EN: 0
; COMPUTE_PGM_RSRC2:TIDIG_COMP_CNT: 2
	.section	.text._Z16sort_keys_kernelI22helper_blocked_blockedxLj320ELj8ELj10EEvPKT0_PS1_,"axG",@progbits,_Z16sort_keys_kernelI22helper_blocked_blockedxLj320ELj8ELj10EEvPKT0_PS1_,comdat
	.protected	_Z16sort_keys_kernelI22helper_blocked_blockedxLj320ELj8ELj10EEvPKT0_PS1_ ; -- Begin function _Z16sort_keys_kernelI22helper_blocked_blockedxLj320ELj8ELj10EEvPKT0_PS1_
	.globl	_Z16sort_keys_kernelI22helper_blocked_blockedxLj320ELj8ELj10EEvPKT0_PS1_
	.p2align	8
	.type	_Z16sort_keys_kernelI22helper_blocked_blockedxLj320ELj8ELj10EEvPKT0_PS1_,@function
_Z16sort_keys_kernelI22helper_blocked_blockedxLj320ELj8ELj10EEvPKT0_PS1_: ; @_Z16sort_keys_kernelI22helper_blocked_blockedxLj320ELj8ELj10EEvPKT0_PS1_
; %bb.0:
	s_load_dwordx4 s[28:31], s[4:5], 0x0
	s_load_dword s2, s[4:5], 0x1c
	s_mul_i32 s34, s6, 0xa00
	s_mov_b32 s35, 0
	s_lshl_b64 s[36:37], s[34:35], 3
	s_waitcnt lgkmcnt(0)
	s_add_u32 s0, s28, s36
	s_addc_u32 s1, s29, s37
	v_lshlrev_b32_e32 v26, 3, v0
	v_mov_b32_e32 v3, s1
	v_add_co_u32_e32 v5, vcc, s0, v26
	v_addc_co_u32_e32 v6, vcc, 0, v3, vcc
	s_movk_i32 s3, 0x1000
	v_add_co_u32_e32 v3, vcc, s3, v5
	v_addc_co_u32_e32 v4, vcc, 0, v6, vcc
	global_load_dwordx2 v[15:16], v26, s[0:1]
	global_load_dwordx2 v[17:18], v26, s[0:1] offset:2560
	global_load_dwordx2 v[7:8], v[3:4], off offset:1024
	global_load_dwordx2 v[9:10], v[3:4], off offset:3584
	s_movk_i32 s0, 0x2000
	v_add_co_u32_e32 v20, vcc, s0, v5
	v_addc_co_u32_e32 v21, vcc, 0, v6, vcc
	s_movk_i32 s0, 0x3000
	v_add_co_u32_e32 v22, vcc, s0, v5
	v_addc_co_u32_e32 v23, vcc, 0, v6, vcc
	s_movk_i32 s0, 0x4000
	v_add_co_u32_e32 v24, vcc, s0, v5
	v_addc_co_u32_e32 v25, vcc, 0, v6, vcc
	global_load_dwordx2 v[11:12], v[20:21], off offset:2048
	global_load_dwordx2 v[13:14], v[22:23], off offset:512
	;; [unrolled: 1-line block ×4, first 2 shown]
	v_mbcnt_lo_u32_b32 v20, -1, 0
	v_mbcnt_hi_u32_b32 v20, -1, v20
	v_and_b32_e32 v21, 0x1c0, v0
	v_add_u32_e32 v22, v20, v21
	v_lshlrev_b32_e32 v23, 1, v22
	v_and_b32_e32 v23, 0x7f8, v23
	s_movk_i32 s0, 0xe00
	v_lshl_add_u32 v36, v22, 6, v23
	v_and_or_b32 v22, v26, s0, v20
	v_lshrrev_b32_e32 v23, 2, v22
	v_and_b32_e32 v23, 0x398, v23
	v_lshlrev_b32_e32 v24, 3, v22
	v_add_u32_e32 v37, v23, v24
	v_add_u32_e32 v23, 64, v22
	v_lshrrev_b32_e32 v23, 2, v23
	v_and_b32_e32 v23, 0x3b8, v23
	v_add_u32_e32 v38, v23, v24
	v_or_b32_e32 v23, 0x80, v22
	v_lshrrev_b32_e32 v23, 2, v23
	v_and_b32_e32 v23, 0x3b8, v23
	v_add_u32_e32 v39, v23, v24
	v_add_u32_e32 v23, 0xc0, v22
	s_lshr_b32 s0, s2, 16
	v_lshrrev_b32_e32 v23, 2, v23
	s_and_b32 s1, s2, 0xffff
	v_mad_u32_u24 v1, v2, s0, v1
	v_and_b32_e32 v23, 0x3f8, v23
	v_mad_u64_u32 v[1:2], s[0:1], v1, s1, v[0:1]
	v_add_u32_e32 v40, v23, v24
	v_or_b32_e32 v23, 0x100, v22
	v_and_b32_e32 v2, 15, v20
	v_lshrrev_b32_e32 v23, 2, v23
	v_cmp_eq_u32_e64 s[0:1], 0, v2
	v_cmp_lt_u32_e64 s[2:3], 1, v2
	v_cmp_lt_u32_e64 s[4:5], 3, v2
	;; [unrolled: 1-line block ×3, first 2 shown]
	v_and_b32_e32 v2, 16, v20
	v_and_b32_e32 v23, 0x3d8, v23
	v_cmp_eq_u32_e64 s[8:9], 0, v2
	v_min_u32_e32 v2, 0x100, v21
	v_add_u32_e32 v41, v23, v24
	v_add_u32_e32 v23, 0x140, v22
	v_or_b32_e32 v2, 63, v2
	v_lshrrev_b32_e32 v23, 2, v23
	v_cmp_eq_u32_e64 s[12:13], v0, v2
	v_subrev_co_u32_e64 v2, s[18:19], 1, v20
	v_and_b32_e32 v21, 64, v20
	v_and_b32_e32 v23, 0x3f8, v23
	v_cmp_lt_i32_e32 vcc, v2, v21
	v_add_u32_e32 v42, v23, v24
	v_or_b32_e32 v23, 0x180, v22
	v_add_u32_e32 v22, 0x1c0, v22
	v_cndmask_b32_e32 v2, v2, v20, vcc
	v_lshrrev_b32_e32 v1, 4, v1
	v_lshrrev_b32_e32 v23, 2, v23
	;; [unrolled: 1-line block ×3, first 2 shown]
	v_lshlrev_b32_e32 v46, 2, v2
	v_lshrrev_b32_e32 v2, 4, v0
	v_and_b32_e32 v49, 0xffffffc, v1
	v_lshlrev_b32_e32 v1, 1, v0
	v_and_b32_e32 v23, 0x3f8, v23
	v_and_b32_e32 v22, 0x7f8, v22
	v_lshlrev_b32_e32 v45, 4, v0
	v_cmp_lt_u32_e64 s[10:11], 31, v20
	v_and_b32_e32 v47, 28, v2
	v_mul_i32_i24_e32 v2, -12, v0
	v_and_b32_e32 v20, 7, v20
	v_and_b32_e32 v1, 0x3f8, v1
	v_mov_b32_e32 v19, 0
	v_add_u32_e32 v43, v23, v24
	v_add_u32_e32 v44, v22, v24
	v_cmp_gt_u32_e64 s[14:15], 5, v0
	v_cmp_lt_u32_e64 s[16:17], 63, v0
	v_cmp_eq_u32_e64 s[20:21], 0, v0
	v_cmp_eq_u32_e64 s[22:23], 0, v20
	v_cmp_lt_u32_e64 s[24:25], 1, v20
	v_cmp_lt_u32_e64 s[26:27], 3, v20
	v_add_u32_e32 v48, -4, v47
	v_lshl_add_u32 v50, v0, 6, v1
	v_add_u32_e32 v51, v45, v2
	v_mov_b32_e32 v52, 20
	s_branch .LBB134_2
.LBB134_1:                              ;   in Loop: Header=BB134_2 Depth=1
	v_lshrrev_b32_e32 v11, 2, v64
	v_and_b32_e32 v11, 0x3ffffff8, v11
	v_lshl_add_u32 v11, v64, 3, v11
	s_barrier
	ds_write_b64 v11, v[17:18]
	v_lshrrev_b32_e32 v11, 2, v63
	v_and_b32_e32 v11, 0x3ffffff8, v11
	v_lshl_add_u32 v11, v63, 3, v11
	ds_write_b64 v11, v[15:16]
	v_lshrrev_b32_e32 v11, 2, v62
	v_and_b32_e32 v11, 0x3ffffff8, v11
	v_lshl_add_u32 v11, v62, 3, v11
	;; [unrolled: 4-line block ×7, first 2 shown]
	ds_write_b64 v3, v[1:2]
	s_waitcnt lgkmcnt(0)
	s_barrier
	ds_read2_b64 v[15:18], v50 offset1:1
	ds_read2_b64 v[7:10], v50 offset0:2 offset1:3
	ds_read2_b64 v[11:14], v50 offset0:4 offset1:5
	;; [unrolled: 1-line block ×3, first 2 shown]
	s_add_i32 s35, s35, 1
	s_waitcnt lgkmcnt(3)
	v_xor_b32_e32 v16, 0x80000000, v16
	v_xor_b32_e32 v18, 0x80000000, v18
	s_waitcnt lgkmcnt(2)
	v_xor_b32_e32 v8, 0x80000000, v8
	v_xor_b32_e32 v10, 0x80000000, v10
	;; [unrolled: 3-line block ×3, first 2 shown]
	s_waitcnt lgkmcnt(0)
	v_xor_b32_e32 v4, 0x80000000, v4
	s_cmp_eq_u32 s35, 10
	v_xor_b32_e32 v6, 0x80000000, v6
	s_cbranch_scc1 .LBB134_28
.LBB134_2:                              ; =>This Loop Header: Depth=1
                                        ;     Child Loop BB134_4 Depth 2
	s_waitcnt vmcnt(7)
	v_xor_b32_e32 v16, 0x80000000, v16
	s_waitcnt vmcnt(6)
	v_xor_b32_e32 v18, 0x80000000, v18
	;; [unrolled: 2-line block ×8, first 2 shown]
	ds_write2_b64 v36, v[15:16], v[17:18] offset1:1
	ds_write2_b64 v36, v[7:8], v[9:10] offset0:2 offset1:3
	ds_write2_b64 v36, v[11:12], v[13:14] offset0:4 offset1:5
	;; [unrolled: 1-line block ×3, first 2 shown]
	; wave barrier
	ds_read_b64 v[20:21], v37
	ds_read_b64 v[22:23], v38 offset:512
	ds_read_b64 v[24:25], v39 offset:1024
	ds_read_b64 v[26:27], v40 offset:1536
	ds_read_b64 v[28:29], v41 offset:2048
	ds_read_b64 v[30:31], v42 offset:2560
	ds_read_b64 v[32:33], v43 offset:3072
	ds_read_b64 v[34:35], v44 offset:3584
	v_mov_b32_e32 v11, 0
	v_mov_b32_e32 v12, 0
	s_waitcnt lgkmcnt(0)
	s_barrier
	; wave barrier
	s_barrier
	s_branch .LBB134_4
.LBB134_3:                              ;   in Loop: Header=BB134_4 Depth=2
	s_andn2_b64 vcc, exec, s[28:29]
	s_cbranch_vccz .LBB134_1
.LBB134_4:                              ;   Parent Loop BB134_2 Depth=1
                                        ; =>  This Inner Loop Header: Depth=2
	v_mov_b32_e32 v17, v20
	v_mov_b32_e32 v15, v22
	;; [unrolled: 1-line block ×4, first 2 shown]
	v_lshrrev_b64 v[21:22], v11, v[17:18]
	v_mov_b32_e32 v13, v24
	v_and_b32_e32 v20, 1, v21
	v_add_co_u32_e32 v23, vcc, -1, v20
	v_mov_b32_e32 v14, v25
	v_addc_co_u32_e64 v24, s[28:29], 0, -1, vcc
	v_cmp_ne_u32_e32 vcc, 0, v20
	v_xor_b32_e32 v20, vcc_hi, v24
	v_and_b32_e32 v24, exec_hi, v20
	v_lshlrev_b32_e32 v20, 30, v21
	v_xor_b32_e32 v23, vcc_lo, v23
	v_cmp_gt_i64_e32 vcc, 0, v[19:20]
	v_not_b32_e32 v20, v20
	v_ashrrev_i32_e32 v20, 31, v20
	v_and_b32_e32 v23, exec_lo, v23
	v_xor_b32_e32 v25, vcc_hi, v20
	v_xor_b32_e32 v20, vcc_lo, v20
	v_and_b32_e32 v23, v23, v20
	v_lshlrev_b32_e32 v20, 29, v21
	v_cmp_gt_i64_e32 vcc, 0, v[19:20]
	v_not_b32_e32 v20, v20
	v_ashrrev_i32_e32 v20, 31, v20
	v_and_b32_e32 v24, v24, v25
	v_xor_b32_e32 v25, vcc_hi, v20
	v_xor_b32_e32 v20, vcc_lo, v20
	v_and_b32_e32 v23, v23, v20
	v_lshlrev_b32_e32 v20, 28, v21
	v_cmp_gt_i64_e32 vcc, 0, v[19:20]
	v_not_b32_e32 v20, v20
	v_ashrrev_i32_e32 v20, 31, v20
	v_and_b32_e32 v24, v24, v25
	;; [unrolled: 8-line block ×5, first 2 shown]
	v_xor_b32_e32 v25, vcc_hi, v20
	v_xor_b32_e32 v20, vcc_lo, v20
	v_and_b32_e32 v23, v23, v20
	v_lshlrev_b32_e32 v20, 24, v21
	v_cmp_gt_i64_e32 vcc, 0, v[19:20]
	v_not_b32_e32 v20, v20
	v_ashrrev_i32_e32 v20, 31, v20
	v_mul_u32_u24_sdwa v22, v21, v52 dst_sel:DWORD dst_unused:UNUSED_PAD src0_sel:BYTE_0 src1_sel:DWORD
	v_xor_b32_e32 v21, vcc_hi, v20
	v_xor_b32_e32 v20, vcc_lo, v20
	v_and_b32_e32 v24, v24, v25
	v_and_b32_e32 v20, v23, v20
	v_and_b32_e32 v21, v24, v21
	v_mbcnt_lo_u32_b32 v23, v20, 0
	v_mbcnt_hi_u32_b32 v24, v21, v23
	v_cmp_ne_u64_e32 vcc, 0, v[20:21]
	v_mov_b32_e32 v1, v34
	v_mov_b32_e32 v3, v32
	v_mov_b32_e32 v5, v30
	v_mov_b32_e32 v7, v28
	v_mov_b32_e32 v9, v26
	v_cmp_eq_u32_e64 s[28:29], 0, v24
	v_mov_b32_e32 v2, v35
	v_mov_b32_e32 v4, v33
	;; [unrolled: 1-line block ×5, first 2 shown]
	s_and_b64 s[38:39], vcc, s[28:29]
	v_add_u32_e32 v25, v49, v22
	ds_write2_b32 v45, v19, v19 offset0:5 offset1:6
	ds_write2_b32 v45, v19, v19 offset0:7 offset1:8
	s_waitcnt lgkmcnt(0)
	s_barrier
	; wave barrier
	s_and_saveexec_b64 s[28:29], s[38:39]
; %bb.5:                                ;   in Loop: Header=BB134_4 Depth=2
	v_bcnt_u32_b32 v20, v20, 0
	v_bcnt_u32_b32 v20, v21, v20
	ds_write_b32 v25, v20 offset:20
; %bb.6:                                ;   in Loop: Header=BB134_4 Depth=2
	s_or_b64 exec, exec, s[28:29]
	v_lshrrev_b64 v[21:22], v11, v[15:16]
	v_and_b32_e32 v20, 0xff, v21
	v_mul_u32_u24_e32 v22, 20, v20
	v_mad_u32_u24 v20, v20, 20, v49
	; wave barrier
	ds_read_b32 v26, v20 offset:20
	v_and_b32_e32 v20, 1, v21
	v_add_co_u32_e32 v23, vcc, -1, v20
	v_addc_co_u32_e64 v27, s[28:29], 0, -1, vcc
	v_cmp_ne_u32_e32 vcc, 0, v20
	v_xor_b32_e32 v20, vcc_hi, v27
	v_and_b32_e32 v27, exec_hi, v20
	v_lshlrev_b32_e32 v20, 30, v21
	v_xor_b32_e32 v23, vcc_lo, v23
	v_cmp_gt_i64_e32 vcc, 0, v[19:20]
	v_not_b32_e32 v20, v20
	v_ashrrev_i32_e32 v20, 31, v20
	v_and_b32_e32 v23, exec_lo, v23
	v_xor_b32_e32 v28, vcc_hi, v20
	v_xor_b32_e32 v20, vcc_lo, v20
	v_and_b32_e32 v23, v23, v20
	v_lshlrev_b32_e32 v20, 29, v21
	v_cmp_gt_i64_e32 vcc, 0, v[19:20]
	v_not_b32_e32 v20, v20
	v_ashrrev_i32_e32 v20, 31, v20
	v_and_b32_e32 v27, v27, v28
	v_xor_b32_e32 v28, vcc_hi, v20
	v_xor_b32_e32 v20, vcc_lo, v20
	v_and_b32_e32 v23, v23, v20
	v_lshlrev_b32_e32 v20, 28, v21
	v_cmp_gt_i64_e32 vcc, 0, v[19:20]
	v_not_b32_e32 v20, v20
	v_ashrrev_i32_e32 v20, 31, v20
	v_and_b32_e32 v27, v27, v28
	;; [unrolled: 8-line block ×5, first 2 shown]
	v_xor_b32_e32 v28, vcc_hi, v20
	v_xor_b32_e32 v20, vcc_lo, v20
	v_and_b32_e32 v23, v23, v20
	v_lshlrev_b32_e32 v20, 24, v21
	v_cmp_gt_i64_e32 vcc, 0, v[19:20]
	v_not_b32_e32 v20, v20
	v_ashrrev_i32_e32 v20, 31, v20
	v_xor_b32_e32 v21, vcc_hi, v20
	v_xor_b32_e32 v20, vcc_lo, v20
	v_and_b32_e32 v27, v27, v28
	v_and_b32_e32 v20, v23, v20
	;; [unrolled: 1-line block ×3, first 2 shown]
	v_mbcnt_lo_u32_b32 v23, v20, 0
	v_mbcnt_hi_u32_b32 v27, v21, v23
	v_cmp_ne_u64_e32 vcc, 0, v[20:21]
	v_cmp_eq_u32_e64 s[28:29], 0, v27
	s_and_b64 s[38:39], vcc, s[28:29]
	v_add_u32_e32 v28, v49, v22
	; wave barrier
	s_and_saveexec_b64 s[28:29], s[38:39]
	s_cbranch_execz .LBB134_8
; %bb.7:                                ;   in Loop: Header=BB134_4 Depth=2
	v_bcnt_u32_b32 v20, v20, 0
	v_bcnt_u32_b32 v20, v21, v20
	s_waitcnt lgkmcnt(0)
	v_add_u32_e32 v20, v26, v20
	ds_write_b32 v28, v20 offset:20
.LBB134_8:                              ;   in Loop: Header=BB134_4 Depth=2
	s_or_b64 exec, exec, s[28:29]
	v_lshrrev_b64 v[21:22], v11, v[13:14]
	v_and_b32_e32 v20, 0xff, v21
	v_mul_u32_u24_e32 v22, 20, v20
	v_mad_u32_u24 v20, v20, 20, v49
	; wave barrier
	ds_read_b32 v29, v20 offset:20
	v_and_b32_e32 v20, 1, v21
	v_add_co_u32_e32 v23, vcc, -1, v20
	v_addc_co_u32_e64 v30, s[28:29], 0, -1, vcc
	v_cmp_ne_u32_e32 vcc, 0, v20
	v_xor_b32_e32 v20, vcc_hi, v30
	v_and_b32_e32 v30, exec_hi, v20
	v_lshlrev_b32_e32 v20, 30, v21
	v_xor_b32_e32 v23, vcc_lo, v23
	v_cmp_gt_i64_e32 vcc, 0, v[19:20]
	v_not_b32_e32 v20, v20
	v_ashrrev_i32_e32 v20, 31, v20
	v_and_b32_e32 v23, exec_lo, v23
	v_xor_b32_e32 v31, vcc_hi, v20
	v_xor_b32_e32 v20, vcc_lo, v20
	v_and_b32_e32 v23, v23, v20
	v_lshlrev_b32_e32 v20, 29, v21
	v_cmp_gt_i64_e32 vcc, 0, v[19:20]
	v_not_b32_e32 v20, v20
	v_ashrrev_i32_e32 v20, 31, v20
	v_and_b32_e32 v30, v30, v31
	v_xor_b32_e32 v31, vcc_hi, v20
	v_xor_b32_e32 v20, vcc_lo, v20
	v_and_b32_e32 v23, v23, v20
	v_lshlrev_b32_e32 v20, 28, v21
	v_cmp_gt_i64_e32 vcc, 0, v[19:20]
	v_not_b32_e32 v20, v20
	v_ashrrev_i32_e32 v20, 31, v20
	v_and_b32_e32 v30, v30, v31
	;; [unrolled: 8-line block ×5, first 2 shown]
	v_xor_b32_e32 v31, vcc_hi, v20
	v_xor_b32_e32 v20, vcc_lo, v20
	v_and_b32_e32 v23, v23, v20
	v_lshlrev_b32_e32 v20, 24, v21
	v_cmp_gt_i64_e32 vcc, 0, v[19:20]
	v_not_b32_e32 v20, v20
	v_ashrrev_i32_e32 v20, 31, v20
	v_xor_b32_e32 v21, vcc_hi, v20
	v_xor_b32_e32 v20, vcc_lo, v20
	v_and_b32_e32 v30, v30, v31
	v_and_b32_e32 v20, v23, v20
	;; [unrolled: 1-line block ×3, first 2 shown]
	v_mbcnt_lo_u32_b32 v23, v20, 0
	v_mbcnt_hi_u32_b32 v30, v21, v23
	v_cmp_ne_u64_e32 vcc, 0, v[20:21]
	v_cmp_eq_u32_e64 s[28:29], 0, v30
	s_and_b64 s[38:39], vcc, s[28:29]
	v_add_u32_e32 v31, v49, v22
	; wave barrier
	s_and_saveexec_b64 s[28:29], s[38:39]
	s_cbranch_execz .LBB134_10
; %bb.9:                                ;   in Loop: Header=BB134_4 Depth=2
	v_bcnt_u32_b32 v20, v20, 0
	v_bcnt_u32_b32 v20, v21, v20
	s_waitcnt lgkmcnt(0)
	v_add_u32_e32 v20, v29, v20
	ds_write_b32 v31, v20 offset:20
.LBB134_10:                             ;   in Loop: Header=BB134_4 Depth=2
	s_or_b64 exec, exec, s[28:29]
	v_lshrrev_b64 v[21:22], v11, v[9:10]
	v_and_b32_e32 v20, 0xff, v21
	v_mul_u32_u24_e32 v22, 20, v20
	v_mad_u32_u24 v20, v20, 20, v49
	; wave barrier
	ds_read_b32 v32, v20 offset:20
	v_and_b32_e32 v20, 1, v21
	v_add_co_u32_e32 v23, vcc, -1, v20
	v_addc_co_u32_e64 v33, s[28:29], 0, -1, vcc
	v_cmp_ne_u32_e32 vcc, 0, v20
	v_xor_b32_e32 v20, vcc_hi, v33
	v_and_b32_e32 v33, exec_hi, v20
	v_lshlrev_b32_e32 v20, 30, v21
	v_xor_b32_e32 v23, vcc_lo, v23
	v_cmp_gt_i64_e32 vcc, 0, v[19:20]
	v_not_b32_e32 v20, v20
	v_ashrrev_i32_e32 v20, 31, v20
	v_and_b32_e32 v23, exec_lo, v23
	v_xor_b32_e32 v34, vcc_hi, v20
	v_xor_b32_e32 v20, vcc_lo, v20
	v_and_b32_e32 v23, v23, v20
	v_lshlrev_b32_e32 v20, 29, v21
	v_cmp_gt_i64_e32 vcc, 0, v[19:20]
	v_not_b32_e32 v20, v20
	v_ashrrev_i32_e32 v20, 31, v20
	v_and_b32_e32 v33, v33, v34
	v_xor_b32_e32 v34, vcc_hi, v20
	v_xor_b32_e32 v20, vcc_lo, v20
	v_and_b32_e32 v23, v23, v20
	v_lshlrev_b32_e32 v20, 28, v21
	v_cmp_gt_i64_e32 vcc, 0, v[19:20]
	v_not_b32_e32 v20, v20
	v_ashrrev_i32_e32 v20, 31, v20
	v_and_b32_e32 v33, v33, v34
	;; [unrolled: 8-line block ×5, first 2 shown]
	v_xor_b32_e32 v34, vcc_hi, v20
	v_xor_b32_e32 v20, vcc_lo, v20
	v_and_b32_e32 v23, v23, v20
	v_lshlrev_b32_e32 v20, 24, v21
	v_cmp_gt_i64_e32 vcc, 0, v[19:20]
	v_not_b32_e32 v20, v20
	v_ashrrev_i32_e32 v20, 31, v20
	v_xor_b32_e32 v21, vcc_hi, v20
	v_xor_b32_e32 v20, vcc_lo, v20
	v_and_b32_e32 v33, v33, v34
	v_and_b32_e32 v20, v23, v20
	;; [unrolled: 1-line block ×3, first 2 shown]
	v_mbcnt_lo_u32_b32 v23, v20, 0
	v_mbcnt_hi_u32_b32 v33, v21, v23
	v_cmp_ne_u64_e32 vcc, 0, v[20:21]
	v_cmp_eq_u32_e64 s[28:29], 0, v33
	s_and_b64 s[38:39], vcc, s[28:29]
	v_add_u32_e32 v34, v49, v22
	; wave barrier
	s_and_saveexec_b64 s[28:29], s[38:39]
	s_cbranch_execz .LBB134_12
; %bb.11:                               ;   in Loop: Header=BB134_4 Depth=2
	v_bcnt_u32_b32 v20, v20, 0
	v_bcnt_u32_b32 v20, v21, v20
	s_waitcnt lgkmcnt(0)
	v_add_u32_e32 v20, v32, v20
	ds_write_b32 v34, v20 offset:20
.LBB134_12:                             ;   in Loop: Header=BB134_4 Depth=2
	s_or_b64 exec, exec, s[28:29]
	v_lshrrev_b64 v[21:22], v11, v[7:8]
	v_and_b32_e32 v20, 0xff, v21
	v_mul_u32_u24_e32 v22, 20, v20
	v_mad_u32_u24 v20, v20, 20, v49
	; wave barrier
	ds_read_b32 v35, v20 offset:20
	v_and_b32_e32 v20, 1, v21
	v_add_co_u32_e32 v23, vcc, -1, v20
	v_addc_co_u32_e64 v53, s[28:29], 0, -1, vcc
	v_cmp_ne_u32_e32 vcc, 0, v20
	v_xor_b32_e32 v20, vcc_hi, v53
	v_and_b32_e32 v53, exec_hi, v20
	v_lshlrev_b32_e32 v20, 30, v21
	v_xor_b32_e32 v23, vcc_lo, v23
	v_cmp_gt_i64_e32 vcc, 0, v[19:20]
	v_not_b32_e32 v20, v20
	v_ashrrev_i32_e32 v20, 31, v20
	v_and_b32_e32 v23, exec_lo, v23
	v_xor_b32_e32 v54, vcc_hi, v20
	v_xor_b32_e32 v20, vcc_lo, v20
	v_and_b32_e32 v23, v23, v20
	v_lshlrev_b32_e32 v20, 29, v21
	v_cmp_gt_i64_e32 vcc, 0, v[19:20]
	v_not_b32_e32 v20, v20
	v_ashrrev_i32_e32 v20, 31, v20
	v_and_b32_e32 v53, v53, v54
	v_xor_b32_e32 v54, vcc_hi, v20
	v_xor_b32_e32 v20, vcc_lo, v20
	v_and_b32_e32 v23, v23, v20
	v_lshlrev_b32_e32 v20, 28, v21
	v_cmp_gt_i64_e32 vcc, 0, v[19:20]
	v_not_b32_e32 v20, v20
	v_ashrrev_i32_e32 v20, 31, v20
	v_and_b32_e32 v53, v53, v54
	;; [unrolled: 8-line block ×5, first 2 shown]
	v_xor_b32_e32 v54, vcc_hi, v20
	v_xor_b32_e32 v20, vcc_lo, v20
	v_and_b32_e32 v23, v23, v20
	v_lshlrev_b32_e32 v20, 24, v21
	v_cmp_gt_i64_e32 vcc, 0, v[19:20]
	v_not_b32_e32 v20, v20
	v_ashrrev_i32_e32 v20, 31, v20
	v_xor_b32_e32 v21, vcc_hi, v20
	v_xor_b32_e32 v20, vcc_lo, v20
	v_and_b32_e32 v53, v53, v54
	v_and_b32_e32 v20, v23, v20
	;; [unrolled: 1-line block ×3, first 2 shown]
	v_mbcnt_lo_u32_b32 v23, v20, 0
	v_mbcnt_hi_u32_b32 v53, v21, v23
	v_cmp_ne_u64_e32 vcc, 0, v[20:21]
	v_cmp_eq_u32_e64 s[28:29], 0, v53
	s_and_b64 s[38:39], vcc, s[28:29]
	v_add_u32_e32 v54, v49, v22
	; wave barrier
	s_and_saveexec_b64 s[28:29], s[38:39]
	s_cbranch_execz .LBB134_14
; %bb.13:                               ;   in Loop: Header=BB134_4 Depth=2
	v_bcnt_u32_b32 v20, v20, 0
	v_bcnt_u32_b32 v20, v21, v20
	s_waitcnt lgkmcnt(0)
	v_add_u32_e32 v20, v35, v20
	ds_write_b32 v54, v20 offset:20
.LBB134_14:                             ;   in Loop: Header=BB134_4 Depth=2
	s_or_b64 exec, exec, s[28:29]
	v_lshrrev_b64 v[21:22], v11, v[5:6]
	v_and_b32_e32 v20, 0xff, v21
	v_mul_u32_u24_e32 v22, 20, v20
	v_mad_u32_u24 v20, v20, 20, v49
	; wave barrier
	ds_read_b32 v55, v20 offset:20
	v_and_b32_e32 v20, 1, v21
	v_add_co_u32_e32 v23, vcc, -1, v20
	v_addc_co_u32_e64 v56, s[28:29], 0, -1, vcc
	v_cmp_ne_u32_e32 vcc, 0, v20
	v_xor_b32_e32 v20, vcc_hi, v56
	v_and_b32_e32 v56, exec_hi, v20
	v_lshlrev_b32_e32 v20, 30, v21
	v_xor_b32_e32 v23, vcc_lo, v23
	v_cmp_gt_i64_e32 vcc, 0, v[19:20]
	v_not_b32_e32 v20, v20
	v_ashrrev_i32_e32 v20, 31, v20
	v_and_b32_e32 v23, exec_lo, v23
	v_xor_b32_e32 v57, vcc_hi, v20
	v_xor_b32_e32 v20, vcc_lo, v20
	v_and_b32_e32 v23, v23, v20
	v_lshlrev_b32_e32 v20, 29, v21
	v_cmp_gt_i64_e32 vcc, 0, v[19:20]
	v_not_b32_e32 v20, v20
	v_ashrrev_i32_e32 v20, 31, v20
	v_and_b32_e32 v56, v56, v57
	v_xor_b32_e32 v57, vcc_hi, v20
	v_xor_b32_e32 v20, vcc_lo, v20
	v_and_b32_e32 v23, v23, v20
	v_lshlrev_b32_e32 v20, 28, v21
	v_cmp_gt_i64_e32 vcc, 0, v[19:20]
	v_not_b32_e32 v20, v20
	v_ashrrev_i32_e32 v20, 31, v20
	v_and_b32_e32 v56, v56, v57
	;; [unrolled: 8-line block ×5, first 2 shown]
	v_xor_b32_e32 v57, vcc_hi, v20
	v_xor_b32_e32 v20, vcc_lo, v20
	v_and_b32_e32 v23, v23, v20
	v_lshlrev_b32_e32 v20, 24, v21
	v_cmp_gt_i64_e32 vcc, 0, v[19:20]
	v_not_b32_e32 v20, v20
	v_ashrrev_i32_e32 v20, 31, v20
	v_xor_b32_e32 v21, vcc_hi, v20
	v_xor_b32_e32 v20, vcc_lo, v20
	v_and_b32_e32 v56, v56, v57
	v_and_b32_e32 v20, v23, v20
	;; [unrolled: 1-line block ×3, first 2 shown]
	v_mbcnt_lo_u32_b32 v23, v20, 0
	v_mbcnt_hi_u32_b32 v56, v21, v23
	v_cmp_ne_u64_e32 vcc, 0, v[20:21]
	v_cmp_eq_u32_e64 s[28:29], 0, v56
	s_and_b64 s[38:39], vcc, s[28:29]
	v_add_u32_e32 v57, v49, v22
	; wave barrier
	s_and_saveexec_b64 s[28:29], s[38:39]
	s_cbranch_execz .LBB134_16
; %bb.15:                               ;   in Loop: Header=BB134_4 Depth=2
	v_bcnt_u32_b32 v20, v20, 0
	v_bcnt_u32_b32 v20, v21, v20
	s_waitcnt lgkmcnt(0)
	v_add_u32_e32 v20, v55, v20
	ds_write_b32 v57, v20 offset:20
.LBB134_16:                             ;   in Loop: Header=BB134_4 Depth=2
	s_or_b64 exec, exec, s[28:29]
	v_lshrrev_b64 v[21:22], v11, v[3:4]
	v_and_b32_e32 v20, 0xff, v21
	v_mul_u32_u24_e32 v22, 20, v20
	v_mad_u32_u24 v20, v20, 20, v49
	; wave barrier
	ds_read_b32 v58, v20 offset:20
	v_and_b32_e32 v20, 1, v21
	v_add_co_u32_e32 v23, vcc, -1, v20
	v_addc_co_u32_e64 v59, s[28:29], 0, -1, vcc
	v_cmp_ne_u32_e32 vcc, 0, v20
	v_xor_b32_e32 v20, vcc_hi, v59
	v_and_b32_e32 v59, exec_hi, v20
	v_lshlrev_b32_e32 v20, 30, v21
	v_xor_b32_e32 v23, vcc_lo, v23
	v_cmp_gt_i64_e32 vcc, 0, v[19:20]
	v_not_b32_e32 v20, v20
	v_ashrrev_i32_e32 v20, 31, v20
	v_and_b32_e32 v23, exec_lo, v23
	v_xor_b32_e32 v60, vcc_hi, v20
	v_xor_b32_e32 v20, vcc_lo, v20
	v_and_b32_e32 v23, v23, v20
	v_lshlrev_b32_e32 v20, 29, v21
	v_cmp_gt_i64_e32 vcc, 0, v[19:20]
	v_not_b32_e32 v20, v20
	v_ashrrev_i32_e32 v20, 31, v20
	v_and_b32_e32 v59, v59, v60
	v_xor_b32_e32 v60, vcc_hi, v20
	v_xor_b32_e32 v20, vcc_lo, v20
	v_and_b32_e32 v23, v23, v20
	v_lshlrev_b32_e32 v20, 28, v21
	v_cmp_gt_i64_e32 vcc, 0, v[19:20]
	v_not_b32_e32 v20, v20
	v_ashrrev_i32_e32 v20, 31, v20
	v_and_b32_e32 v59, v59, v60
	;; [unrolled: 8-line block ×5, first 2 shown]
	v_xor_b32_e32 v60, vcc_hi, v20
	v_xor_b32_e32 v20, vcc_lo, v20
	v_and_b32_e32 v23, v23, v20
	v_lshlrev_b32_e32 v20, 24, v21
	v_cmp_gt_i64_e32 vcc, 0, v[19:20]
	v_not_b32_e32 v20, v20
	v_ashrrev_i32_e32 v20, 31, v20
	v_xor_b32_e32 v21, vcc_hi, v20
	v_xor_b32_e32 v20, vcc_lo, v20
	v_and_b32_e32 v59, v59, v60
	v_and_b32_e32 v20, v23, v20
	;; [unrolled: 1-line block ×3, first 2 shown]
	v_mbcnt_lo_u32_b32 v23, v20, 0
	v_mbcnt_hi_u32_b32 v59, v21, v23
	v_cmp_ne_u64_e32 vcc, 0, v[20:21]
	v_cmp_eq_u32_e64 s[28:29], 0, v59
	s_and_b64 s[38:39], vcc, s[28:29]
	v_add_u32_e32 v60, v49, v22
	; wave barrier
	s_and_saveexec_b64 s[28:29], s[38:39]
	s_cbranch_execz .LBB134_18
; %bb.17:                               ;   in Loop: Header=BB134_4 Depth=2
	v_bcnt_u32_b32 v20, v20, 0
	v_bcnt_u32_b32 v20, v21, v20
	s_waitcnt lgkmcnt(0)
	v_add_u32_e32 v20, v58, v20
	ds_write_b32 v60, v20 offset:20
.LBB134_18:                             ;   in Loop: Header=BB134_4 Depth=2
	s_or_b64 exec, exec, s[28:29]
	v_lshrrev_b64 v[21:22], v11, v[1:2]
	v_and_b32_e32 v20, 0xff, v21
	v_mul_u32_u24_e32 v22, 20, v20
	v_mad_u32_u24 v20, v20, 20, v49
	; wave barrier
	ds_read_b32 v61, v20 offset:20
	v_and_b32_e32 v20, 1, v21
	v_add_co_u32_e32 v23, vcc, -1, v20
	v_addc_co_u32_e64 v62, s[28:29], 0, -1, vcc
	v_cmp_ne_u32_e32 vcc, 0, v20
	v_xor_b32_e32 v20, vcc_hi, v62
	v_and_b32_e32 v62, exec_hi, v20
	v_lshlrev_b32_e32 v20, 30, v21
	v_xor_b32_e32 v23, vcc_lo, v23
	v_cmp_gt_i64_e32 vcc, 0, v[19:20]
	v_not_b32_e32 v20, v20
	v_ashrrev_i32_e32 v20, 31, v20
	v_and_b32_e32 v23, exec_lo, v23
	v_xor_b32_e32 v63, vcc_hi, v20
	v_xor_b32_e32 v20, vcc_lo, v20
	v_and_b32_e32 v23, v23, v20
	v_lshlrev_b32_e32 v20, 29, v21
	v_cmp_gt_i64_e32 vcc, 0, v[19:20]
	v_not_b32_e32 v20, v20
	v_ashrrev_i32_e32 v20, 31, v20
	v_and_b32_e32 v62, v62, v63
	v_xor_b32_e32 v63, vcc_hi, v20
	v_xor_b32_e32 v20, vcc_lo, v20
	v_and_b32_e32 v23, v23, v20
	v_lshlrev_b32_e32 v20, 28, v21
	v_cmp_gt_i64_e32 vcc, 0, v[19:20]
	v_not_b32_e32 v20, v20
	v_ashrrev_i32_e32 v20, 31, v20
	v_and_b32_e32 v62, v62, v63
	;; [unrolled: 8-line block ×5, first 2 shown]
	v_xor_b32_e32 v63, vcc_hi, v20
	v_xor_b32_e32 v20, vcc_lo, v20
	v_and_b32_e32 v23, v23, v20
	v_lshlrev_b32_e32 v20, 24, v21
	v_cmp_gt_i64_e32 vcc, 0, v[19:20]
	v_not_b32_e32 v20, v20
	v_ashrrev_i32_e32 v20, 31, v20
	v_xor_b32_e32 v21, vcc_hi, v20
	v_xor_b32_e32 v20, vcc_lo, v20
	v_and_b32_e32 v62, v62, v63
	v_and_b32_e32 v20, v23, v20
	;; [unrolled: 1-line block ×3, first 2 shown]
	v_mbcnt_lo_u32_b32 v23, v20, 0
	v_mbcnt_hi_u32_b32 v65, v21, v23
	v_cmp_ne_u64_e32 vcc, 0, v[20:21]
	v_cmp_eq_u32_e64 s[28:29], 0, v65
	s_and_b64 s[38:39], vcc, s[28:29]
	v_add_u32_e32 v66, v49, v22
	; wave barrier
	s_and_saveexec_b64 s[28:29], s[38:39]
	s_cbranch_execz .LBB134_20
; %bb.19:                               ;   in Loop: Header=BB134_4 Depth=2
	v_bcnt_u32_b32 v20, v20, 0
	v_bcnt_u32_b32 v20, v21, v20
	s_waitcnt lgkmcnt(0)
	v_add_u32_e32 v20, v61, v20
	ds_write_b32 v66, v20 offset:20
.LBB134_20:                             ;   in Loop: Header=BB134_4 Depth=2
	s_or_b64 exec, exec, s[28:29]
	; wave barrier
	s_waitcnt lgkmcnt(0)
	s_barrier
	ds_read2_b32 v[22:23], v45 offset0:5 offset1:6
	ds_read2_b32 v[20:21], v45 offset0:7 offset1:8
	s_waitcnt lgkmcnt(1)
	v_add_u32_e32 v62, v23, v22
	s_waitcnt lgkmcnt(0)
	v_add3_u32 v21, v62, v20, v21
	s_nop 1
	v_mov_b32_dpp v62, v21 row_shr:1 row_mask:0xf bank_mask:0xf
	v_cndmask_b32_e64 v62, v62, 0, s[0:1]
	v_add_u32_e32 v21, v62, v21
	s_nop 1
	v_mov_b32_dpp v62, v21 row_shr:2 row_mask:0xf bank_mask:0xf
	v_cndmask_b32_e64 v62, 0, v62, s[2:3]
	v_add_u32_e32 v21, v21, v62
	;; [unrolled: 4-line block ×4, first 2 shown]
	s_nop 1
	v_mov_b32_dpp v62, v21 row_bcast:15 row_mask:0xf bank_mask:0xf
	v_cndmask_b32_e64 v62, v62, 0, s[8:9]
	v_add_u32_e32 v21, v21, v62
	s_nop 1
	v_mov_b32_dpp v62, v21 row_bcast:31 row_mask:0xf bank_mask:0xf
	v_cndmask_b32_e64 v62, 0, v62, s[10:11]
	v_add_u32_e32 v21, v21, v62
	s_and_saveexec_b64 s[28:29], s[12:13]
; %bb.21:                               ;   in Loop: Header=BB134_4 Depth=2
	ds_write_b32 v47, v21
; %bb.22:                               ;   in Loop: Header=BB134_4 Depth=2
	s_or_b64 exec, exec, s[28:29]
	s_waitcnt lgkmcnt(0)
	s_barrier
	s_and_saveexec_b64 s[28:29], s[14:15]
	s_cbranch_execz .LBB134_24
; %bb.23:                               ;   in Loop: Header=BB134_4 Depth=2
	ds_read_b32 v62, v51
	s_waitcnt lgkmcnt(0)
	s_nop 0
	v_mov_b32_dpp v63, v62 row_shr:1 row_mask:0xf bank_mask:0xf
	v_cndmask_b32_e64 v63, v63, 0, s[22:23]
	v_add_u32_e32 v62, v63, v62
	s_nop 1
	v_mov_b32_dpp v63, v62 row_shr:2 row_mask:0xf bank_mask:0xf
	v_cndmask_b32_e64 v63, 0, v63, s[24:25]
	v_add_u32_e32 v62, v62, v63
	;; [unrolled: 4-line block ×3, first 2 shown]
	ds_write_b32 v51, v62
.LBB134_24:                             ;   in Loop: Header=BB134_4 Depth=2
	s_or_b64 exec, exec, s[28:29]
	v_mov_b32_e32 v62, 0
	s_waitcnt lgkmcnt(0)
	s_barrier
	s_and_saveexec_b64 s[28:29], s[16:17]
; %bb.25:                               ;   in Loop: Header=BB134_4 Depth=2
	ds_read_b32 v62, v48
; %bb.26:                               ;   in Loop: Header=BB134_4 Depth=2
	s_or_b64 exec, exec, s[28:29]
	s_waitcnt lgkmcnt(0)
	v_add_u32_e32 v21, v62, v21
	ds_bpermute_b32 v21, v46, v21
	v_cmp_lt_u32_e32 vcc, 55, v11
	s_and_b64 vcc, exec, vcc
	s_mov_b64 s[28:29], -1
	s_waitcnt lgkmcnt(0)
	v_cndmask_b32_e64 v21, v21, v62, s[18:19]
	v_cndmask_b32_e64 v21, v21, 0, s[20:21]
	v_add_u32_e32 v22, v21, v22
	v_add_u32_e32 v23, v22, v23
	;; [unrolled: 1-line block ×3, first 2 shown]
	ds_write2_b32 v45, v21, v22 offset0:5 offset1:6
	ds_write2_b32 v45, v23, v20 offset0:7 offset1:8
	s_waitcnt lgkmcnt(0)
	s_barrier
	ds_read_b32 v20, v25 offset:20
	ds_read_b32 v21, v28 offset:20
	;; [unrolled: 1-line block ×3, first 2 shown]
	s_waitcnt lgkmcnt(2)
	v_add_u32_e32 v64, v20, v24
	s_waitcnt lgkmcnt(1)
	v_add3_u32 v63, v27, v26, v21
	ds_read_b32 v20, v34 offset:20
	s_waitcnt lgkmcnt(1)
	v_add3_u32 v62, v30, v29, v22
	ds_read_b32 v21, v54 offset:20
	ds_read_b32 v22, v57 offset:20
	;; [unrolled: 1-line block ×4, first 2 shown]
                                        ; implicit-def: $vgpr30_vgpr31
                                        ; implicit-def: $vgpr28_vgpr29
                                        ; implicit-def: $vgpr26_vgpr27
	s_waitcnt lgkmcnt(3)
	v_add3_u32 v57, v53, v35, v21
	v_add3_u32 v60, v33, v32, v20
	s_waitcnt lgkmcnt(2)
	v_add3_u32 v55, v56, v55, v22
	s_waitcnt lgkmcnt(1)
	;; [unrolled: 2-line block ×3, first 2 shown]
	v_add3_u32 v53, v65, v61, v24
                                        ; implicit-def: $vgpr34_vgpr35
                                        ; implicit-def: $vgpr32_vgpr33
                                        ; implicit-def: $vgpr24_vgpr25
                                        ; implicit-def: $vgpr22_vgpr23
                                        ; implicit-def: $vgpr20_vgpr21
	s_cbranch_vccnz .LBB134_3
; %bb.27:                               ;   in Loop: Header=BB134_4 Depth=2
	v_lshrrev_b32_e32 v20, 2, v64
	v_and_b32_e32 v20, 0x3ffffff8, v20
	v_lshl_add_u32 v20, v64, 3, v20
	s_barrier
	ds_write_b64 v20, v[17:18]
	v_lshrrev_b32_e32 v20, 2, v63
	v_and_b32_e32 v20, 0x3ffffff8, v20
	v_lshl_add_u32 v20, v63, 3, v20
	ds_write_b64 v20, v[15:16]
	v_lshrrev_b32_e32 v20, 2, v62
	v_and_b32_e32 v20, 0x3ffffff8, v20
	v_lshl_add_u32 v20, v62, 3, v20
	;; [unrolled: 4-line block ×7, first 2 shown]
	ds_write_b64 v20, v[1:2]
	s_waitcnt lgkmcnt(0)
	s_barrier
	ds_read_b64 v[20:21], v37
	ds_read_b64 v[22:23], v38 offset:512
	ds_read_b64 v[24:25], v39 offset:1024
	;; [unrolled: 1-line block ×7, first 2 shown]
	v_add_co_u32_e32 v11, vcc, 8, v11
	v_addc_co_u32_e32 v12, vcc, 0, v12, vcc
	s_mov_b64 s[28:29], 0
	s_waitcnt lgkmcnt(0)
	s_barrier
	s_branch .LBB134_3
.LBB134_28:
	s_add_u32 s0, s30, s36
	s_addc_u32 s1, s31, s37
	v_lshlrev_b32_e32 v0, 3, v0
	v_mov_b32_e32 v1, s1
	v_add_co_u32_e32 v2, vcc, s0, v0
	v_addc_co_u32_e32 v19, vcc, 0, v1, vcc
	global_store_dwordx2 v0, v[15:16], s[0:1]
	global_store_dwordx2 v0, v[17:18], s[0:1] offset:2560
	v_add_co_u32_e32 v0, vcc, 0x1000, v2
	v_addc_co_u32_e32 v1, vcc, 0, v19, vcc
	global_store_dwordx2 v[0:1], v[7:8], off offset:1024
	global_store_dwordx2 v[0:1], v[9:10], off offset:3584
	v_add_co_u32_e32 v0, vcc, 0x2000, v2
	v_addc_co_u32_e32 v1, vcc, 0, v19, vcc
	global_store_dwordx2 v[0:1], v[11:12], off offset:2048
	v_add_co_u32_e32 v0, vcc, 0x3000, v2
	v_addc_co_u32_e32 v1, vcc, 0, v19, vcc
	global_store_dwordx2 v[0:1], v[13:14], off offset:512
	global_store_dwordx2 v[0:1], v[3:4], off offset:3072
	v_add_co_u32_e32 v0, vcc, 0x4000, v2
	v_addc_co_u32_e32 v1, vcc, 0, v19, vcc
	global_store_dwordx2 v[0:1], v[5:6], off offset:1536
	s_endpgm
	.section	.rodata,"a",@progbits
	.p2align	6, 0x0
	.amdhsa_kernel _Z16sort_keys_kernelI22helper_blocked_blockedxLj320ELj8ELj10EEvPKT0_PS1_
		.amdhsa_group_segment_fixed_size 21120
		.amdhsa_private_segment_fixed_size 0
		.amdhsa_kernarg_size 272
		.amdhsa_user_sgpr_count 6
		.amdhsa_user_sgpr_private_segment_buffer 1
		.amdhsa_user_sgpr_dispatch_ptr 0
		.amdhsa_user_sgpr_queue_ptr 0
		.amdhsa_user_sgpr_kernarg_segment_ptr 1
		.amdhsa_user_sgpr_dispatch_id 0
		.amdhsa_user_sgpr_flat_scratch_init 0
		.amdhsa_user_sgpr_private_segment_size 0
		.amdhsa_uses_dynamic_stack 0
		.amdhsa_system_sgpr_private_segment_wavefront_offset 0
		.amdhsa_system_sgpr_workgroup_id_x 1
		.amdhsa_system_sgpr_workgroup_id_y 0
		.amdhsa_system_sgpr_workgroup_id_z 0
		.amdhsa_system_sgpr_workgroup_info 0
		.amdhsa_system_vgpr_workitem_id 2
		.amdhsa_next_free_vgpr 67
		.amdhsa_next_free_sgpr 98
		.amdhsa_reserve_vcc 1
		.amdhsa_reserve_flat_scratch 0
		.amdhsa_float_round_mode_32 0
		.amdhsa_float_round_mode_16_64 0
		.amdhsa_float_denorm_mode_32 3
		.amdhsa_float_denorm_mode_16_64 3
		.amdhsa_dx10_clamp 1
		.amdhsa_ieee_mode 1
		.amdhsa_fp16_overflow 0
		.amdhsa_exception_fp_ieee_invalid_op 0
		.amdhsa_exception_fp_denorm_src 0
		.amdhsa_exception_fp_ieee_div_zero 0
		.amdhsa_exception_fp_ieee_overflow 0
		.amdhsa_exception_fp_ieee_underflow 0
		.amdhsa_exception_fp_ieee_inexact 0
		.amdhsa_exception_int_div_zero 0
	.end_amdhsa_kernel
	.section	.text._Z16sort_keys_kernelI22helper_blocked_blockedxLj320ELj8ELj10EEvPKT0_PS1_,"axG",@progbits,_Z16sort_keys_kernelI22helper_blocked_blockedxLj320ELj8ELj10EEvPKT0_PS1_,comdat
.Lfunc_end134:
	.size	_Z16sort_keys_kernelI22helper_blocked_blockedxLj320ELj8ELj10EEvPKT0_PS1_, .Lfunc_end134-_Z16sort_keys_kernelI22helper_blocked_blockedxLj320ELj8ELj10EEvPKT0_PS1_
                                        ; -- End function
	.set _Z16sort_keys_kernelI22helper_blocked_blockedxLj320ELj8ELj10EEvPKT0_PS1_.num_vgpr, 67
	.set _Z16sort_keys_kernelI22helper_blocked_blockedxLj320ELj8ELj10EEvPKT0_PS1_.num_agpr, 0
	.set _Z16sort_keys_kernelI22helper_blocked_blockedxLj320ELj8ELj10EEvPKT0_PS1_.numbered_sgpr, 40
	.set _Z16sort_keys_kernelI22helper_blocked_blockedxLj320ELj8ELj10EEvPKT0_PS1_.num_named_barrier, 0
	.set _Z16sort_keys_kernelI22helper_blocked_blockedxLj320ELj8ELj10EEvPKT0_PS1_.private_seg_size, 0
	.set _Z16sort_keys_kernelI22helper_blocked_blockedxLj320ELj8ELj10EEvPKT0_PS1_.uses_vcc, 1
	.set _Z16sort_keys_kernelI22helper_blocked_blockedxLj320ELj8ELj10EEvPKT0_PS1_.uses_flat_scratch, 0
	.set _Z16sort_keys_kernelI22helper_blocked_blockedxLj320ELj8ELj10EEvPKT0_PS1_.has_dyn_sized_stack, 0
	.set _Z16sort_keys_kernelI22helper_blocked_blockedxLj320ELj8ELj10EEvPKT0_PS1_.has_recursion, 0
	.set _Z16sort_keys_kernelI22helper_blocked_blockedxLj320ELj8ELj10EEvPKT0_PS1_.has_indirect_call, 0
	.section	.AMDGPU.csdata,"",@progbits
; Kernel info:
; codeLenInByte = 5360
; TotalNumSgprs: 44
; NumVgprs: 67
; ScratchSize: 0
; MemoryBound: 0
; FloatMode: 240
; IeeeMode: 1
; LDSByteSize: 21120 bytes/workgroup (compile time only)
; SGPRBlocks: 12
; VGPRBlocks: 16
; NumSGPRsForWavesPerEU: 102
; NumVGPRsForWavesPerEU: 67
; Occupancy: 3
; WaveLimiterHint : 1
; COMPUTE_PGM_RSRC2:SCRATCH_EN: 0
; COMPUTE_PGM_RSRC2:USER_SGPR: 6
; COMPUTE_PGM_RSRC2:TRAP_HANDLER: 0
; COMPUTE_PGM_RSRC2:TGID_X_EN: 1
; COMPUTE_PGM_RSRC2:TGID_Y_EN: 0
; COMPUTE_PGM_RSRC2:TGID_Z_EN: 0
; COMPUTE_PGM_RSRC2:TIDIG_COMP_CNT: 2
	.section	.text._Z17sort_pairs_kernelI22helper_blocked_blockedxLj320ELj8ELj10EEvPKT0_PS1_,"axG",@progbits,_Z17sort_pairs_kernelI22helper_blocked_blockedxLj320ELj8ELj10EEvPKT0_PS1_,comdat
	.protected	_Z17sort_pairs_kernelI22helper_blocked_blockedxLj320ELj8ELj10EEvPKT0_PS1_ ; -- Begin function _Z17sort_pairs_kernelI22helper_blocked_blockedxLj320ELj8ELj10EEvPKT0_PS1_
	.globl	_Z17sort_pairs_kernelI22helper_blocked_blockedxLj320ELj8ELj10EEvPKT0_PS1_
	.p2align	8
	.type	_Z17sort_pairs_kernelI22helper_blocked_blockedxLj320ELj8ELj10EEvPKT0_PS1_,@function
_Z17sort_pairs_kernelI22helper_blocked_blockedxLj320ELj8ELj10EEvPKT0_PS1_: ; @_Z17sort_pairs_kernelI22helper_blocked_blockedxLj320ELj8ELj10EEvPKT0_PS1_
; %bb.0:
	s_load_dwordx4 s[28:31], s[4:5], 0x0
	s_load_dword s2, s[4:5], 0x1c
	s_mul_i32 s36, s6, 0xa00
	s_mov_b32 s37, 0
	s_lshl_b64 s[34:35], s[36:37], 3
	s_waitcnt lgkmcnt(0)
	s_add_u32 s0, s28, s34
	s_addc_u32 s1, s29, s35
	v_lshlrev_b32_e32 v19, 3, v0
	v_mov_b32_e32 v3, s1
	v_add_co_u32_e32 v20, vcc, s0, v19
	global_load_dwordx2 v[15:16], v19, s[0:1]
	global_load_dwordx2 v[17:18], v19, s[0:1] offset:2560
	v_addc_co_u32_e32 v21, vcc, 0, v3, vcc
	s_movk_i32 s0, 0x1000
	v_add_co_u32_e32 v3, vcc, s0, v20
	v_addc_co_u32_e32 v4, vcc, 0, v21, vcc
	global_load_dwordx2 v[11:12], v[3:4], off offset:1024
	global_load_dwordx2 v[13:14], v[3:4], off offset:3584
	s_movk_i32 s0, 0x2000
	v_add_co_u32_e32 v3, vcc, s0, v20
	v_addc_co_u32_e32 v4, vcc, 0, v21, vcc
	global_load_dwordx2 v[7:8], v[3:4], off offset:2048
	s_movk_i32 s0, 0x3000
	v_add_co_u32_e32 v5, vcc, s0, v20
	v_addc_co_u32_e32 v6, vcc, 0, v21, vcc
	global_load_dwordx2 v[9:10], v[5:6], off offset:512
	global_load_dwordx2 v[3:4], v[5:6], off offset:3072
	s_movk_i32 s0, 0x4000
	v_add_co_u32_e32 v5, vcc, s0, v20
	v_addc_co_u32_e32 v6, vcc, 0, v21, vcc
	global_load_dwordx2 v[5:6], v[5:6], off offset:1536
	v_mbcnt_lo_u32_b32 v20, -1, 0
	s_movk_i32 s0, 0xe00
	v_mbcnt_hi_u32_b32 v36, -1, v20
	v_and_or_b32 v38, v19, s0, v36
	v_add_u32_e32 v40, 64, v38
	v_lshrrev_b32_e32 v40, 2, v40
	v_lshlrev_b32_e32 v39, 3, v38
	v_and_b32_e32 v40, 0x3b8, v40
	v_add_u32_e32 v70, v40, v39
	v_or_b32_e32 v40, 0x80, v38
	v_lshrrev_b32_e32 v40, 2, v40
	v_and_b32_e32 v40, 0x3b8, v40
	v_and_b32_e32 v37, 0x1c0, v0
	v_add_u32_e32 v71, v40, v39
	v_add_u32_e32 v40, 0xc0, v38
	s_lshr_b32 s0, s2, 16
	v_add_u32_e32 v20, v36, v37
	v_lshrrev_b32_e32 v40, 2, v40
	s_and_b32 s1, s2, 0xffff
	v_mad_u32_u24 v1, v2, s0, v1
	v_lshlrev_b32_e32 v19, 1, v20
	v_and_b32_e32 v40, 0x3f8, v40
	v_mad_u64_u32 v[1:2], s[0:1], v1, s1, v[0:1]
	v_and_b32_e32 v19, 0x7f8, v19
	v_add_u32_e32 v72, v40, v39
	v_or_b32_e32 v40, 0x100, v38
	v_and_b32_e32 v2, 15, v36
	v_lshrrev_b32_e32 v21, 2, v38
	v_lshl_add_u32 v68, v20, 6, v19
	v_lshrrev_b32_e32 v40, 2, v40
	v_cmp_eq_u32_e64 s[0:1], 0, v2
	v_cmp_lt_u32_e64 s[2:3], 1, v2
	v_cmp_lt_u32_e64 s[4:5], 3, v2
	;; [unrolled: 1-line block ×3, first 2 shown]
	v_and_b32_e32 v2, 16, v36
	v_and_b32_e32 v21, 0x398, v21
	;; [unrolled: 1-line block ×3, first 2 shown]
	v_cmp_eq_u32_e64 s[8:9], 0, v2
	v_min_u32_e32 v2, 0x100, v37
	v_add_u32_e32 v69, v21, v39
	v_add_u32_e32 v73, v40, v39
	;; [unrolled: 1-line block ×3, first 2 shown]
	v_or_b32_e32 v2, 63, v2
	v_lshrrev_b32_e32 v40, 2, v40
	v_cmp_eq_u32_e64 s[12:13], v0, v2
	v_subrev_co_u32_e64 v2, s[18:19], 1, v36
	v_and_b32_e32 v37, 64, v36
	v_and_b32_e32 v40, 0x3f8, v40
	v_add_u32_e32 v74, v40, v39
	v_or_b32_e32 v40, 0x180, v38
	s_waitcnt vmcnt(7)
	v_add_co_u32_e32 v31, vcc, 1, v15
	v_addc_co_u32_e32 v32, vcc, 0, v16, vcc
	s_waitcnt vmcnt(6)
	v_add_co_u32_e32 v33, vcc, 1, v17
	v_addc_co_u32_e32 v34, vcc, 0, v18, vcc
	;; [unrolled: 3-line block ×8, first 2 shown]
	v_cmp_lt_i32_e32 vcc, v2, v37
	v_add_u32_e32 v38, 0x1c0, v38
	v_cndmask_b32_e32 v2, v2, v36, vcc
	v_lshrrev_b32_e32 v1, 4, v1
	v_lshrrev_b32_e32 v40, 2, v40
	;; [unrolled: 1-line block ×3, first 2 shown]
	v_lshlrev_b32_e32 v78, 2, v2
	v_lshrrev_b32_e32 v2, 4, v0
	v_and_b32_e32 v81, 0xffffffc, v1
	v_lshlrev_b32_e32 v1, 1, v0
	v_and_b32_e32 v40, 0x3f8, v40
	v_and_b32_e32 v38, 0x7f8, v38
	v_lshlrev_b32_e32 v77, 4, v0
	v_cmp_lt_u32_e64 s[10:11], 31, v36
	v_and_b32_e32 v79, 28, v2
	v_mul_i32_i24_e32 v2, -12, v0
	v_and_b32_e32 v36, 7, v36
	v_and_b32_e32 v1, 0x3f8, v1
	v_mov_b32_e32 v35, 0
	v_add_u32_e32 v75, v40, v39
	v_add_u32_e32 v76, v38, v39
	v_cmp_gt_u32_e64 s[14:15], 5, v0
	v_cmp_lt_u32_e64 s[16:17], 63, v0
	v_cmp_eq_u32_e64 s[20:21], 0, v0
	v_cmp_eq_u32_e64 s[22:23], 0, v36
	v_cmp_lt_u32_e64 s[24:25], 1, v36
	v_cmp_lt_u32_e64 s[26:27], 3, v36
	v_add_u32_e32 v80, -4, v79
	v_lshl_add_u32 v82, v0, 6, v1
	v_add_u32_e32 v83, v77, v2
	v_mov_b32_e32 v84, 20
	s_branch .LBB135_2
.LBB135_1:                              ;   in Loop: Header=BB135_2 Depth=1
	v_lshrrev_b32_e32 v11, 2, v91
	v_and_b32_e32 v11, 0x3ffffff8, v11
	v_lshl_add_u32 v36, v91, 3, v11
	v_lshrrev_b32_e32 v11, 2, v89
	v_and_b32_e32 v11, 0x3ffffff8, v11
	s_barrier
	ds_write_b64 v36, v[33:34]
	v_lshl_add_u32 v33, v89, 3, v11
	v_lshrrev_b32_e32 v11, 2, v88
	v_and_b32_e32 v11, 0x3ffffff8, v11
	v_lshl_add_u32 v34, v88, 3, v11
	v_lshrrev_b32_e32 v11, 2, v92
	v_and_b32_e32 v11, 0x3ffffff8, v11
	;; [unrolled: 3-line block ×3, first 2 shown]
	v_lshl_add_u32 v38, v90, 3, v11
	ds_write_b64 v33, v[17:18]
	ds_write_b64 v34, v[15:16]
	;; [unrolled: 1-line block ×4, first 2 shown]
	v_lshrrev_b32_e32 v9, 2, v87
	v_and_b32_e32 v9, 0x3ffffff8, v9
	v_lshl_add_u32 v39, v87, 3, v9
	ds_write_b64 v39, v[7:8]
	v_lshrrev_b32_e32 v7, 2, v86
	v_and_b32_e32 v7, 0x3ffffff8, v7
	v_lshl_add_u32 v40, v86, 3, v7
	ds_write_b64 v40, v[5:6]
	;; [unrolled: 4-line block ×3, first 2 shown]
	s_waitcnt lgkmcnt(0)
	s_barrier
	ds_read2_b64 v[15:18], v82 offset1:1
	ds_read2_b64 v[11:14], v82 offset0:2 offset1:3
	ds_read2_b64 v[7:10], v82 offset0:4 offset1:5
	;; [unrolled: 1-line block ×3, first 2 shown]
	s_waitcnt lgkmcnt(0)
	s_barrier
	ds_write_b64 v36, v[31:32]
	ds_write_b64 v33, v[29:30]
	;; [unrolled: 1-line block ×8, first 2 shown]
	s_waitcnt lgkmcnt(0)
	s_barrier
	ds_read2_b64 v[31:34], v82 offset1:1
	ds_read2_b64 v[27:30], v82 offset0:2 offset1:3
	ds_read2_b64 v[23:26], v82 offset0:4 offset1:5
	;; [unrolled: 1-line block ×3, first 2 shown]
	s_add_i32 s37, s37, 1
	v_xor_b32_e32 v16, 0x80000000, v16
	v_xor_b32_e32 v18, 0x80000000, v18
	;; [unrolled: 1-line block ×7, first 2 shown]
	s_cmp_eq_u32 s37, 10
	v_xor_b32_e32 v6, 0x80000000, v6
	s_cbranch_scc1 .LBB135_28
.LBB135_2:                              ; =>This Loop Header: Depth=1
                                        ;     Child Loop BB135_4 Depth 2
	v_xor_b32_e32 v16, 0x80000000, v16
	v_xor_b32_e32 v18, 0x80000000, v18
	;; [unrolled: 1-line block ×8, first 2 shown]
	ds_write2_b64 v68, v[15:16], v[17:18] offset1:1
	ds_write2_b64 v68, v[11:12], v[13:14] offset0:2 offset1:3
	ds_write2_b64 v68, v[7:8], v[9:10] offset0:4 offset1:5
	;; [unrolled: 1-line block ×3, first 2 shown]
	; wave barrier
	ds_read_b64 v[36:37], v69
	ds_read_b64 v[38:39], v70 offset:512
	ds_read_b64 v[40:41], v71 offset:1024
	;; [unrolled: 1-line block ×7, first 2 shown]
	; wave barrier
	s_waitcnt lgkmcnt(14)
	ds_write2_b64 v68, v[31:32], v[33:34] offset1:1
	ds_write2_b64 v68, v[27:28], v[29:30] offset0:2 offset1:3
	s_waitcnt lgkmcnt(14)
	ds_write2_b64 v68, v[23:24], v[25:26] offset0:4 offset1:5
	ds_write2_b64 v68, v[19:20], v[21:22] offset0:6 offset1:7
	; wave barrier
	ds_read_b64 v[52:53], v69
	ds_read_b64 v[54:55], v70 offset:512
	ds_read_b64 v[56:57], v71 offset:1024
	;; [unrolled: 1-line block ×7, first 2 shown]
	v_mov_b32_e32 v11, 0
	v_mov_b32_e32 v12, 0
	s_waitcnt lgkmcnt(0)
	s_barrier
	s_branch .LBB135_4
.LBB135_3:                              ;   in Loop: Header=BB135_4 Depth=2
	s_andn2_b64 vcc, exec, s[28:29]
	s_cbranch_vccz .LBB135_1
.LBB135_4:                              ;   Parent Loop BB135_2 Depth=1
                                        ; =>  This Inner Loop Header: Depth=2
	v_mov_b32_e32 v33, v36
	v_mov_b32_e32 v17, v38
	;; [unrolled: 1-line block ×4, first 2 shown]
	v_lshrrev_b64 v[37:38], v11, v[33:34]
	v_mov_b32_e32 v15, v40
	v_and_b32_e32 v36, 1, v37
	v_add_co_u32_e32 v39, vcc, -1, v36
	v_mov_b32_e32 v16, v41
	v_addc_co_u32_e64 v40, s[28:29], 0, -1, vcc
	v_cmp_ne_u32_e32 vcc, 0, v36
	v_xor_b32_e32 v36, vcc_hi, v40
	v_and_b32_e32 v40, exec_hi, v36
	v_lshlrev_b32_e32 v36, 30, v37
	v_xor_b32_e32 v39, vcc_lo, v39
	v_cmp_gt_i64_e32 vcc, 0, v[35:36]
	v_not_b32_e32 v36, v36
	v_ashrrev_i32_e32 v36, 31, v36
	v_and_b32_e32 v39, exec_lo, v39
	v_xor_b32_e32 v41, vcc_hi, v36
	v_xor_b32_e32 v36, vcc_lo, v36
	v_and_b32_e32 v39, v39, v36
	v_lshlrev_b32_e32 v36, 29, v37
	v_cmp_gt_i64_e32 vcc, 0, v[35:36]
	v_not_b32_e32 v36, v36
	v_ashrrev_i32_e32 v36, 31, v36
	v_and_b32_e32 v40, v40, v41
	v_xor_b32_e32 v41, vcc_hi, v36
	v_xor_b32_e32 v36, vcc_lo, v36
	v_and_b32_e32 v39, v39, v36
	v_lshlrev_b32_e32 v36, 28, v37
	v_cmp_gt_i64_e32 vcc, 0, v[35:36]
	v_not_b32_e32 v36, v36
	v_ashrrev_i32_e32 v36, 31, v36
	v_and_b32_e32 v40, v40, v41
	;; [unrolled: 8-line block ×5, first 2 shown]
	v_xor_b32_e32 v41, vcc_hi, v36
	v_xor_b32_e32 v36, vcc_lo, v36
	v_and_b32_e32 v39, v39, v36
	v_lshlrev_b32_e32 v36, 24, v37
	v_cmp_gt_i64_e32 vcc, 0, v[35:36]
	v_not_b32_e32 v36, v36
	v_ashrrev_i32_e32 v36, 31, v36
	v_mul_u32_u24_sdwa v38, v37, v84 dst_sel:DWORD dst_unused:UNUSED_PAD src0_sel:BYTE_0 src1_sel:DWORD
	v_xor_b32_e32 v37, vcc_hi, v36
	v_xor_b32_e32 v36, vcc_lo, v36
	v_and_b32_e32 v40, v40, v41
	v_and_b32_e32 v36, v39, v36
	v_and_b32_e32 v37, v40, v37
	v_mbcnt_lo_u32_b32 v39, v36, 0
	v_mbcnt_hi_u32_b32 v40, v37, v39
	v_cmp_ne_u64_e32 vcc, 0, v[36:37]
	v_mov_b32_e32 v3, v50
	v_mov_b32_e32 v5, v48
	;; [unrolled: 1-line block ×13, first 2 shown]
	v_cmp_eq_u32_e64 s[28:29], 0, v40
	v_mov_b32_e32 v4, v51
	v_mov_b32_e32 v6, v49
	v_mov_b32_e32 v8, v47
	v_mov_b32_e32 v10, v45
	v_mov_b32_e32 v14, v43
	v_mov_b32_e32 v2, v67
	v_mov_b32_e32 v20, v65
	v_mov_b32_e32 v22, v63
	v_mov_b32_e32 v24, v61
	v_mov_b32_e32 v26, v59
	v_mov_b32_e32 v28, v57
	v_mov_b32_e32 v30, v55
	v_mov_b32_e32 v32, v53
	s_and_b64 s[38:39], vcc, s[28:29]
	v_add_u32_e32 v41, v81, v38
	ds_write2_b32 v77, v35, v35 offset0:5 offset1:6
	ds_write2_b32 v77, v35, v35 offset0:7 offset1:8
	s_waitcnt lgkmcnt(0)
	s_barrier
	; wave barrier
	s_and_saveexec_b64 s[28:29], s[38:39]
; %bb.5:                                ;   in Loop: Header=BB135_4 Depth=2
	v_bcnt_u32_b32 v36, v36, 0
	v_bcnt_u32_b32 v36, v37, v36
	ds_write_b32 v41, v36 offset:20
; %bb.6:                                ;   in Loop: Header=BB135_4 Depth=2
	s_or_b64 exec, exec, s[28:29]
	v_lshrrev_b64 v[37:38], v11, v[17:18]
	v_and_b32_e32 v36, 0xff, v37
	v_mul_u32_u24_e32 v38, 20, v36
	v_mad_u32_u24 v36, v36, 20, v81
	; wave barrier
	ds_read_b32 v42, v36 offset:20
	v_and_b32_e32 v36, 1, v37
	v_add_co_u32_e32 v39, vcc, -1, v36
	v_addc_co_u32_e64 v43, s[28:29], 0, -1, vcc
	v_cmp_ne_u32_e32 vcc, 0, v36
	v_xor_b32_e32 v36, vcc_hi, v43
	v_and_b32_e32 v43, exec_hi, v36
	v_lshlrev_b32_e32 v36, 30, v37
	v_xor_b32_e32 v39, vcc_lo, v39
	v_cmp_gt_i64_e32 vcc, 0, v[35:36]
	v_not_b32_e32 v36, v36
	v_ashrrev_i32_e32 v36, 31, v36
	v_and_b32_e32 v39, exec_lo, v39
	v_xor_b32_e32 v44, vcc_hi, v36
	v_xor_b32_e32 v36, vcc_lo, v36
	v_and_b32_e32 v39, v39, v36
	v_lshlrev_b32_e32 v36, 29, v37
	v_cmp_gt_i64_e32 vcc, 0, v[35:36]
	v_not_b32_e32 v36, v36
	v_ashrrev_i32_e32 v36, 31, v36
	v_and_b32_e32 v43, v43, v44
	v_xor_b32_e32 v44, vcc_hi, v36
	v_xor_b32_e32 v36, vcc_lo, v36
	v_and_b32_e32 v39, v39, v36
	v_lshlrev_b32_e32 v36, 28, v37
	v_cmp_gt_i64_e32 vcc, 0, v[35:36]
	v_not_b32_e32 v36, v36
	v_ashrrev_i32_e32 v36, 31, v36
	v_and_b32_e32 v43, v43, v44
	;; [unrolled: 8-line block ×5, first 2 shown]
	v_xor_b32_e32 v44, vcc_hi, v36
	v_xor_b32_e32 v36, vcc_lo, v36
	v_and_b32_e32 v39, v39, v36
	v_lshlrev_b32_e32 v36, 24, v37
	v_cmp_gt_i64_e32 vcc, 0, v[35:36]
	v_not_b32_e32 v36, v36
	v_ashrrev_i32_e32 v36, 31, v36
	v_xor_b32_e32 v37, vcc_hi, v36
	v_xor_b32_e32 v36, vcc_lo, v36
	v_and_b32_e32 v43, v43, v44
	v_and_b32_e32 v36, v39, v36
	;; [unrolled: 1-line block ×3, first 2 shown]
	v_mbcnt_lo_u32_b32 v39, v36, 0
	v_mbcnt_hi_u32_b32 v43, v37, v39
	v_cmp_ne_u64_e32 vcc, 0, v[36:37]
	v_cmp_eq_u32_e64 s[28:29], 0, v43
	s_and_b64 s[38:39], vcc, s[28:29]
	v_add_u32_e32 v44, v81, v38
	; wave barrier
	s_and_saveexec_b64 s[28:29], s[38:39]
	s_cbranch_execz .LBB135_8
; %bb.7:                                ;   in Loop: Header=BB135_4 Depth=2
	v_bcnt_u32_b32 v36, v36, 0
	v_bcnt_u32_b32 v36, v37, v36
	s_waitcnt lgkmcnt(0)
	v_add_u32_e32 v36, v42, v36
	ds_write_b32 v44, v36 offset:20
.LBB135_8:                              ;   in Loop: Header=BB135_4 Depth=2
	s_or_b64 exec, exec, s[28:29]
	v_lshrrev_b64 v[37:38], v11, v[15:16]
	v_and_b32_e32 v36, 0xff, v37
	v_mul_u32_u24_e32 v38, 20, v36
	v_mad_u32_u24 v36, v36, 20, v81
	; wave barrier
	ds_read_b32 v45, v36 offset:20
	v_and_b32_e32 v36, 1, v37
	v_add_co_u32_e32 v39, vcc, -1, v36
	v_addc_co_u32_e64 v46, s[28:29], 0, -1, vcc
	v_cmp_ne_u32_e32 vcc, 0, v36
	v_xor_b32_e32 v36, vcc_hi, v46
	v_and_b32_e32 v46, exec_hi, v36
	v_lshlrev_b32_e32 v36, 30, v37
	v_xor_b32_e32 v39, vcc_lo, v39
	v_cmp_gt_i64_e32 vcc, 0, v[35:36]
	v_not_b32_e32 v36, v36
	v_ashrrev_i32_e32 v36, 31, v36
	v_and_b32_e32 v39, exec_lo, v39
	v_xor_b32_e32 v47, vcc_hi, v36
	v_xor_b32_e32 v36, vcc_lo, v36
	v_and_b32_e32 v39, v39, v36
	v_lshlrev_b32_e32 v36, 29, v37
	v_cmp_gt_i64_e32 vcc, 0, v[35:36]
	v_not_b32_e32 v36, v36
	v_ashrrev_i32_e32 v36, 31, v36
	v_and_b32_e32 v46, v46, v47
	v_xor_b32_e32 v47, vcc_hi, v36
	v_xor_b32_e32 v36, vcc_lo, v36
	v_and_b32_e32 v39, v39, v36
	v_lshlrev_b32_e32 v36, 28, v37
	v_cmp_gt_i64_e32 vcc, 0, v[35:36]
	v_not_b32_e32 v36, v36
	v_ashrrev_i32_e32 v36, 31, v36
	v_and_b32_e32 v46, v46, v47
	;; [unrolled: 8-line block ×5, first 2 shown]
	v_xor_b32_e32 v47, vcc_hi, v36
	v_xor_b32_e32 v36, vcc_lo, v36
	v_and_b32_e32 v39, v39, v36
	v_lshlrev_b32_e32 v36, 24, v37
	v_cmp_gt_i64_e32 vcc, 0, v[35:36]
	v_not_b32_e32 v36, v36
	v_ashrrev_i32_e32 v36, 31, v36
	v_xor_b32_e32 v37, vcc_hi, v36
	v_xor_b32_e32 v36, vcc_lo, v36
	v_and_b32_e32 v46, v46, v47
	v_and_b32_e32 v36, v39, v36
	;; [unrolled: 1-line block ×3, first 2 shown]
	v_mbcnt_lo_u32_b32 v39, v36, 0
	v_mbcnt_hi_u32_b32 v46, v37, v39
	v_cmp_ne_u64_e32 vcc, 0, v[36:37]
	v_cmp_eq_u32_e64 s[28:29], 0, v46
	s_and_b64 s[38:39], vcc, s[28:29]
	v_add_u32_e32 v47, v81, v38
	; wave barrier
	s_and_saveexec_b64 s[28:29], s[38:39]
	s_cbranch_execz .LBB135_10
; %bb.9:                                ;   in Loop: Header=BB135_4 Depth=2
	v_bcnt_u32_b32 v36, v36, 0
	v_bcnt_u32_b32 v36, v37, v36
	s_waitcnt lgkmcnt(0)
	v_add_u32_e32 v36, v45, v36
	ds_write_b32 v47, v36 offset:20
.LBB135_10:                             ;   in Loop: Header=BB135_4 Depth=2
	s_or_b64 exec, exec, s[28:29]
	v_lshrrev_b64 v[37:38], v11, v[13:14]
	v_and_b32_e32 v36, 0xff, v37
	v_mul_u32_u24_e32 v38, 20, v36
	v_mad_u32_u24 v36, v36, 20, v81
	; wave barrier
	ds_read_b32 v48, v36 offset:20
	v_and_b32_e32 v36, 1, v37
	v_add_co_u32_e32 v39, vcc, -1, v36
	v_addc_co_u32_e64 v49, s[28:29], 0, -1, vcc
	v_cmp_ne_u32_e32 vcc, 0, v36
	v_xor_b32_e32 v36, vcc_hi, v49
	v_and_b32_e32 v49, exec_hi, v36
	v_lshlrev_b32_e32 v36, 30, v37
	v_xor_b32_e32 v39, vcc_lo, v39
	v_cmp_gt_i64_e32 vcc, 0, v[35:36]
	v_not_b32_e32 v36, v36
	v_ashrrev_i32_e32 v36, 31, v36
	v_and_b32_e32 v39, exec_lo, v39
	v_xor_b32_e32 v50, vcc_hi, v36
	v_xor_b32_e32 v36, vcc_lo, v36
	v_and_b32_e32 v39, v39, v36
	v_lshlrev_b32_e32 v36, 29, v37
	v_cmp_gt_i64_e32 vcc, 0, v[35:36]
	v_not_b32_e32 v36, v36
	v_ashrrev_i32_e32 v36, 31, v36
	v_and_b32_e32 v49, v49, v50
	v_xor_b32_e32 v50, vcc_hi, v36
	v_xor_b32_e32 v36, vcc_lo, v36
	v_and_b32_e32 v39, v39, v36
	v_lshlrev_b32_e32 v36, 28, v37
	v_cmp_gt_i64_e32 vcc, 0, v[35:36]
	v_not_b32_e32 v36, v36
	v_ashrrev_i32_e32 v36, 31, v36
	v_and_b32_e32 v49, v49, v50
	;; [unrolled: 8-line block ×5, first 2 shown]
	v_xor_b32_e32 v50, vcc_hi, v36
	v_xor_b32_e32 v36, vcc_lo, v36
	v_and_b32_e32 v39, v39, v36
	v_lshlrev_b32_e32 v36, 24, v37
	v_cmp_gt_i64_e32 vcc, 0, v[35:36]
	v_not_b32_e32 v36, v36
	v_ashrrev_i32_e32 v36, 31, v36
	v_xor_b32_e32 v37, vcc_hi, v36
	v_xor_b32_e32 v36, vcc_lo, v36
	v_and_b32_e32 v49, v49, v50
	v_and_b32_e32 v36, v39, v36
	;; [unrolled: 1-line block ×3, first 2 shown]
	v_mbcnt_lo_u32_b32 v39, v36, 0
	v_mbcnt_hi_u32_b32 v49, v37, v39
	v_cmp_ne_u64_e32 vcc, 0, v[36:37]
	v_cmp_eq_u32_e64 s[28:29], 0, v49
	s_and_b64 s[38:39], vcc, s[28:29]
	v_add_u32_e32 v50, v81, v38
	; wave barrier
	s_and_saveexec_b64 s[28:29], s[38:39]
	s_cbranch_execz .LBB135_12
; %bb.11:                               ;   in Loop: Header=BB135_4 Depth=2
	v_bcnt_u32_b32 v36, v36, 0
	v_bcnt_u32_b32 v36, v37, v36
	s_waitcnt lgkmcnt(0)
	v_add_u32_e32 v36, v48, v36
	ds_write_b32 v50, v36 offset:20
.LBB135_12:                             ;   in Loop: Header=BB135_4 Depth=2
	s_or_b64 exec, exec, s[28:29]
	v_lshrrev_b64 v[37:38], v11, v[9:10]
	v_and_b32_e32 v36, 0xff, v37
	v_mul_u32_u24_e32 v38, 20, v36
	v_mad_u32_u24 v36, v36, 20, v81
	; wave barrier
	ds_read_b32 v51, v36 offset:20
	v_and_b32_e32 v36, 1, v37
	v_add_co_u32_e32 v39, vcc, -1, v36
	v_addc_co_u32_e64 v52, s[28:29], 0, -1, vcc
	v_cmp_ne_u32_e32 vcc, 0, v36
	v_xor_b32_e32 v36, vcc_hi, v52
	v_and_b32_e32 v52, exec_hi, v36
	v_lshlrev_b32_e32 v36, 30, v37
	v_xor_b32_e32 v39, vcc_lo, v39
	v_cmp_gt_i64_e32 vcc, 0, v[35:36]
	v_not_b32_e32 v36, v36
	v_ashrrev_i32_e32 v36, 31, v36
	v_and_b32_e32 v39, exec_lo, v39
	v_xor_b32_e32 v53, vcc_hi, v36
	v_xor_b32_e32 v36, vcc_lo, v36
	v_and_b32_e32 v39, v39, v36
	v_lshlrev_b32_e32 v36, 29, v37
	v_cmp_gt_i64_e32 vcc, 0, v[35:36]
	v_not_b32_e32 v36, v36
	v_ashrrev_i32_e32 v36, 31, v36
	v_and_b32_e32 v52, v52, v53
	v_xor_b32_e32 v53, vcc_hi, v36
	v_xor_b32_e32 v36, vcc_lo, v36
	v_and_b32_e32 v39, v39, v36
	v_lshlrev_b32_e32 v36, 28, v37
	v_cmp_gt_i64_e32 vcc, 0, v[35:36]
	v_not_b32_e32 v36, v36
	v_ashrrev_i32_e32 v36, 31, v36
	v_and_b32_e32 v52, v52, v53
	;; [unrolled: 8-line block ×5, first 2 shown]
	v_xor_b32_e32 v53, vcc_hi, v36
	v_xor_b32_e32 v36, vcc_lo, v36
	v_and_b32_e32 v39, v39, v36
	v_lshlrev_b32_e32 v36, 24, v37
	v_cmp_gt_i64_e32 vcc, 0, v[35:36]
	v_not_b32_e32 v36, v36
	v_ashrrev_i32_e32 v36, 31, v36
	v_xor_b32_e32 v37, vcc_hi, v36
	v_xor_b32_e32 v36, vcc_lo, v36
	v_and_b32_e32 v52, v52, v53
	v_and_b32_e32 v36, v39, v36
	;; [unrolled: 1-line block ×3, first 2 shown]
	v_mbcnt_lo_u32_b32 v39, v36, 0
	v_mbcnt_hi_u32_b32 v52, v37, v39
	v_cmp_ne_u64_e32 vcc, 0, v[36:37]
	v_cmp_eq_u32_e64 s[28:29], 0, v52
	s_and_b64 s[38:39], vcc, s[28:29]
	v_add_u32_e32 v53, v81, v38
	; wave barrier
	s_and_saveexec_b64 s[28:29], s[38:39]
	s_cbranch_execz .LBB135_14
; %bb.13:                               ;   in Loop: Header=BB135_4 Depth=2
	v_bcnt_u32_b32 v36, v36, 0
	v_bcnt_u32_b32 v36, v37, v36
	s_waitcnt lgkmcnt(0)
	v_add_u32_e32 v36, v51, v36
	ds_write_b32 v53, v36 offset:20
.LBB135_14:                             ;   in Loop: Header=BB135_4 Depth=2
	s_or_b64 exec, exec, s[28:29]
	v_lshrrev_b64 v[37:38], v11, v[7:8]
	v_and_b32_e32 v36, 0xff, v37
	v_mul_u32_u24_e32 v38, 20, v36
	v_mad_u32_u24 v36, v36, 20, v81
	; wave barrier
	ds_read_b32 v54, v36 offset:20
	v_and_b32_e32 v36, 1, v37
	v_add_co_u32_e32 v39, vcc, -1, v36
	v_addc_co_u32_e64 v55, s[28:29], 0, -1, vcc
	v_cmp_ne_u32_e32 vcc, 0, v36
	v_xor_b32_e32 v36, vcc_hi, v55
	v_and_b32_e32 v55, exec_hi, v36
	v_lshlrev_b32_e32 v36, 30, v37
	v_xor_b32_e32 v39, vcc_lo, v39
	v_cmp_gt_i64_e32 vcc, 0, v[35:36]
	v_not_b32_e32 v36, v36
	v_ashrrev_i32_e32 v36, 31, v36
	v_and_b32_e32 v39, exec_lo, v39
	v_xor_b32_e32 v56, vcc_hi, v36
	v_xor_b32_e32 v36, vcc_lo, v36
	v_and_b32_e32 v39, v39, v36
	v_lshlrev_b32_e32 v36, 29, v37
	v_cmp_gt_i64_e32 vcc, 0, v[35:36]
	v_not_b32_e32 v36, v36
	v_ashrrev_i32_e32 v36, 31, v36
	v_and_b32_e32 v55, v55, v56
	v_xor_b32_e32 v56, vcc_hi, v36
	v_xor_b32_e32 v36, vcc_lo, v36
	v_and_b32_e32 v39, v39, v36
	v_lshlrev_b32_e32 v36, 28, v37
	v_cmp_gt_i64_e32 vcc, 0, v[35:36]
	v_not_b32_e32 v36, v36
	v_ashrrev_i32_e32 v36, 31, v36
	v_and_b32_e32 v55, v55, v56
	;; [unrolled: 8-line block ×5, first 2 shown]
	v_xor_b32_e32 v56, vcc_hi, v36
	v_xor_b32_e32 v36, vcc_lo, v36
	v_and_b32_e32 v39, v39, v36
	v_lshlrev_b32_e32 v36, 24, v37
	v_cmp_gt_i64_e32 vcc, 0, v[35:36]
	v_not_b32_e32 v36, v36
	v_ashrrev_i32_e32 v36, 31, v36
	v_xor_b32_e32 v37, vcc_hi, v36
	v_xor_b32_e32 v36, vcc_lo, v36
	v_and_b32_e32 v55, v55, v56
	v_and_b32_e32 v36, v39, v36
	;; [unrolled: 1-line block ×3, first 2 shown]
	v_mbcnt_lo_u32_b32 v39, v36, 0
	v_mbcnt_hi_u32_b32 v55, v37, v39
	v_cmp_ne_u64_e32 vcc, 0, v[36:37]
	v_cmp_eq_u32_e64 s[28:29], 0, v55
	s_and_b64 s[38:39], vcc, s[28:29]
	v_add_u32_e32 v56, v81, v38
	; wave barrier
	s_and_saveexec_b64 s[28:29], s[38:39]
	s_cbranch_execz .LBB135_16
; %bb.15:                               ;   in Loop: Header=BB135_4 Depth=2
	v_bcnt_u32_b32 v36, v36, 0
	v_bcnt_u32_b32 v36, v37, v36
	s_waitcnt lgkmcnt(0)
	v_add_u32_e32 v36, v54, v36
	ds_write_b32 v56, v36 offset:20
.LBB135_16:                             ;   in Loop: Header=BB135_4 Depth=2
	s_or_b64 exec, exec, s[28:29]
	v_lshrrev_b64 v[37:38], v11, v[5:6]
	v_and_b32_e32 v36, 0xff, v37
	v_mul_u32_u24_e32 v38, 20, v36
	v_mad_u32_u24 v36, v36, 20, v81
	; wave barrier
	ds_read_b32 v57, v36 offset:20
	v_and_b32_e32 v36, 1, v37
	v_add_co_u32_e32 v39, vcc, -1, v36
	v_addc_co_u32_e64 v58, s[28:29], 0, -1, vcc
	v_cmp_ne_u32_e32 vcc, 0, v36
	v_xor_b32_e32 v36, vcc_hi, v58
	v_and_b32_e32 v58, exec_hi, v36
	v_lshlrev_b32_e32 v36, 30, v37
	v_xor_b32_e32 v39, vcc_lo, v39
	v_cmp_gt_i64_e32 vcc, 0, v[35:36]
	v_not_b32_e32 v36, v36
	v_ashrrev_i32_e32 v36, 31, v36
	v_and_b32_e32 v39, exec_lo, v39
	v_xor_b32_e32 v59, vcc_hi, v36
	v_xor_b32_e32 v36, vcc_lo, v36
	v_and_b32_e32 v39, v39, v36
	v_lshlrev_b32_e32 v36, 29, v37
	v_cmp_gt_i64_e32 vcc, 0, v[35:36]
	v_not_b32_e32 v36, v36
	v_ashrrev_i32_e32 v36, 31, v36
	v_and_b32_e32 v58, v58, v59
	v_xor_b32_e32 v59, vcc_hi, v36
	v_xor_b32_e32 v36, vcc_lo, v36
	v_and_b32_e32 v39, v39, v36
	v_lshlrev_b32_e32 v36, 28, v37
	v_cmp_gt_i64_e32 vcc, 0, v[35:36]
	v_not_b32_e32 v36, v36
	v_ashrrev_i32_e32 v36, 31, v36
	v_and_b32_e32 v58, v58, v59
	;; [unrolled: 8-line block ×5, first 2 shown]
	v_xor_b32_e32 v59, vcc_hi, v36
	v_xor_b32_e32 v36, vcc_lo, v36
	v_and_b32_e32 v39, v39, v36
	v_lshlrev_b32_e32 v36, 24, v37
	v_cmp_gt_i64_e32 vcc, 0, v[35:36]
	v_not_b32_e32 v36, v36
	v_ashrrev_i32_e32 v36, 31, v36
	v_xor_b32_e32 v37, vcc_hi, v36
	v_xor_b32_e32 v36, vcc_lo, v36
	v_and_b32_e32 v58, v58, v59
	v_and_b32_e32 v36, v39, v36
	v_and_b32_e32 v37, v58, v37
	v_mbcnt_lo_u32_b32 v39, v36, 0
	v_mbcnt_hi_u32_b32 v58, v37, v39
	v_cmp_ne_u64_e32 vcc, 0, v[36:37]
	v_cmp_eq_u32_e64 s[28:29], 0, v58
	s_and_b64 s[38:39], vcc, s[28:29]
	v_add_u32_e32 v59, v81, v38
	; wave barrier
	s_and_saveexec_b64 s[28:29], s[38:39]
	s_cbranch_execz .LBB135_18
; %bb.17:                               ;   in Loop: Header=BB135_4 Depth=2
	v_bcnt_u32_b32 v36, v36, 0
	v_bcnt_u32_b32 v36, v37, v36
	s_waitcnt lgkmcnt(0)
	v_add_u32_e32 v36, v57, v36
	ds_write_b32 v59, v36 offset:20
.LBB135_18:                             ;   in Loop: Header=BB135_4 Depth=2
	s_or_b64 exec, exec, s[28:29]
	v_lshrrev_b64 v[37:38], v11, v[3:4]
	v_and_b32_e32 v36, 0xff, v37
	v_mul_u32_u24_e32 v38, 20, v36
	v_mad_u32_u24 v36, v36, 20, v81
	; wave barrier
	ds_read_b32 v60, v36 offset:20
	v_and_b32_e32 v36, 1, v37
	v_add_co_u32_e32 v39, vcc, -1, v36
	v_addc_co_u32_e64 v61, s[28:29], 0, -1, vcc
	v_cmp_ne_u32_e32 vcc, 0, v36
	v_xor_b32_e32 v36, vcc_hi, v61
	v_and_b32_e32 v61, exec_hi, v36
	v_lshlrev_b32_e32 v36, 30, v37
	v_xor_b32_e32 v39, vcc_lo, v39
	v_cmp_gt_i64_e32 vcc, 0, v[35:36]
	v_not_b32_e32 v36, v36
	v_ashrrev_i32_e32 v36, 31, v36
	v_and_b32_e32 v39, exec_lo, v39
	v_xor_b32_e32 v62, vcc_hi, v36
	v_xor_b32_e32 v36, vcc_lo, v36
	v_and_b32_e32 v39, v39, v36
	v_lshlrev_b32_e32 v36, 29, v37
	v_cmp_gt_i64_e32 vcc, 0, v[35:36]
	v_not_b32_e32 v36, v36
	v_ashrrev_i32_e32 v36, 31, v36
	v_and_b32_e32 v61, v61, v62
	v_xor_b32_e32 v62, vcc_hi, v36
	v_xor_b32_e32 v36, vcc_lo, v36
	v_and_b32_e32 v39, v39, v36
	v_lshlrev_b32_e32 v36, 28, v37
	v_cmp_gt_i64_e32 vcc, 0, v[35:36]
	v_not_b32_e32 v36, v36
	v_ashrrev_i32_e32 v36, 31, v36
	v_and_b32_e32 v61, v61, v62
	v_xor_b32_e32 v62, vcc_hi, v36
	v_xor_b32_e32 v36, vcc_lo, v36
	v_and_b32_e32 v39, v39, v36
	v_lshlrev_b32_e32 v36, 27, v37
	v_cmp_gt_i64_e32 vcc, 0, v[35:36]
	v_not_b32_e32 v36, v36
	v_ashrrev_i32_e32 v36, 31, v36
	v_and_b32_e32 v61, v61, v62
	v_xor_b32_e32 v62, vcc_hi, v36
	v_xor_b32_e32 v36, vcc_lo, v36
	v_and_b32_e32 v39, v39, v36
	v_lshlrev_b32_e32 v36, 26, v37
	v_cmp_gt_i64_e32 vcc, 0, v[35:36]
	v_not_b32_e32 v36, v36
	v_ashrrev_i32_e32 v36, 31, v36
	v_and_b32_e32 v61, v61, v62
	v_xor_b32_e32 v62, vcc_hi, v36
	v_xor_b32_e32 v36, vcc_lo, v36
	v_and_b32_e32 v39, v39, v36
	v_lshlrev_b32_e32 v36, 25, v37
	v_cmp_gt_i64_e32 vcc, 0, v[35:36]
	v_not_b32_e32 v36, v36
	v_ashrrev_i32_e32 v36, 31, v36
	v_and_b32_e32 v61, v61, v62
	v_xor_b32_e32 v62, vcc_hi, v36
	v_xor_b32_e32 v36, vcc_lo, v36
	v_and_b32_e32 v39, v39, v36
	v_lshlrev_b32_e32 v36, 24, v37
	v_cmp_gt_i64_e32 vcc, 0, v[35:36]
	v_not_b32_e32 v36, v36
	v_ashrrev_i32_e32 v36, 31, v36
	v_xor_b32_e32 v37, vcc_hi, v36
	v_xor_b32_e32 v36, vcc_lo, v36
	v_and_b32_e32 v61, v61, v62
	v_and_b32_e32 v36, v39, v36
	;; [unrolled: 1-line block ×3, first 2 shown]
	v_mbcnt_lo_u32_b32 v39, v36, 0
	v_mbcnt_hi_u32_b32 v61, v37, v39
	v_cmp_ne_u64_e32 vcc, 0, v[36:37]
	v_cmp_eq_u32_e64 s[28:29], 0, v61
	s_and_b64 s[38:39], vcc, s[28:29]
	v_add_u32_e32 v62, v81, v38
	; wave barrier
	s_and_saveexec_b64 s[28:29], s[38:39]
	s_cbranch_execz .LBB135_20
; %bb.19:                               ;   in Loop: Header=BB135_4 Depth=2
	v_bcnt_u32_b32 v36, v36, 0
	v_bcnt_u32_b32 v36, v37, v36
	s_waitcnt lgkmcnt(0)
	v_add_u32_e32 v36, v60, v36
	ds_write_b32 v62, v36 offset:20
.LBB135_20:                             ;   in Loop: Header=BB135_4 Depth=2
	s_or_b64 exec, exec, s[28:29]
	; wave barrier
	s_waitcnt lgkmcnt(0)
	s_barrier
	ds_read2_b32 v[38:39], v77 offset0:5 offset1:6
	ds_read2_b32 v[36:37], v77 offset0:7 offset1:8
	s_waitcnt lgkmcnt(1)
	v_add_u32_e32 v63, v39, v38
	s_waitcnt lgkmcnt(0)
	v_add3_u32 v37, v63, v36, v37
	s_nop 1
	v_mov_b32_dpp v63, v37 row_shr:1 row_mask:0xf bank_mask:0xf
	v_cndmask_b32_e64 v63, v63, 0, s[0:1]
	v_add_u32_e32 v37, v63, v37
	s_nop 1
	v_mov_b32_dpp v63, v37 row_shr:2 row_mask:0xf bank_mask:0xf
	v_cndmask_b32_e64 v63, 0, v63, s[2:3]
	v_add_u32_e32 v37, v37, v63
	;; [unrolled: 4-line block ×4, first 2 shown]
	s_nop 1
	v_mov_b32_dpp v63, v37 row_bcast:15 row_mask:0xf bank_mask:0xf
	v_cndmask_b32_e64 v63, v63, 0, s[8:9]
	v_add_u32_e32 v37, v37, v63
	s_nop 1
	v_mov_b32_dpp v63, v37 row_bcast:31 row_mask:0xf bank_mask:0xf
	v_cndmask_b32_e64 v63, 0, v63, s[10:11]
	v_add_u32_e32 v37, v37, v63
	s_and_saveexec_b64 s[28:29], s[12:13]
; %bb.21:                               ;   in Loop: Header=BB135_4 Depth=2
	ds_write_b32 v79, v37
; %bb.22:                               ;   in Loop: Header=BB135_4 Depth=2
	s_or_b64 exec, exec, s[28:29]
	s_waitcnt lgkmcnt(0)
	s_barrier
	s_and_saveexec_b64 s[28:29], s[14:15]
	s_cbranch_execz .LBB135_24
; %bb.23:                               ;   in Loop: Header=BB135_4 Depth=2
	ds_read_b32 v63, v83
	s_waitcnt lgkmcnt(0)
	s_nop 0
	v_mov_b32_dpp v64, v63 row_shr:1 row_mask:0xf bank_mask:0xf
	v_cndmask_b32_e64 v64, v64, 0, s[22:23]
	v_add_u32_e32 v63, v64, v63
	s_nop 1
	v_mov_b32_dpp v64, v63 row_shr:2 row_mask:0xf bank_mask:0xf
	v_cndmask_b32_e64 v64, 0, v64, s[24:25]
	v_add_u32_e32 v63, v63, v64
	;; [unrolled: 4-line block ×3, first 2 shown]
	ds_write_b32 v83, v63
.LBB135_24:                             ;   in Loop: Header=BB135_4 Depth=2
	s_or_b64 exec, exec, s[28:29]
	v_mov_b32_e32 v63, 0
	s_waitcnt lgkmcnt(0)
	s_barrier
	s_and_saveexec_b64 s[28:29], s[16:17]
; %bb.25:                               ;   in Loop: Header=BB135_4 Depth=2
	ds_read_b32 v63, v80
; %bb.26:                               ;   in Loop: Header=BB135_4 Depth=2
	s_or_b64 exec, exec, s[28:29]
	s_waitcnt lgkmcnt(0)
	v_add_u32_e32 v37, v63, v37
	ds_bpermute_b32 v37, v78, v37
	v_cmp_lt_u32_e32 vcc, 55, v11
	s_and_b64 vcc, exec, vcc
	s_mov_b64 s[28:29], -1
                                        ; implicit-def: $vgpr66_vgpr67
                                        ; implicit-def: $vgpr64_vgpr65
	s_waitcnt lgkmcnt(0)
	v_cndmask_b32_e64 v37, v37, v63, s[18:19]
	v_cndmask_b32_e64 v37, v37, 0, s[20:21]
	v_add_u32_e32 v38, v37, v38
	v_add_u32_e32 v39, v38, v39
	;; [unrolled: 1-line block ×3, first 2 shown]
	ds_write2_b32 v77, v37, v38 offset0:5 offset1:6
	ds_write2_b32 v77, v39, v36 offset0:7 offset1:8
	s_waitcnt lgkmcnt(0)
	s_barrier
	ds_read_b32 v36, v41 offset:20
	ds_read_b32 v37, v44 offset:20
	ds_read_b32 v38, v47 offset:20
	s_waitcnt lgkmcnt(2)
	v_add_u32_e32 v91, v36, v40
	s_waitcnt lgkmcnt(1)
	v_add3_u32 v89, v43, v42, v37
	ds_read_b32 v36, v50 offset:20
	s_waitcnt lgkmcnt(1)
	v_add3_u32 v88, v46, v45, v38
	ds_read_b32 v37, v53 offset:20
	ds_read_b32 v38, v56 offset:20
	;; [unrolled: 1-line block ×4, first 2 shown]
                                        ; implicit-def: $vgpr46_vgpr47
                                        ; implicit-def: $vgpr44_vgpr45
                                        ; implicit-def: $vgpr42_vgpr43
                                        ; implicit-def: $vgpr62_vgpr63
	s_waitcnt lgkmcnt(3)
	v_add3_u32 v90, v52, v51, v37
	v_add3_u32 v92, v49, v48, v36
	s_waitcnt lgkmcnt(2)
	v_add3_u32 v87, v55, v54, v38
	s_waitcnt lgkmcnt(1)
	;; [unrolled: 2-line block ×3, first 2 shown]
	v_add3_u32 v85, v61, v60, v40
                                        ; implicit-def: $vgpr50_vgpr51
                                        ; implicit-def: $vgpr48_vgpr49
                                        ; implicit-def: $vgpr40_vgpr41
                                        ; implicit-def: $vgpr38_vgpr39
                                        ; implicit-def: $vgpr36_vgpr37
                                        ; implicit-def: $vgpr60_vgpr61
                                        ; implicit-def: $vgpr58_vgpr59
                                        ; implicit-def: $vgpr56_vgpr57
                                        ; implicit-def: $vgpr54_vgpr55
                                        ; implicit-def: $vgpr52_vgpr53
	s_cbranch_vccnz .LBB135_3
; %bb.27:                               ;   in Loop: Header=BB135_4 Depth=2
	v_lshrrev_b32_e32 v36, 2, v91
	v_and_b32_e32 v36, 0x3ffffff8, v36
	v_lshl_add_u32 v52, v91, 3, v36
	v_lshrrev_b32_e32 v36, 2, v89
	v_and_b32_e32 v36, 0x3ffffff8, v36
	v_lshl_add_u32 v53, v89, 3, v36
	;; [unrolled: 3-line block ×8, first 2 shown]
	s_barrier
	ds_write_b64 v52, v[33:34]
	ds_write_b64 v53, v[17:18]
	;; [unrolled: 1-line block ×8, first 2 shown]
	s_waitcnt lgkmcnt(0)
	s_barrier
	ds_read_b64 v[36:37], v69
	ds_read_b64 v[38:39], v70 offset:512
	ds_read_b64 v[40:41], v71 offset:1024
	;; [unrolled: 1-line block ×7, first 2 shown]
	s_waitcnt lgkmcnt(0)
	s_barrier
	ds_write_b64 v52, v[31:32]
	ds_write_b64 v53, v[29:30]
	;; [unrolled: 1-line block ×8, first 2 shown]
	s_waitcnt lgkmcnt(0)
	s_barrier
	ds_read_b64 v[52:53], v69
	ds_read_b64 v[54:55], v70 offset:512
	ds_read_b64 v[56:57], v71 offset:1024
	;; [unrolled: 1-line block ×7, first 2 shown]
	v_add_co_u32_e32 v11, vcc, 8, v11
	v_addc_co_u32_e32 v12, vcc, 0, v12, vcc
	s_mov_b64 s[28:29], 0
	s_waitcnt lgkmcnt(0)
	s_barrier
	s_branch .LBB135_3
.LBB135_28:
	s_waitcnt lgkmcnt(3)
	v_add_co_u32_e32 v1, vcc, v15, v31
	v_addc_co_u32_e32 v2, vcc, v16, v32, vcc
	v_add_co_u32_e32 v15, vcc, v17, v33
	v_addc_co_u32_e32 v16, vcc, v18, v34, vcc
	s_waitcnt lgkmcnt(2)
	v_add_co_u32_e32 v11, vcc, v11, v27
	v_addc_co_u32_e32 v12, vcc, v12, v28, vcc
	v_add_co_u32_e32 v13, vcc, v13, v29
	v_addc_co_u32_e32 v14, vcc, v14, v30, vcc
	;; [unrolled: 5-line block ×3, first 2 shown]
	s_waitcnt lgkmcnt(0)
	v_add_co_u32_e32 v3, vcc, v3, v19
	v_addc_co_u32_e32 v4, vcc, v4, v20, vcc
	v_add_co_u32_e32 v5, vcc, v5, v21
	s_add_u32 s0, s30, s34
	v_addc_co_u32_e32 v6, vcc, v6, v22, vcc
	s_addc_u32 s1, s31, s35
	v_lshlrev_b32_e32 v0, 3, v0
	v_mov_b32_e32 v17, s1
	v_add_co_u32_e32 v18, vcc, s0, v0
	v_addc_co_u32_e32 v17, vcc, 0, v17, vcc
	global_store_dwordx2 v0, v[1:2], s[0:1]
	global_store_dwordx2 v0, v[15:16], s[0:1] offset:2560
	s_movk_i32 s0, 0x1000
	v_add_co_u32_e32 v0, vcc, s0, v18
	v_addc_co_u32_e32 v1, vcc, 0, v17, vcc
	s_movk_i32 s0, 0x2000
	global_store_dwordx2 v[0:1], v[11:12], off offset:1024
	global_store_dwordx2 v[0:1], v[13:14], off offset:3584
	v_add_co_u32_e32 v0, vcc, s0, v18
	v_addc_co_u32_e32 v1, vcc, 0, v17, vcc
	global_store_dwordx2 v[0:1], v[7:8], off offset:2048
	v_add_co_u32_e32 v0, vcc, 0x3000, v18
	v_addc_co_u32_e32 v1, vcc, 0, v17, vcc
	global_store_dwordx2 v[0:1], v[9:10], off offset:512
	global_store_dwordx2 v[0:1], v[3:4], off offset:3072
	v_add_co_u32_e32 v0, vcc, 0x4000, v18
	v_addc_co_u32_e32 v1, vcc, 0, v17, vcc
	global_store_dwordx2 v[0:1], v[5:6], off offset:1536
	s_endpgm
	.section	.rodata,"a",@progbits
	.p2align	6, 0x0
	.amdhsa_kernel _Z17sort_pairs_kernelI22helper_blocked_blockedxLj320ELj8ELj10EEvPKT0_PS1_
		.amdhsa_group_segment_fixed_size 21120
		.amdhsa_private_segment_fixed_size 0
		.amdhsa_kernarg_size 272
		.amdhsa_user_sgpr_count 6
		.amdhsa_user_sgpr_private_segment_buffer 1
		.amdhsa_user_sgpr_dispatch_ptr 0
		.amdhsa_user_sgpr_queue_ptr 0
		.amdhsa_user_sgpr_kernarg_segment_ptr 1
		.amdhsa_user_sgpr_dispatch_id 0
		.amdhsa_user_sgpr_flat_scratch_init 0
		.amdhsa_user_sgpr_private_segment_size 0
		.amdhsa_uses_dynamic_stack 0
		.amdhsa_system_sgpr_private_segment_wavefront_offset 0
		.amdhsa_system_sgpr_workgroup_id_x 1
		.amdhsa_system_sgpr_workgroup_id_y 0
		.amdhsa_system_sgpr_workgroup_id_z 0
		.amdhsa_system_sgpr_workgroup_info 0
		.amdhsa_system_vgpr_workitem_id 2
		.amdhsa_next_free_vgpr 93
		.amdhsa_next_free_sgpr 98
		.amdhsa_reserve_vcc 1
		.amdhsa_reserve_flat_scratch 0
		.amdhsa_float_round_mode_32 0
		.amdhsa_float_round_mode_16_64 0
		.amdhsa_float_denorm_mode_32 3
		.amdhsa_float_denorm_mode_16_64 3
		.amdhsa_dx10_clamp 1
		.amdhsa_ieee_mode 1
		.amdhsa_fp16_overflow 0
		.amdhsa_exception_fp_ieee_invalid_op 0
		.amdhsa_exception_fp_denorm_src 0
		.amdhsa_exception_fp_ieee_div_zero 0
		.amdhsa_exception_fp_ieee_overflow 0
		.amdhsa_exception_fp_ieee_underflow 0
		.amdhsa_exception_fp_ieee_inexact 0
		.amdhsa_exception_int_div_zero 0
	.end_amdhsa_kernel
	.section	.text._Z17sort_pairs_kernelI22helper_blocked_blockedxLj320ELj8ELj10EEvPKT0_PS1_,"axG",@progbits,_Z17sort_pairs_kernelI22helper_blocked_blockedxLj320ELj8ELj10EEvPKT0_PS1_,comdat
.Lfunc_end135:
	.size	_Z17sort_pairs_kernelI22helper_blocked_blockedxLj320ELj8ELj10EEvPKT0_PS1_, .Lfunc_end135-_Z17sort_pairs_kernelI22helper_blocked_blockedxLj320ELj8ELj10EEvPKT0_PS1_
                                        ; -- End function
	.set _Z17sort_pairs_kernelI22helper_blocked_blockedxLj320ELj8ELj10EEvPKT0_PS1_.num_vgpr, 93
	.set _Z17sort_pairs_kernelI22helper_blocked_blockedxLj320ELj8ELj10EEvPKT0_PS1_.num_agpr, 0
	.set _Z17sort_pairs_kernelI22helper_blocked_blockedxLj320ELj8ELj10EEvPKT0_PS1_.numbered_sgpr, 40
	.set _Z17sort_pairs_kernelI22helper_blocked_blockedxLj320ELj8ELj10EEvPKT0_PS1_.num_named_barrier, 0
	.set _Z17sort_pairs_kernelI22helper_blocked_blockedxLj320ELj8ELj10EEvPKT0_PS1_.private_seg_size, 0
	.set _Z17sort_pairs_kernelI22helper_blocked_blockedxLj320ELj8ELj10EEvPKT0_PS1_.uses_vcc, 1
	.set _Z17sort_pairs_kernelI22helper_blocked_blockedxLj320ELj8ELj10EEvPKT0_PS1_.uses_flat_scratch, 0
	.set _Z17sort_pairs_kernelI22helper_blocked_blockedxLj320ELj8ELj10EEvPKT0_PS1_.has_dyn_sized_stack, 0
	.set _Z17sort_pairs_kernelI22helper_blocked_blockedxLj320ELj8ELj10EEvPKT0_PS1_.has_recursion, 0
	.set _Z17sort_pairs_kernelI22helper_blocked_blockedxLj320ELj8ELj10EEvPKT0_PS1_.has_indirect_call, 0
	.section	.AMDGPU.csdata,"",@progbits
; Kernel info:
; codeLenInByte = 5908
; TotalNumSgprs: 44
; NumVgprs: 93
; ScratchSize: 0
; MemoryBound: 0
; FloatMode: 240
; IeeeMode: 1
; LDSByteSize: 21120 bytes/workgroup (compile time only)
; SGPRBlocks: 12
; VGPRBlocks: 23
; NumSGPRsForWavesPerEU: 102
; NumVGPRsForWavesPerEU: 93
; Occupancy: 2
; WaveLimiterHint : 1
; COMPUTE_PGM_RSRC2:SCRATCH_EN: 0
; COMPUTE_PGM_RSRC2:USER_SGPR: 6
; COMPUTE_PGM_RSRC2:TRAP_HANDLER: 0
; COMPUTE_PGM_RSRC2:TGID_X_EN: 1
; COMPUTE_PGM_RSRC2:TGID_Y_EN: 0
; COMPUTE_PGM_RSRC2:TGID_Z_EN: 0
; COMPUTE_PGM_RSRC2:TIDIG_COMP_CNT: 2
	.section	.text._Z16sort_keys_kernelI22helper_blocked_blockedxLj512ELj1ELj10EEvPKT0_PS1_,"axG",@progbits,_Z16sort_keys_kernelI22helper_blocked_blockedxLj512ELj1ELj10EEvPKT0_PS1_,comdat
	.protected	_Z16sort_keys_kernelI22helper_blocked_blockedxLj512ELj1ELj10EEvPKT0_PS1_ ; -- Begin function _Z16sort_keys_kernelI22helper_blocked_blockedxLj512ELj1ELj10EEvPKT0_PS1_
	.globl	_Z16sort_keys_kernelI22helper_blocked_blockedxLj512ELj1ELj10EEvPKT0_PS1_
	.p2align	8
	.type	_Z16sort_keys_kernelI22helper_blocked_blockedxLj512ELj1ELj10EEvPKT0_PS1_,@function
_Z16sort_keys_kernelI22helper_blocked_blockedxLj512ELj1ELj10EEvPKT0_PS1_: ; @_Z16sort_keys_kernelI22helper_blocked_blockedxLj512ELj1ELj10EEvPKT0_PS1_
; %bb.0:
	s_load_dwordx4 s[28:31], s[4:5], 0x0
	s_load_dword s33, s[4:5], 0x1c
	s_lshl_b32 s36, s6, 9
	s_mov_b32 s37, 0
	s_lshl_b64 s[34:35], s[36:37], 3
	s_waitcnt lgkmcnt(0)
	s_add_u32 s0, s28, s34
	s_addc_u32 s1, s29, s35
	v_lshlrev_b32_e32 v3, 3, v0
	global_load_dwordx2 v[3:4], v3, s[0:1]
	s_lshr_b32 s28, s33, 16
	s_and_b32 s29, s33, 0xffff
	v_mad_u32_u24 v1, v2, s28, v1
	v_mbcnt_lo_u32_b32 v6, -1, 0
	v_mad_u64_u32 v[1:2], s[28:29], v1, s29, v[0:1]
	v_mbcnt_hi_u32_b32 v6, -1, v6
	v_and_b32_e32 v7, 0x1c0, v0
	v_lshrrev_b32_e32 v8, 4, v0
	s_mov_b32 s10, s37
	v_subrev_co_u32_e64 v13, s[8:9], 1, v6
	v_and_b32_e32 v14, 64, v6
	v_lshlrev_b32_e32 v15, 4, v0
	s_mov_b32 s11, s37
	v_and_b32_e32 v9, 15, v6
	v_and_b32_e32 v10, 16, v6
	v_or_b32_e32 v12, 63, v7
	v_and_b32_e32 v16, 28, v8
	v_lshlrev_b32_e32 v19, 3, v7
	s_mov_b32 s36, s37
	v_mov_b32_e32 v7, s10
	v_cmp_lt_i32_e32 vcc, v13, v14
	v_lshlrev_b32_e32 v11, 2, v0
	v_mad_i32_i24 v17, v0, -12, v15
	v_and_b32_e32 v18, 7, v6
	v_mov_b32_e32 v8, s11
	v_cmp_eq_u32_e64 s[10:11], 0, v9
	v_cmp_lt_u32_e64 s[12:13], 1, v9
	v_cmp_lt_u32_e64 s[14:15], 3, v9
	;; [unrolled: 1-line block ×3, first 2 shown]
	v_cmp_eq_u32_e64 s[18:19], 0, v10
	v_cmp_eq_u32_e64 s[20:21], v0, v12
	v_cndmask_b32_e32 v12, v13, v6, vcc
	v_mov_b32_e32 v9, s36
	v_lshrrev_b32_e32 v1, 4, v1
	v_mov_b32_e32 v5, 0
	v_cmp_gt_u32_e64 s[0:1], 8, v0
	v_cmp_lt_u32_e64 s[2:3], 63, v0
	v_cmp_eq_u32_e64 s[4:5], 0, v0
	v_cmp_lt_u32_e64 s[6:7], 31, v6
	v_cmp_eq_u32_e64 s[22:23], 0, v18
	v_cmp_lt_u32_e64 s[24:25], 1, v18
	v_cmp_lt_u32_e64 s[26:27], 3, v18
	v_add_u32_e32 v18, -4, v16
	v_lshl_add_u32 v19, v6, 3, v19
	v_mov_b32_e32 v10, s37
	v_lshlrev_b32_e32 v20, 2, v12
	v_and_b32_e32 v21, 0xffffffc, v1
	v_add_u32_e32 v22, v17, v11
	s_waitcnt vmcnt(0)
	v_xor_b32_e32 v4, 0x80000000, v4
	s_branch .LBB136_2
.LBB136_1:                              ;   in Loop: Header=BB136_2 Depth=1
	v_lshlrev_b32_e32 v1, 3, v1
	s_barrier
	ds_write_b64 v1, v[13:14]
	s_waitcnt lgkmcnt(0)
	s_barrier
	ds_read_b64 v[3:4], v22
	s_add_i32 s37, s37, 1
	s_cmp_eq_u32 s37, 10
	s_cbranch_scc1 .LBB136_14
.LBB136_2:                              ; =>This Loop Header: Depth=1
                                        ;     Child Loop BB136_4 Depth 2
	v_mov_b32_e32 v11, 0
	v_mov_b32_e32 v12, 0
	s_branch .LBB136_4
.LBB136_3:                              ;   in Loop: Header=BB136_4 Depth=2
	s_andn2_b64 vcc, exec, s[28:29]
	s_cbranch_vccz .LBB136_1
.LBB136_4:                              ;   Parent Loop BB136_2 Depth=1
                                        ; =>  This Inner Loop Header: Depth=2
	s_waitcnt lgkmcnt(0)
	v_mov_b32_e32 v14, v4
	v_mov_b32_e32 v13, v3
	v_lshrrev_b64 v[3:4], v11, v[13:14]
	ds_write2_b64 v15, v[9:10], v[7:8] offset0:4 offset1:5
	v_and_b32_e32 v1, 1, v3
	v_cmp_ne_u32_e32 vcc, 0, v1
	v_add_co_u32_e64 v1, s[28:29], -1, v1
	v_addc_co_u32_e64 v2, s[28:29], 0, -1, s[28:29]
	v_lshlrev_b32_e32 v6, 30, v3
	v_cmp_gt_i64_e64 s[28:29], 0, v[5:6]
	v_not_b32_e32 v4, v6
	v_xor_b32_e32 v2, vcc_hi, v2
	v_ashrrev_i32_e32 v4, 31, v4
	v_and_b32_e32 v2, exec_hi, v2
	v_xor_b32_e32 v6, s29, v4
	v_xor_b32_e32 v1, vcc_lo, v1
	v_and_b32_e32 v2, v2, v6
	v_and_b32_e32 v1, exec_lo, v1
	v_xor_b32_e32 v4, s28, v4
	v_lshlrev_b32_e32 v6, 29, v3
	v_and_b32_e32 v1, v1, v4
	v_cmp_gt_i64_e32 vcc, 0, v[5:6]
	v_not_b32_e32 v4, v6
	v_ashrrev_i32_e32 v4, 31, v4
	v_xor_b32_e32 v6, vcc_hi, v4
	v_and_b32_e32 v2, v2, v6
	v_xor_b32_e32 v4, vcc_lo, v4
	v_lshlrev_b32_e32 v6, 28, v3
	v_and_b32_e32 v1, v1, v4
	v_cmp_gt_i64_e32 vcc, 0, v[5:6]
	v_not_b32_e32 v4, v6
	v_ashrrev_i32_e32 v4, 31, v4
	v_xor_b32_e32 v6, vcc_hi, v4
	v_and_b32_e32 v2, v2, v6
	v_xor_b32_e32 v4, vcc_lo, v4
	;; [unrolled: 8-line block ×5, first 2 shown]
	v_lshlrev_b32_e32 v6, 24, v3
	v_and_b32_e32 v1, v1, v4
	v_cmp_gt_i64_e32 vcc, 0, v[5:6]
	v_not_b32_e32 v4, v6
	v_ashrrev_i32_e32 v4, 31, v4
	v_xor_b32_e32 v6, vcc_hi, v4
	v_xor_b32_e32 v4, vcc_lo, v4
	v_lshlrev_b32_e32 v3, 5, v3
	v_and_b32_e32 v1, v1, v4
	v_and_b32_e32 v3, 0x1fe0, v3
	;; [unrolled: 1-line block ×3, first 2 shown]
	v_add_u32_e32 v6, v21, v3
	v_mbcnt_lo_u32_b32 v3, v1, 0
	v_mbcnt_hi_u32_b32 v23, v2, v3
	v_cmp_ne_u64_e32 vcc, 0, v[1:2]
	v_cmp_eq_u32_e64 s[28:29], 0, v23
	s_and_b64 s[38:39], vcc, s[28:29]
	s_waitcnt lgkmcnt(0)
	s_barrier
	; wave barrier
	s_and_saveexec_b64 s[28:29], s[38:39]
; %bb.5:                                ;   in Loop: Header=BB136_4 Depth=2
	v_bcnt_u32_b32 v1, v1, 0
	v_bcnt_u32_b32 v1, v2, v1
	ds_write_b32 v6, v1 offset:32
; %bb.6:                                ;   in Loop: Header=BB136_4 Depth=2
	s_or_b64 exec, exec, s[28:29]
	; wave barrier
	s_waitcnt lgkmcnt(0)
	s_barrier
	ds_read2_b64 v[1:4], v15 offset0:4 offset1:5
	s_waitcnt lgkmcnt(0)
	v_add_u32_e32 v24, v2, v1
	v_add3_u32 v4, v24, v3, v4
	s_nop 1
	v_mov_b32_dpp v24, v4 row_shr:1 row_mask:0xf bank_mask:0xf
	v_cndmask_b32_e64 v24, v24, 0, s[10:11]
	v_add_u32_e32 v4, v24, v4
	s_nop 1
	v_mov_b32_dpp v24, v4 row_shr:2 row_mask:0xf bank_mask:0xf
	v_cndmask_b32_e64 v24, 0, v24, s[12:13]
	v_add_u32_e32 v4, v4, v24
	;; [unrolled: 4-line block ×4, first 2 shown]
	s_nop 1
	v_mov_b32_dpp v24, v4 row_bcast:15 row_mask:0xf bank_mask:0xf
	v_cndmask_b32_e64 v24, v24, 0, s[18:19]
	v_add_u32_e32 v4, v4, v24
	s_nop 1
	v_mov_b32_dpp v24, v4 row_bcast:31 row_mask:0xf bank_mask:0xf
	v_cndmask_b32_e64 v24, 0, v24, s[6:7]
	v_add_u32_e32 v4, v4, v24
	s_and_saveexec_b64 s[28:29], s[20:21]
; %bb.7:                                ;   in Loop: Header=BB136_4 Depth=2
	ds_write_b32 v16, v4
; %bb.8:                                ;   in Loop: Header=BB136_4 Depth=2
	s_or_b64 exec, exec, s[28:29]
	s_waitcnt lgkmcnt(0)
	s_barrier
	s_and_saveexec_b64 s[28:29], s[0:1]
	s_cbranch_execz .LBB136_10
; %bb.9:                                ;   in Loop: Header=BB136_4 Depth=2
	ds_read_b32 v24, v17
	s_waitcnt lgkmcnt(0)
	s_nop 0
	v_mov_b32_dpp v25, v24 row_shr:1 row_mask:0xf bank_mask:0xf
	v_cndmask_b32_e64 v25, v25, 0, s[22:23]
	v_add_u32_e32 v24, v25, v24
	s_nop 1
	v_mov_b32_dpp v25, v24 row_shr:2 row_mask:0xf bank_mask:0xf
	v_cndmask_b32_e64 v25, 0, v25, s[24:25]
	v_add_u32_e32 v24, v24, v25
	s_nop 1
	v_mov_b32_dpp v25, v24 row_shr:4 row_mask:0xf bank_mask:0xf
	v_cndmask_b32_e64 v25, 0, v25, s[26:27]
	v_add_u32_e32 v24, v24, v25
	ds_write_b32 v17, v24
.LBB136_10:                             ;   in Loop: Header=BB136_4 Depth=2
	s_or_b64 exec, exec, s[28:29]
	v_mov_b32_e32 v24, 0
	s_waitcnt lgkmcnt(0)
	s_barrier
	s_and_saveexec_b64 s[28:29], s[2:3]
; %bb.11:                               ;   in Loop: Header=BB136_4 Depth=2
	ds_read_b32 v24, v18
; %bb.12:                               ;   in Loop: Header=BB136_4 Depth=2
	s_or_b64 exec, exec, s[28:29]
	s_waitcnt lgkmcnt(0)
	v_add_u32_e32 v4, v24, v4
	ds_bpermute_b32 v4, v20, v4
	v_cmp_lt_u32_e32 vcc, 55, v11
	s_and_b64 vcc, exec, vcc
	s_mov_b64 s[28:29], -1
	s_waitcnt lgkmcnt(0)
	v_cndmask_b32_e64 v4, v4, v24, s[8:9]
	v_cndmask_b32_e64 v24, v4, 0, s[4:5]
	v_add_u32_e32 v25, v24, v1
	v_add_u32_e32 v1, v25, v2
	;; [unrolled: 1-line block ×3, first 2 shown]
	ds_write2_b64 v15, v[24:25], v[1:2] offset0:4 offset1:5
	s_waitcnt lgkmcnt(0)
	s_barrier
	ds_read_b32 v1, v6 offset:32
                                        ; implicit-def: $vgpr3_vgpr4
	s_waitcnt lgkmcnt(0)
	v_add_u32_e32 v1, v1, v23
	s_cbranch_vccnz .LBB136_3
; %bb.13:                               ;   in Loop: Header=BB136_4 Depth=2
	v_lshlrev_b32_e32 v2, 3, v1
	s_barrier
	ds_write_b64 v2, v[13:14]
	s_waitcnt lgkmcnt(0)
	s_barrier
	ds_read_b64 v[3:4], v19
	v_add_co_u32_e32 v11, vcc, 8, v11
	v_addc_co_u32_e32 v12, vcc, 0, v12, vcc
	s_mov_b64 s[28:29], 0
	s_waitcnt lgkmcnt(0)
	s_barrier
	s_branch .LBB136_3
.LBB136_14:
	s_add_u32 s0, s30, s34
	s_waitcnt lgkmcnt(0)
	v_xor_b32_e32 v4, 0x80000000, v4
	s_addc_u32 s1, s31, s35
	v_lshlrev_b32_e32 v0, 3, v0
	global_store_dwordx2 v0, v[3:4], s[0:1]
	s_endpgm
	.section	.rodata,"a",@progbits
	.p2align	6, 0x0
	.amdhsa_kernel _Z16sort_keys_kernelI22helper_blocked_blockedxLj512ELj1ELj10EEvPKT0_PS1_
		.amdhsa_group_segment_fixed_size 8224
		.amdhsa_private_segment_fixed_size 0
		.amdhsa_kernarg_size 272
		.amdhsa_user_sgpr_count 6
		.amdhsa_user_sgpr_private_segment_buffer 1
		.amdhsa_user_sgpr_dispatch_ptr 0
		.amdhsa_user_sgpr_queue_ptr 0
		.amdhsa_user_sgpr_kernarg_segment_ptr 1
		.amdhsa_user_sgpr_dispatch_id 0
		.amdhsa_user_sgpr_flat_scratch_init 0
		.amdhsa_user_sgpr_private_segment_size 0
		.amdhsa_uses_dynamic_stack 0
		.amdhsa_system_sgpr_private_segment_wavefront_offset 0
		.amdhsa_system_sgpr_workgroup_id_x 1
		.amdhsa_system_sgpr_workgroup_id_y 0
		.amdhsa_system_sgpr_workgroup_id_z 0
		.amdhsa_system_sgpr_workgroup_info 0
		.amdhsa_system_vgpr_workitem_id 2
		.amdhsa_next_free_vgpr 26
		.amdhsa_next_free_sgpr 40
		.amdhsa_reserve_vcc 1
		.amdhsa_reserve_flat_scratch 0
		.amdhsa_float_round_mode_32 0
		.amdhsa_float_round_mode_16_64 0
		.amdhsa_float_denorm_mode_32 3
		.amdhsa_float_denorm_mode_16_64 3
		.amdhsa_dx10_clamp 1
		.amdhsa_ieee_mode 1
		.amdhsa_fp16_overflow 0
		.amdhsa_exception_fp_ieee_invalid_op 0
		.amdhsa_exception_fp_denorm_src 0
		.amdhsa_exception_fp_ieee_div_zero 0
		.amdhsa_exception_fp_ieee_overflow 0
		.amdhsa_exception_fp_ieee_underflow 0
		.amdhsa_exception_fp_ieee_inexact 0
		.amdhsa_exception_int_div_zero 0
	.end_amdhsa_kernel
	.section	.text._Z16sort_keys_kernelI22helper_blocked_blockedxLj512ELj1ELj10EEvPKT0_PS1_,"axG",@progbits,_Z16sort_keys_kernelI22helper_blocked_blockedxLj512ELj1ELj10EEvPKT0_PS1_,comdat
.Lfunc_end136:
	.size	_Z16sort_keys_kernelI22helper_blocked_blockedxLj512ELj1ELj10EEvPKT0_PS1_, .Lfunc_end136-_Z16sort_keys_kernelI22helper_blocked_blockedxLj512ELj1ELj10EEvPKT0_PS1_
                                        ; -- End function
	.set _Z16sort_keys_kernelI22helper_blocked_blockedxLj512ELj1ELj10EEvPKT0_PS1_.num_vgpr, 26
	.set _Z16sort_keys_kernelI22helper_blocked_blockedxLj512ELj1ELj10EEvPKT0_PS1_.num_agpr, 0
	.set _Z16sort_keys_kernelI22helper_blocked_blockedxLj512ELj1ELj10EEvPKT0_PS1_.numbered_sgpr, 40
	.set _Z16sort_keys_kernelI22helper_blocked_blockedxLj512ELj1ELj10EEvPKT0_PS1_.num_named_barrier, 0
	.set _Z16sort_keys_kernelI22helper_blocked_blockedxLj512ELj1ELj10EEvPKT0_PS1_.private_seg_size, 0
	.set _Z16sort_keys_kernelI22helper_blocked_blockedxLj512ELj1ELj10EEvPKT0_PS1_.uses_vcc, 1
	.set _Z16sort_keys_kernelI22helper_blocked_blockedxLj512ELj1ELj10EEvPKT0_PS1_.uses_flat_scratch, 0
	.set _Z16sort_keys_kernelI22helper_blocked_blockedxLj512ELj1ELj10EEvPKT0_PS1_.has_dyn_sized_stack, 0
	.set _Z16sort_keys_kernelI22helper_blocked_blockedxLj512ELj1ELj10EEvPKT0_PS1_.has_recursion, 0
	.set _Z16sort_keys_kernelI22helper_blocked_blockedxLj512ELj1ELj10EEvPKT0_PS1_.has_indirect_call, 0
	.section	.AMDGPU.csdata,"",@progbits
; Kernel info:
; codeLenInByte = 1320
; TotalNumSgprs: 44
; NumVgprs: 26
; ScratchSize: 0
; MemoryBound: 0
; FloatMode: 240
; IeeeMode: 1
; LDSByteSize: 8224 bytes/workgroup (compile time only)
; SGPRBlocks: 5
; VGPRBlocks: 6
; NumSGPRsForWavesPerEU: 44
; NumVGPRsForWavesPerEU: 26
; Occupancy: 9
; WaveLimiterHint : 0
; COMPUTE_PGM_RSRC2:SCRATCH_EN: 0
; COMPUTE_PGM_RSRC2:USER_SGPR: 6
; COMPUTE_PGM_RSRC2:TRAP_HANDLER: 0
; COMPUTE_PGM_RSRC2:TGID_X_EN: 1
; COMPUTE_PGM_RSRC2:TGID_Y_EN: 0
; COMPUTE_PGM_RSRC2:TGID_Z_EN: 0
; COMPUTE_PGM_RSRC2:TIDIG_COMP_CNT: 2
	.section	.text._Z17sort_pairs_kernelI22helper_blocked_blockedxLj512ELj1ELj10EEvPKT0_PS1_,"axG",@progbits,_Z17sort_pairs_kernelI22helper_blocked_blockedxLj512ELj1ELj10EEvPKT0_PS1_,comdat
	.protected	_Z17sort_pairs_kernelI22helper_blocked_blockedxLj512ELj1ELj10EEvPKT0_PS1_ ; -- Begin function _Z17sort_pairs_kernelI22helper_blocked_blockedxLj512ELj1ELj10EEvPKT0_PS1_
	.globl	_Z17sort_pairs_kernelI22helper_blocked_blockedxLj512ELj1ELj10EEvPKT0_PS1_
	.p2align	8
	.type	_Z17sort_pairs_kernelI22helper_blocked_blockedxLj512ELj1ELj10EEvPKT0_PS1_,@function
_Z17sort_pairs_kernelI22helper_blocked_blockedxLj512ELj1ELj10EEvPKT0_PS1_: ; @_Z17sort_pairs_kernelI22helper_blocked_blockedxLj512ELj1ELj10EEvPKT0_PS1_
; %bb.0:
	s_load_dwordx4 s[28:31], s[4:5], 0x0
	s_load_dword s33, s[4:5], 0x1c
	s_lshl_b32 s36, s6, 9
	s_mov_b32 s37, 0
	s_lshl_b64 s[34:35], s[36:37], 3
	s_waitcnt lgkmcnt(0)
	s_add_u32 s0, s28, s34
	s_addc_u32 s1, s29, s35
	v_lshlrev_b32_e32 v3, 3, v0
	global_load_dwordx2 v[3:4], v3, s[0:1]
	s_lshr_b32 s28, s33, 16
	s_and_b32 s29, s33, 0xffff
	v_mad_u32_u24 v1, v2, s28, v1
	v_mad_u64_u32 v[1:2], s[28:29], v1, s29, v[0:1]
	v_mbcnt_lo_u32_b32 v6, -1, 0
	v_mbcnt_hi_u32_b32 v6, -1, v6
	v_and_b32_e32 v7, 0x1c0, v0
	v_lshrrev_b32_e32 v8, 4, v0
	s_mov_b32 s20, s37
	v_subrev_co_u32_e64 v13, s[8:9], 1, v6
	v_and_b32_e32 v14, 64, v6
	v_lshlrev_b32_e32 v17, 4, v0
	s_mov_b32 s21, s37
	v_and_b32_e32 v9, 15, v6
	v_and_b32_e32 v10, 16, v6
	v_or_b32_e32 v12, 63, v7
	v_and_b32_e32 v18, 28, v8
	v_lshlrev_b32_e32 v16, 3, v7
	s_mov_b32 s36, s37
	v_mov_b32_e32 v7, s20
	v_cmp_lt_i32_e32 vcc, v13, v14
	v_lshrrev_b32_e32 v1, 4, v1
	v_lshlrev_b32_e32 v11, 2, v0
	v_mad_i32_i24 v19, v0, -12, v17
	v_and_b32_e32 v15, 7, v6
	v_cmp_eq_u32_e64 s[10:11], 0, v9
	v_cmp_lt_u32_e64 s[12:13], 1, v9
	v_cmp_lt_u32_e64 s[14:15], 3, v9
	;; [unrolled: 1-line block ×3, first 2 shown]
	v_cmp_eq_u32_e64 s[18:19], 0, v10
	v_mov_b32_e32 v8, s21
	v_cmp_eq_u32_e64 s[20:21], v0, v12
	v_cndmask_b32_e32 v12, v13, v6, vcc
	v_mov_b32_e32 v9, s36
	v_and_b32_e32 v22, 0xffffffc, v1
	v_mov_b32_e32 v5, 0
	v_cmp_gt_u32_e64 s[0:1], 8, v0
	v_cmp_lt_u32_e64 s[2:3], 63, v0
	v_cmp_eq_u32_e64 s[4:5], 0, v0
	v_cmp_lt_u32_e64 s[6:7], 31, v6
	v_cmp_eq_u32_e64 s[22:23], 0, v15
	v_cmp_lt_u32_e64 s[24:25], 1, v15
	v_cmp_lt_u32_e64 s[26:27], 3, v15
	v_lshl_add_u32 v20, v6, 3, v16
	v_mov_b32_e32 v10, s37
	v_lshlrev_b32_e32 v21, 2, v12
	v_add_u32_e32 v23, v19, v11
	s_waitcnt vmcnt(0)
	v_add_co_u32_e32 v1, vcc, 1, v3
	v_addc_co_u32_e32 v2, vcc, 0, v4, vcc
	v_xor_b32_e32 v4, 0x80000000, v4
	s_branch .LBB137_2
.LBB137_1:                              ;   in Loop: Header=BB137_2 Depth=1
	v_lshlrev_b32_e32 v1, 3, v6
	s_barrier
	ds_write_b64 v1, v[15:16]
	s_waitcnt lgkmcnt(0)
	s_barrier
	ds_read_b64 v[3:4], v23
	s_waitcnt lgkmcnt(0)
	s_barrier
	ds_write_b64 v1, v[11:12]
	s_waitcnt lgkmcnt(0)
	s_barrier
	ds_read_b64 v[1:2], v23
	s_add_i32 s37, s37, 1
	s_cmp_eq_u32 s37, 10
	s_cbranch_scc1 .LBB137_14
.LBB137_2:                              ; =>This Loop Header: Depth=1
                                        ;     Child Loop BB137_4 Depth 2
	v_mov_b32_e32 v13, 0
	v_mov_b32_e32 v14, 0
	s_branch .LBB137_4
.LBB137_3:                              ;   in Loop: Header=BB137_4 Depth=2
	s_andn2_b64 vcc, exec, s[28:29]
	s_cbranch_vccz .LBB137_1
.LBB137_4:                              ;   Parent Loop BB137_2 Depth=1
                                        ; =>  This Inner Loop Header: Depth=2
	v_mov_b32_e32 v16, v4
	s_waitcnt lgkmcnt(0)
	v_mov_b32_e32 v12, v2
	v_mov_b32_e32 v15, v3
	;; [unrolled: 1-line block ×3, first 2 shown]
	v_lshrrev_b64 v[1:2], v13, v[15:16]
	ds_write2_b64 v17, v[9:10], v[7:8] offset0:4 offset1:5
	v_and_b32_e32 v2, 1, v1
	v_add_co_u32_e32 v3, vcc, -1, v2
	v_addc_co_u32_e64 v4, s[28:29], 0, -1, vcc
	v_cmp_ne_u32_e32 vcc, 0, v2
	v_lshlrev_b32_e32 v6, 30, v1
	v_xor_b32_e32 v2, vcc_hi, v4
	v_xor_b32_e32 v3, vcc_lo, v3
	v_cmp_gt_i64_e32 vcc, 0, v[5:6]
	v_not_b32_e32 v4, v6
	v_ashrrev_i32_e32 v4, 31, v4
	v_and_b32_e32 v2, exec_hi, v2
	v_xor_b32_e32 v6, vcc_hi, v4
	v_and_b32_e32 v3, exec_lo, v3
	v_xor_b32_e32 v4, vcc_lo, v4
	v_and_b32_e32 v2, v2, v6
	v_lshlrev_b32_e32 v6, 29, v1
	v_and_b32_e32 v3, v3, v4
	v_cmp_gt_i64_e32 vcc, 0, v[5:6]
	v_not_b32_e32 v4, v6
	v_ashrrev_i32_e32 v4, 31, v4
	v_xor_b32_e32 v6, vcc_hi, v4
	v_xor_b32_e32 v4, vcc_lo, v4
	v_and_b32_e32 v2, v2, v6
	v_lshlrev_b32_e32 v6, 28, v1
	v_and_b32_e32 v3, v3, v4
	v_cmp_gt_i64_e32 vcc, 0, v[5:6]
	v_not_b32_e32 v4, v6
	v_ashrrev_i32_e32 v4, 31, v4
	v_xor_b32_e32 v6, vcc_hi, v4
	;; [unrolled: 8-line block ×5, first 2 shown]
	v_and_b32_e32 v2, v2, v6
	v_lshlrev_b32_e32 v6, 5, v1
	v_and_b32_e32 v6, 0x1fe0, v6
	v_add_u32_e32 v24, v22, v6
	v_lshlrev_b32_e32 v6, 24, v1
	v_xor_b32_e32 v4, vcc_lo, v4
	v_cmp_gt_i64_e32 vcc, 0, v[5:6]
	v_not_b32_e32 v1, v6
	v_ashrrev_i32_e32 v1, 31, v1
	v_and_b32_e32 v3, v3, v4
	v_xor_b32_e32 v4, vcc_hi, v1
	v_xor_b32_e32 v1, vcc_lo, v1
	v_and_b32_e32 v1, v3, v1
	v_and_b32_e32 v2, v2, v4
	v_mbcnt_lo_u32_b32 v3, v1, 0
	v_mbcnt_hi_u32_b32 v6, v2, v3
	v_cmp_ne_u64_e32 vcc, 0, v[1:2]
	v_cmp_eq_u32_e64 s[28:29], 0, v6
	s_and_b64 s[38:39], vcc, s[28:29]
	s_waitcnt lgkmcnt(0)
	s_barrier
	; wave barrier
	s_and_saveexec_b64 s[28:29], s[38:39]
; %bb.5:                                ;   in Loop: Header=BB137_4 Depth=2
	v_bcnt_u32_b32 v1, v1, 0
	v_bcnt_u32_b32 v1, v2, v1
	ds_write_b32 v24, v1 offset:32
; %bb.6:                                ;   in Loop: Header=BB137_4 Depth=2
	s_or_b64 exec, exec, s[28:29]
	; wave barrier
	s_waitcnt lgkmcnt(0)
	s_barrier
	ds_read2_b64 v[1:4], v17 offset0:4 offset1:5
	s_waitcnt lgkmcnt(0)
	v_add_u32_e32 v25, v2, v1
	v_add3_u32 v4, v25, v3, v4
	s_nop 1
	v_mov_b32_dpp v25, v4 row_shr:1 row_mask:0xf bank_mask:0xf
	v_cndmask_b32_e64 v25, v25, 0, s[10:11]
	v_add_u32_e32 v4, v25, v4
	s_nop 1
	v_mov_b32_dpp v25, v4 row_shr:2 row_mask:0xf bank_mask:0xf
	v_cndmask_b32_e64 v25, 0, v25, s[12:13]
	v_add_u32_e32 v4, v4, v25
	;; [unrolled: 4-line block ×4, first 2 shown]
	s_nop 1
	v_mov_b32_dpp v25, v4 row_bcast:15 row_mask:0xf bank_mask:0xf
	v_cndmask_b32_e64 v25, v25, 0, s[18:19]
	v_add_u32_e32 v4, v4, v25
	s_nop 1
	v_mov_b32_dpp v25, v4 row_bcast:31 row_mask:0xf bank_mask:0xf
	v_cndmask_b32_e64 v25, 0, v25, s[6:7]
	v_add_u32_e32 v4, v4, v25
	s_and_saveexec_b64 s[28:29], s[20:21]
; %bb.7:                                ;   in Loop: Header=BB137_4 Depth=2
	ds_write_b32 v18, v4
; %bb.8:                                ;   in Loop: Header=BB137_4 Depth=2
	s_or_b64 exec, exec, s[28:29]
	s_waitcnt lgkmcnt(0)
	s_barrier
	s_and_saveexec_b64 s[28:29], s[0:1]
	s_cbranch_execz .LBB137_10
; %bb.9:                                ;   in Loop: Header=BB137_4 Depth=2
	ds_read_b32 v25, v19
	s_waitcnt lgkmcnt(0)
	s_nop 0
	v_mov_b32_dpp v26, v25 row_shr:1 row_mask:0xf bank_mask:0xf
	v_cndmask_b32_e64 v26, v26, 0, s[22:23]
	v_add_u32_e32 v25, v26, v25
	s_nop 1
	v_mov_b32_dpp v26, v25 row_shr:2 row_mask:0xf bank_mask:0xf
	v_cndmask_b32_e64 v26, 0, v26, s[24:25]
	v_add_u32_e32 v25, v25, v26
	;; [unrolled: 4-line block ×3, first 2 shown]
	ds_write_b32 v19, v25
.LBB137_10:                             ;   in Loop: Header=BB137_4 Depth=2
	s_or_b64 exec, exec, s[28:29]
	v_mov_b32_e32 v25, 0
	s_waitcnt lgkmcnt(0)
	s_barrier
	s_and_saveexec_b64 s[28:29], s[2:3]
; %bb.11:                               ;   in Loop: Header=BB137_4 Depth=2
	v_add_u32_e32 v25, -4, v18
	ds_read_b32 v25, v25
; %bb.12:                               ;   in Loop: Header=BB137_4 Depth=2
	s_or_b64 exec, exec, s[28:29]
	s_waitcnt lgkmcnt(0)
	v_add_u32_e32 v4, v25, v4
	ds_bpermute_b32 v4, v21, v4
	v_cmp_lt_u32_e32 vcc, 55, v13
	s_and_b64 vcc, exec, vcc
	s_mov_b64 s[28:29], -1
	s_waitcnt lgkmcnt(0)
	v_cndmask_b32_e64 v4, v4, v25, s[8:9]
	v_cndmask_b32_e64 v25, v4, 0, s[4:5]
	v_add_u32_e32 v26, v25, v1
	v_add_u32_e32 v1, v26, v2
	;; [unrolled: 1-line block ×3, first 2 shown]
	ds_write2_b64 v17, v[25:26], v[1:2] offset0:4 offset1:5
	s_waitcnt lgkmcnt(0)
	s_barrier
	ds_read_b32 v1, v24 offset:32
                                        ; implicit-def: $vgpr3_vgpr4
	s_waitcnt lgkmcnt(0)
	v_add_u32_e32 v6, v1, v6
                                        ; implicit-def: $vgpr1_vgpr2
	s_cbranch_vccnz .LBB137_3
; %bb.13:                               ;   in Loop: Header=BB137_4 Depth=2
	v_lshlrev_b32_e32 v1, 3, v6
	s_barrier
	ds_write_b64 v1, v[15:16]
	s_waitcnt lgkmcnt(0)
	s_barrier
	ds_read_b64 v[3:4], v20
	s_waitcnt lgkmcnt(0)
	s_barrier
	ds_write_b64 v1, v[11:12]
	s_waitcnt lgkmcnt(0)
	s_barrier
	ds_read_b64 v[1:2], v20
	v_add_co_u32_e32 v13, vcc, 8, v13
	v_addc_co_u32_e32 v14, vcc, 0, v14, vcc
	s_mov_b64 s[28:29], 0
	s_waitcnt lgkmcnt(0)
	s_barrier
	s_branch .LBB137_3
.LBB137_14:
	s_waitcnt lgkmcnt(0)
	v_add_co_u32_e32 v1, vcc, v1, v3
	v_addc_co_u32_e32 v2, vcc, v2, v4, vcc
	s_add_u32 s0, s30, s34
	v_add_u32_e32 v2, 0x80000000, v2
	s_addc_u32 s1, s31, s35
	v_lshlrev_b32_e32 v0, 3, v0
	global_store_dwordx2 v0, v[1:2], s[0:1]
	s_endpgm
	.section	.rodata,"a",@progbits
	.p2align	6, 0x0
	.amdhsa_kernel _Z17sort_pairs_kernelI22helper_blocked_blockedxLj512ELj1ELj10EEvPKT0_PS1_
		.amdhsa_group_segment_fixed_size 8224
		.amdhsa_private_segment_fixed_size 0
		.amdhsa_kernarg_size 272
		.amdhsa_user_sgpr_count 6
		.amdhsa_user_sgpr_private_segment_buffer 1
		.amdhsa_user_sgpr_dispatch_ptr 0
		.amdhsa_user_sgpr_queue_ptr 0
		.amdhsa_user_sgpr_kernarg_segment_ptr 1
		.amdhsa_user_sgpr_dispatch_id 0
		.amdhsa_user_sgpr_flat_scratch_init 0
		.amdhsa_user_sgpr_private_segment_size 0
		.amdhsa_uses_dynamic_stack 0
		.amdhsa_system_sgpr_private_segment_wavefront_offset 0
		.amdhsa_system_sgpr_workgroup_id_x 1
		.amdhsa_system_sgpr_workgroup_id_y 0
		.amdhsa_system_sgpr_workgroup_id_z 0
		.amdhsa_system_sgpr_workgroup_info 0
		.amdhsa_system_vgpr_workitem_id 2
		.amdhsa_next_free_vgpr 27
		.amdhsa_next_free_sgpr 40
		.amdhsa_reserve_vcc 1
		.amdhsa_reserve_flat_scratch 0
		.amdhsa_float_round_mode_32 0
		.amdhsa_float_round_mode_16_64 0
		.amdhsa_float_denorm_mode_32 3
		.amdhsa_float_denorm_mode_16_64 3
		.amdhsa_dx10_clamp 1
		.amdhsa_ieee_mode 1
		.amdhsa_fp16_overflow 0
		.amdhsa_exception_fp_ieee_invalid_op 0
		.amdhsa_exception_fp_denorm_src 0
		.amdhsa_exception_fp_ieee_div_zero 0
		.amdhsa_exception_fp_ieee_overflow 0
		.amdhsa_exception_fp_ieee_underflow 0
		.amdhsa_exception_fp_ieee_inexact 0
		.amdhsa_exception_int_div_zero 0
	.end_amdhsa_kernel
	.section	.text._Z17sort_pairs_kernelI22helper_blocked_blockedxLj512ELj1ELj10EEvPKT0_PS1_,"axG",@progbits,_Z17sort_pairs_kernelI22helper_blocked_blockedxLj512ELj1ELj10EEvPKT0_PS1_,comdat
.Lfunc_end137:
	.size	_Z17sort_pairs_kernelI22helper_blocked_blockedxLj512ELj1ELj10EEvPKT0_PS1_, .Lfunc_end137-_Z17sort_pairs_kernelI22helper_blocked_blockedxLj512ELj1ELj10EEvPKT0_PS1_
                                        ; -- End function
	.set _Z17sort_pairs_kernelI22helper_blocked_blockedxLj512ELj1ELj10EEvPKT0_PS1_.num_vgpr, 27
	.set _Z17sort_pairs_kernelI22helper_blocked_blockedxLj512ELj1ELj10EEvPKT0_PS1_.num_agpr, 0
	.set _Z17sort_pairs_kernelI22helper_blocked_blockedxLj512ELj1ELj10EEvPKT0_PS1_.numbered_sgpr, 40
	.set _Z17sort_pairs_kernelI22helper_blocked_blockedxLj512ELj1ELj10EEvPKT0_PS1_.num_named_barrier, 0
	.set _Z17sort_pairs_kernelI22helper_blocked_blockedxLj512ELj1ELj10EEvPKT0_PS1_.private_seg_size, 0
	.set _Z17sort_pairs_kernelI22helper_blocked_blockedxLj512ELj1ELj10EEvPKT0_PS1_.uses_vcc, 1
	.set _Z17sort_pairs_kernelI22helper_blocked_blockedxLj512ELj1ELj10EEvPKT0_PS1_.uses_flat_scratch, 0
	.set _Z17sort_pairs_kernelI22helper_blocked_blockedxLj512ELj1ELj10EEvPKT0_PS1_.has_dyn_sized_stack, 0
	.set _Z17sort_pairs_kernelI22helper_blocked_blockedxLj512ELj1ELj10EEvPKT0_PS1_.has_recursion, 0
	.set _Z17sort_pairs_kernelI22helper_blocked_blockedxLj512ELj1ELj10EEvPKT0_PS1_.has_indirect_call, 0
	.section	.AMDGPU.csdata,"",@progbits
; Kernel info:
; codeLenInByte = 1400
; TotalNumSgprs: 44
; NumVgprs: 27
; ScratchSize: 0
; MemoryBound: 0
; FloatMode: 240
; IeeeMode: 1
; LDSByteSize: 8224 bytes/workgroup (compile time only)
; SGPRBlocks: 5
; VGPRBlocks: 6
; NumSGPRsForWavesPerEU: 44
; NumVGPRsForWavesPerEU: 27
; Occupancy: 9
; WaveLimiterHint : 0
; COMPUTE_PGM_RSRC2:SCRATCH_EN: 0
; COMPUTE_PGM_RSRC2:USER_SGPR: 6
; COMPUTE_PGM_RSRC2:TRAP_HANDLER: 0
; COMPUTE_PGM_RSRC2:TGID_X_EN: 1
; COMPUTE_PGM_RSRC2:TGID_Y_EN: 0
; COMPUTE_PGM_RSRC2:TGID_Z_EN: 0
; COMPUTE_PGM_RSRC2:TIDIG_COMP_CNT: 2
	.section	.text._Z16sort_keys_kernelI22helper_blocked_blockedxLj512ELj3ELj10EEvPKT0_PS1_,"axG",@progbits,_Z16sort_keys_kernelI22helper_blocked_blockedxLj512ELj3ELj10EEvPKT0_PS1_,comdat
	.protected	_Z16sort_keys_kernelI22helper_blocked_blockedxLj512ELj3ELj10EEvPKT0_PS1_ ; -- Begin function _Z16sort_keys_kernelI22helper_blocked_blockedxLj512ELj3ELj10EEvPKT0_PS1_
	.globl	_Z16sort_keys_kernelI22helper_blocked_blockedxLj512ELj3ELj10EEvPKT0_PS1_
	.p2align	8
	.type	_Z16sort_keys_kernelI22helper_blocked_blockedxLj512ELj3ELj10EEvPKT0_PS1_,@function
_Z16sort_keys_kernelI22helper_blocked_blockedxLj512ELj3ELj10EEvPKT0_PS1_: ; @_Z16sort_keys_kernelI22helper_blocked_blockedxLj512ELj3ELj10EEvPKT0_PS1_
; %bb.0:
	s_load_dwordx4 s[28:31], s[4:5], 0x0
	s_load_dword s2, s[4:5], 0x1c
	s_mul_i32 s34, s6, 0x600
	s_mov_b32 s35, 0
	s_lshl_b64 s[36:37], s[34:35], 3
	s_waitcnt lgkmcnt(0)
	s_add_u32 s0, s28, s36
	s_addc_u32 s1, s29, s37
	v_lshlrev_b32_e32 v9, 3, v0
	v_mov_b32_e32 v3, s1
	v_add_co_u32_e32 v4, vcc, s0, v9
	v_addc_co_u32_e32 v3, vcc, 0, v3, vcc
	s_movk_i32 s3, 0x2000
	v_add_co_u32_e32 v7, vcc, s3, v4
	v_addc_co_u32_e32 v8, vcc, 0, v3, vcc
	global_load_dwordx2 v[3:4], v9, s[0:1]
	global_load_dwordx2 v[5:6], v[7:8], off offset:-4096
	global_load_dwordx2 v[13:14], v[7:8], off
	s_lshr_b32 s0, s2, 16
	v_mbcnt_lo_u32_b32 v8, -1, 0
	s_and_b32 s1, s2, 0xffff
	v_mad_u32_u24 v1, v2, s0, v1
	v_mbcnt_hi_u32_b32 v8, -1, v8
	v_mad_u64_u32 v[1:2], s[0:1], v1, s1, v[0:1]
	v_lshrrev_b32_e32 v9, 6, v0
	v_and_b32_e32 v2, 15, v8
	v_mul_u32_u24_e32 v10, 0xc0, v9
	v_cmp_eq_u32_e64 s[0:1], 0, v2
	v_cmp_lt_u32_e64 s[2:3], 1, v2
	v_cmp_lt_u32_e64 s[4:5], 3, v2
	;; [unrolled: 1-line block ×3, first 2 shown]
	v_and_b32_e32 v2, 16, v8
	v_lshlrev_b32_e32 v10, 3, v10
	v_lshlrev_b32_e32 v11, 3, v8
	v_cmp_eq_u32_e64 s[8:9], 0, v2
	v_and_b32_e32 v2, 0x1c0, v0
	v_mad_u32_u24 v21, v8, 24, v10
	v_add_u32_e32 v22, v11, v10
	v_or_b32_e32 v10, 63, v2
	v_cmp_eq_u32_e64 s[10:11], v0, v10
	v_subrev_co_u32_e64 v10, s[12:13], 1, v8
	v_and_b32_e32 v12, 64, v8
	v_cmp_lt_i32_e32 vcc, v10, v12
	v_lshlrev_b32_e32 v23, 4, v0
	v_cndmask_b32_e32 v10, v10, v8, vcc
	v_lshrrev_b32_e32 v1, 4, v1
	v_mul_u32_u24_e32 v2, 24, v2
	s_mov_b32 s34, s35
	s_mov_b32 s28, s35
	v_cmp_lt_u32_e64 s[14:15], 31, v8
	v_lshlrev_b32_e32 v24, 2, v10
	v_lshlrev_b32_e32 v25, 2, v9
	v_and_b32_e32 v8, 7, v8
	v_mad_i32_i24 v26, v0, -12, v23
	v_and_b32_e32 v28, 0xffffffc, v1
	v_add_u32_e32 v29, v11, v2
	v_mul_u32_u24_e32 v1, 20, v0
	s_mov_b32 s29, s35
	v_mov_b32_e32 v9, s34
	v_mov_b32_e32 v11, s28
	;; [unrolled: 1-line block ×3, first 2 shown]
	v_cmp_gt_u32_e64 s[16:17], 8, v0
	v_cmp_lt_u32_e64 s[18:19], 63, v0
	v_cmp_eq_u32_e64 s[20:21], 0, v0
	v_cmp_eq_u32_e64 s[22:23], 0, v8
	v_cmp_lt_u32_e64 s[24:25], 1, v8
	v_cmp_lt_u32_e64 s[26:27], 3, v8
	v_add_u32_e32 v27, -4, v25
	v_add_u32_e32 v30, v26, v1
	v_mov_b32_e32 v10, s35
	v_mov_b32_e32 v12, s29
	s_branch .LBB138_2
.LBB138_1:                              ;   in Loop: Header=BB138_2 Depth=1
	v_lshlrev_b32_e32 v1, 3, v32
	s_barrier
	ds_write_b64 v1, v[13:14]
	v_lshlrev_b32_e32 v1, 3, v31
	ds_write_b64 v1, v[15:16]
	v_lshlrev_b32_e32 v1, 3, v8
	ds_write_b64 v1, v[17:18]
	s_waitcnt lgkmcnt(0)
	s_barrier
	ds_read2_b64 v[3:6], v30 offset1:1
	ds_read_b64 v[13:14], v30 offset:16
	s_add_i32 s35, s35, 1
	s_cmp_eq_u32 s35, 10
	s_waitcnt lgkmcnt(1)
	v_xor_b32_e32 v4, 0x80000000, v4
	v_xor_b32_e32 v6, 0x80000000, v6
	s_waitcnt lgkmcnt(0)
	v_xor_b32_e32 v14, 0x80000000, v14
	s_cbranch_scc1 .LBB138_18
.LBB138_2:                              ; =>This Loop Header: Depth=1
                                        ;     Child Loop BB138_4 Depth 2
	s_waitcnt vmcnt(2)
	v_xor_b32_e32 v4, 0x80000000, v4
	s_waitcnt vmcnt(1)
	v_xor_b32_e32 v6, 0x80000000, v6
	;; [unrolled: 2-line block ×3, first 2 shown]
	ds_write2_b64 v21, v[3:4], v[5:6] offset1:1
	ds_write_b64 v21, v[13:14] offset:16
	; wave barrier
	ds_read2st64_b64 v[1:4], v22 offset1:1
	ds_read_b64 v[19:20], v22 offset:1024
	v_mov_b32_e32 v5, 0
	v_mov_b32_e32 v6, 0
	s_waitcnt lgkmcnt(0)
	s_barrier
	; wave barrier
	s_barrier
	s_branch .LBB138_4
.LBB138_3:                              ;   in Loop: Header=BB138_4 Depth=2
	s_andn2_b64 vcc, exec, s[28:29]
	s_cbranch_vccz .LBB138_1
.LBB138_4:                              ;   Parent Loop BB138_2 Depth=1
                                        ; =>  This Inner Loop Header: Depth=2
	v_mov_b32_e32 v14, v2
	v_mov_b32_e32 v13, v1
	v_lshrrev_b64 v[31:32], v5, v[13:14]
	v_mov_b32_e32 v16, v4
	v_and_b32_e32 v1, 1, v31
	v_cmp_ne_u32_e32 vcc, 0, v1
	v_add_co_u32_e64 v1, s[28:29], -1, v1
	v_addc_co_u32_e64 v2, s[28:29], 0, -1, s[28:29]
	v_lshlrev_b32_e32 v8, 30, v31
	v_mov_b32_e32 v15, v3
	v_cmp_gt_i64_e64 s[28:29], 0, v[7:8]
	v_not_b32_e32 v3, v8
	v_ashrrev_i32_e32 v3, 31, v3
	v_xor_b32_e32 v1, vcc_lo, v1
	v_xor_b32_e32 v4, s29, v3
	v_and_b32_e32 v1, exec_lo, v1
	v_xor_b32_e32 v3, s28, v3
	v_lshlrev_b32_e32 v8, 29, v31
	v_xor_b32_e32 v2, vcc_hi, v2
	v_and_b32_e32 v1, v1, v3
	v_cmp_gt_i64_e32 vcc, 0, v[7:8]
	v_not_b32_e32 v3, v8
	v_and_b32_e32 v2, exec_hi, v2
	v_ashrrev_i32_e32 v3, 31, v3
	v_and_b32_e32 v2, v2, v4
	v_xor_b32_e32 v4, vcc_hi, v3
	v_xor_b32_e32 v3, vcc_lo, v3
	v_lshlrev_b32_e32 v8, 28, v31
	v_and_b32_e32 v1, v1, v3
	v_cmp_gt_i64_e32 vcc, 0, v[7:8]
	v_not_b32_e32 v3, v8
	v_ashrrev_i32_e32 v3, 31, v3
	v_and_b32_e32 v2, v2, v4
	v_xor_b32_e32 v4, vcc_hi, v3
	v_xor_b32_e32 v3, vcc_lo, v3
	v_lshlrev_b32_e32 v8, 27, v31
	v_and_b32_e32 v1, v1, v3
	v_cmp_gt_i64_e32 vcc, 0, v[7:8]
	v_not_b32_e32 v3, v8
	v_ashrrev_i32_e32 v3, 31, v3
	v_and_b32_e32 v2, v2, v4
	v_xor_b32_e32 v4, vcc_hi, v3
	v_xor_b32_e32 v3, vcc_lo, v3
	v_lshlrev_b32_e32 v8, 26, v31
	v_and_b32_e32 v1, v1, v3
	v_cmp_gt_i64_e32 vcc, 0, v[7:8]
	v_not_b32_e32 v3, v8
	v_ashrrev_i32_e32 v3, 31, v3
	v_and_b32_e32 v2, v2, v4
	v_xor_b32_e32 v4, vcc_hi, v3
	v_xor_b32_e32 v3, vcc_lo, v3
	v_lshlrev_b32_e32 v8, 25, v31
	v_and_b32_e32 v1, v1, v3
	v_cmp_gt_i64_e32 vcc, 0, v[7:8]
	v_not_b32_e32 v3, v8
	v_ashrrev_i32_e32 v3, 31, v3
	v_and_b32_e32 v2, v2, v4
	v_xor_b32_e32 v4, vcc_hi, v3
	v_xor_b32_e32 v3, vcc_lo, v3
	v_lshlrev_b32_e32 v8, 24, v31
	v_and_b32_e32 v1, v1, v3
	v_cmp_gt_i64_e32 vcc, 0, v[7:8]
	v_not_b32_e32 v3, v8
	v_ashrrev_i32_e32 v3, 31, v3
	v_and_b32_e32 v2, v2, v4
	v_xor_b32_e32 v4, vcc_hi, v3
	v_xor_b32_e32 v3, vcc_lo, v3
	v_and_b32_e32 v1, v1, v3
	v_lshlrev_b32_e32 v3, 5, v31
	v_mov_b32_e32 v17, v19
	v_and_b32_e32 v3, 0x1fe0, v3
	v_and_b32_e32 v2, v2, v4
	v_mov_b32_e32 v18, v20
	v_add_u32_e32 v19, v28, v3
	v_mbcnt_lo_u32_b32 v3, v1, 0
	v_mbcnt_hi_u32_b32 v20, v2, v3
	v_cmp_ne_u64_e32 vcc, 0, v[1:2]
	v_cmp_eq_u32_e64 s[28:29], 0, v20
	s_and_b64 s[38:39], vcc, s[28:29]
	ds_write2_b64 v23, v[9:10], v[11:12] offset0:4 offset1:5
	s_waitcnt lgkmcnt(0)
	s_barrier
	; wave barrier
	s_and_saveexec_b64 s[28:29], s[38:39]
; %bb.5:                                ;   in Loop: Header=BB138_4 Depth=2
	v_bcnt_u32_b32 v1, v1, 0
	v_bcnt_u32_b32 v1, v2, v1
	ds_write_b32 v19, v1 offset:32
; %bb.6:                                ;   in Loop: Header=BB138_4 Depth=2
	s_or_b64 exec, exec, s[28:29]
	v_lshrrev_b64 v[1:2], v5, v[15:16]
	v_lshlrev_b32_e32 v2, 5, v1
	v_and_b32_e32 v2, 0x1fe0, v2
	v_add_u32_e32 v32, v28, v2
	v_and_b32_e32 v2, 1, v1
	v_add_co_u32_e32 v3, vcc, -1, v2
	v_addc_co_u32_e64 v4, s[28:29], 0, -1, vcc
	v_cmp_ne_u32_e32 vcc, 0, v2
	v_lshlrev_b32_e32 v8, 30, v1
	v_xor_b32_e32 v2, vcc_hi, v4
	v_xor_b32_e32 v3, vcc_lo, v3
	v_cmp_gt_i64_e32 vcc, 0, v[7:8]
	v_not_b32_e32 v4, v8
	v_ashrrev_i32_e32 v4, 31, v4
	v_and_b32_e32 v2, exec_hi, v2
	v_xor_b32_e32 v8, vcc_hi, v4
	v_and_b32_e32 v3, exec_lo, v3
	v_xor_b32_e32 v4, vcc_lo, v4
	v_and_b32_e32 v2, v2, v8
	v_lshlrev_b32_e32 v8, 29, v1
	v_and_b32_e32 v3, v3, v4
	v_cmp_gt_i64_e32 vcc, 0, v[7:8]
	v_not_b32_e32 v4, v8
	v_ashrrev_i32_e32 v4, 31, v4
	v_xor_b32_e32 v8, vcc_hi, v4
	v_xor_b32_e32 v4, vcc_lo, v4
	v_and_b32_e32 v2, v2, v8
	v_lshlrev_b32_e32 v8, 28, v1
	v_and_b32_e32 v3, v3, v4
	v_cmp_gt_i64_e32 vcc, 0, v[7:8]
	v_not_b32_e32 v4, v8
	v_ashrrev_i32_e32 v4, 31, v4
	v_xor_b32_e32 v8, vcc_hi, v4
	;; [unrolled: 8-line block ×5, first 2 shown]
	v_and_b32_e32 v2, v2, v8
	v_lshlrev_b32_e32 v8, 24, v1
	v_xor_b32_e32 v4, vcc_lo, v4
	v_cmp_gt_i64_e32 vcc, 0, v[7:8]
	v_not_b32_e32 v1, v8
	v_ashrrev_i32_e32 v1, 31, v1
	v_and_b32_e32 v3, v3, v4
	v_xor_b32_e32 v4, vcc_hi, v1
	v_xor_b32_e32 v1, vcc_lo, v1
	; wave barrier
	ds_read_b32 v31, v32 offset:32
	v_and_b32_e32 v1, v3, v1
	v_and_b32_e32 v2, v2, v4
	v_mbcnt_lo_u32_b32 v3, v1, 0
	v_mbcnt_hi_u32_b32 v33, v2, v3
	v_cmp_ne_u64_e32 vcc, 0, v[1:2]
	v_cmp_eq_u32_e64 s[28:29], 0, v33
	s_and_b64 s[38:39], vcc, s[28:29]
	; wave barrier
	s_and_saveexec_b64 s[28:29], s[38:39]
	s_cbranch_execz .LBB138_8
; %bb.7:                                ;   in Loop: Header=BB138_4 Depth=2
	v_bcnt_u32_b32 v1, v1, 0
	v_bcnt_u32_b32 v1, v2, v1
	s_waitcnt lgkmcnt(0)
	v_add_u32_e32 v1, v31, v1
	ds_write_b32 v32, v1 offset:32
.LBB138_8:                              ;   in Loop: Header=BB138_4 Depth=2
	s_or_b64 exec, exec, s[28:29]
	v_lshrrev_b64 v[1:2], v5, v[17:18]
	v_lshlrev_b32_e32 v2, 5, v1
	v_and_b32_e32 v2, 0x1fe0, v2
	v_add_u32_e32 v35, v28, v2
	v_and_b32_e32 v2, 1, v1
	v_add_co_u32_e32 v3, vcc, -1, v2
	v_addc_co_u32_e64 v4, s[28:29], 0, -1, vcc
	v_cmp_ne_u32_e32 vcc, 0, v2
	v_lshlrev_b32_e32 v8, 30, v1
	v_xor_b32_e32 v2, vcc_hi, v4
	v_xor_b32_e32 v3, vcc_lo, v3
	v_cmp_gt_i64_e32 vcc, 0, v[7:8]
	v_not_b32_e32 v4, v8
	v_ashrrev_i32_e32 v4, 31, v4
	v_and_b32_e32 v2, exec_hi, v2
	v_xor_b32_e32 v8, vcc_hi, v4
	v_and_b32_e32 v3, exec_lo, v3
	v_xor_b32_e32 v4, vcc_lo, v4
	v_and_b32_e32 v2, v2, v8
	v_lshlrev_b32_e32 v8, 29, v1
	v_and_b32_e32 v3, v3, v4
	v_cmp_gt_i64_e32 vcc, 0, v[7:8]
	v_not_b32_e32 v4, v8
	v_ashrrev_i32_e32 v4, 31, v4
	v_xor_b32_e32 v8, vcc_hi, v4
	v_xor_b32_e32 v4, vcc_lo, v4
	v_and_b32_e32 v2, v2, v8
	v_lshlrev_b32_e32 v8, 28, v1
	v_and_b32_e32 v3, v3, v4
	v_cmp_gt_i64_e32 vcc, 0, v[7:8]
	v_not_b32_e32 v4, v8
	v_ashrrev_i32_e32 v4, 31, v4
	v_xor_b32_e32 v8, vcc_hi, v4
	;; [unrolled: 8-line block ×5, first 2 shown]
	v_and_b32_e32 v2, v2, v8
	v_lshlrev_b32_e32 v8, 24, v1
	v_xor_b32_e32 v4, vcc_lo, v4
	v_cmp_gt_i64_e32 vcc, 0, v[7:8]
	v_not_b32_e32 v1, v8
	v_ashrrev_i32_e32 v1, 31, v1
	v_and_b32_e32 v3, v3, v4
	v_xor_b32_e32 v4, vcc_hi, v1
	v_xor_b32_e32 v1, vcc_lo, v1
	; wave barrier
	ds_read_b32 v34, v35 offset:32
	v_and_b32_e32 v1, v3, v1
	v_and_b32_e32 v2, v2, v4
	v_mbcnt_lo_u32_b32 v3, v1, 0
	v_mbcnt_hi_u32_b32 v8, v2, v3
	v_cmp_ne_u64_e32 vcc, 0, v[1:2]
	v_cmp_eq_u32_e64 s[28:29], 0, v8
	s_and_b64 s[38:39], vcc, s[28:29]
	; wave barrier
	s_and_saveexec_b64 s[28:29], s[38:39]
	s_cbranch_execz .LBB138_10
; %bb.9:                                ;   in Loop: Header=BB138_4 Depth=2
	v_bcnt_u32_b32 v1, v1, 0
	v_bcnt_u32_b32 v1, v2, v1
	s_waitcnt lgkmcnt(0)
	v_add_u32_e32 v1, v34, v1
	ds_write_b32 v35, v1 offset:32
.LBB138_10:                             ;   in Loop: Header=BB138_4 Depth=2
	s_or_b64 exec, exec, s[28:29]
	; wave barrier
	s_waitcnt lgkmcnt(0)
	s_barrier
	ds_read2_b64 v[1:4], v23 offset0:4 offset1:5
	s_waitcnt lgkmcnt(0)
	v_add_u32_e32 v36, v2, v1
	v_add3_u32 v4, v36, v3, v4
	s_nop 1
	v_mov_b32_dpp v36, v4 row_shr:1 row_mask:0xf bank_mask:0xf
	v_cndmask_b32_e64 v36, v36, 0, s[0:1]
	v_add_u32_e32 v4, v36, v4
	s_nop 1
	v_mov_b32_dpp v36, v4 row_shr:2 row_mask:0xf bank_mask:0xf
	v_cndmask_b32_e64 v36, 0, v36, s[2:3]
	v_add_u32_e32 v4, v4, v36
	s_nop 1
	v_mov_b32_dpp v36, v4 row_shr:4 row_mask:0xf bank_mask:0xf
	v_cndmask_b32_e64 v36, 0, v36, s[4:5]
	v_add_u32_e32 v4, v4, v36
	s_nop 1
	v_mov_b32_dpp v36, v4 row_shr:8 row_mask:0xf bank_mask:0xf
	v_cndmask_b32_e64 v36, 0, v36, s[6:7]
	v_add_u32_e32 v4, v4, v36
	s_nop 1
	v_mov_b32_dpp v36, v4 row_bcast:15 row_mask:0xf bank_mask:0xf
	v_cndmask_b32_e64 v36, v36, 0, s[8:9]
	v_add_u32_e32 v4, v4, v36
	s_nop 1
	v_mov_b32_dpp v36, v4 row_bcast:31 row_mask:0xf bank_mask:0xf
	v_cndmask_b32_e64 v36, 0, v36, s[14:15]
	v_add_u32_e32 v4, v4, v36
	s_and_saveexec_b64 s[28:29], s[10:11]
; %bb.11:                               ;   in Loop: Header=BB138_4 Depth=2
	ds_write_b32 v25, v4
; %bb.12:                               ;   in Loop: Header=BB138_4 Depth=2
	s_or_b64 exec, exec, s[28:29]
	s_waitcnt lgkmcnt(0)
	s_barrier
	s_and_saveexec_b64 s[28:29], s[16:17]
	s_cbranch_execz .LBB138_14
; %bb.13:                               ;   in Loop: Header=BB138_4 Depth=2
	ds_read_b32 v36, v26
	s_waitcnt lgkmcnt(0)
	s_nop 0
	v_mov_b32_dpp v37, v36 row_shr:1 row_mask:0xf bank_mask:0xf
	v_cndmask_b32_e64 v37, v37, 0, s[22:23]
	v_add_u32_e32 v36, v37, v36
	s_nop 1
	v_mov_b32_dpp v37, v36 row_shr:2 row_mask:0xf bank_mask:0xf
	v_cndmask_b32_e64 v37, 0, v37, s[24:25]
	v_add_u32_e32 v36, v36, v37
	;; [unrolled: 4-line block ×3, first 2 shown]
	ds_write_b32 v26, v36
.LBB138_14:                             ;   in Loop: Header=BB138_4 Depth=2
	s_or_b64 exec, exec, s[28:29]
	v_mov_b32_e32 v36, 0
	s_waitcnt lgkmcnt(0)
	s_barrier
	s_and_saveexec_b64 s[28:29], s[18:19]
; %bb.15:                               ;   in Loop: Header=BB138_4 Depth=2
	ds_read_b32 v36, v27
; %bb.16:                               ;   in Loop: Header=BB138_4 Depth=2
	s_or_b64 exec, exec, s[28:29]
	s_waitcnt lgkmcnt(0)
	v_add_u32_e32 v4, v36, v4
	ds_bpermute_b32 v4, v24, v4
	v_cmp_lt_u32_e32 vcc, 55, v5
	s_and_b64 vcc, exec, vcc
	s_mov_b64 s[28:29], -1
	s_waitcnt lgkmcnt(0)
	v_cndmask_b32_e64 v4, v4, v36, s[12:13]
	v_cndmask_b32_e64 v36, v4, 0, s[20:21]
	v_add_u32_e32 v37, v36, v1
	v_add_u32_e32 v1, v37, v2
	v_add_u32_e32 v2, v1, v3
	ds_write2_b64 v23, v[36:37], v[1:2] offset0:4 offset1:5
	s_waitcnt lgkmcnt(0)
	s_barrier
	ds_read_b32 v1, v19 offset:32
	ds_read_b32 v2, v32 offset:32
	;; [unrolled: 1-line block ×3, first 2 shown]
	s_waitcnt lgkmcnt(2)
	v_add_u32_e32 v32, v1, v20
	s_waitcnt lgkmcnt(1)
	v_add3_u32 v31, v33, v31, v2
	s_waitcnt lgkmcnt(0)
	v_add3_u32 v8, v8, v34, v3
                                        ; implicit-def: $vgpr19_vgpr20
                                        ; implicit-def: $vgpr3_vgpr4
	s_cbranch_vccnz .LBB138_3
; %bb.17:                               ;   in Loop: Header=BB138_4 Depth=2
	v_lshlrev_b32_e32 v1, 3, v32
	s_barrier
	ds_write_b64 v1, v[13:14]
	v_lshlrev_b32_e32 v1, 3, v31
	ds_write_b64 v1, v[15:16]
	v_lshlrev_b32_e32 v1, 3, v8
	ds_write_b64 v1, v[17:18]
	s_waitcnt lgkmcnt(0)
	s_barrier
	ds_read2st64_b64 v[1:4], v29 offset1:1
	ds_read_b64 v[19:20], v29 offset:1024
	v_add_co_u32_e32 v5, vcc, 8, v5
	v_addc_co_u32_e32 v6, vcc, 0, v6, vcc
	s_mov_b64 s[28:29], 0
	s_waitcnt lgkmcnt(0)
	s_barrier
	s_branch .LBB138_3
.LBB138_18:
	s_add_u32 s0, s30, s36
	s_addc_u32 s1, s31, s37
	v_lshlrev_b32_e32 v0, 3, v0
	v_mov_b32_e32 v1, s1
	v_add_co_u32_e32 v2, vcc, s0, v0
	v_addc_co_u32_e32 v7, vcc, 0, v1, vcc
	global_store_dwordx2 v0, v[3:4], s[0:1]
	v_add_co_u32_e32 v0, vcc, 0x1000, v2
	v_addc_co_u32_e32 v1, vcc, 0, v7, vcc
	global_store_dwordx2 v[0:1], v[5:6], off
	v_add_co_u32_e32 v0, vcc, 0x2000, v2
	v_addc_co_u32_e32 v1, vcc, 0, v7, vcc
	global_store_dwordx2 v[0:1], v[13:14], off
	s_endpgm
	.section	.rodata,"a",@progbits
	.p2align	6, 0x0
	.amdhsa_kernel _Z16sort_keys_kernelI22helper_blocked_blockedxLj512ELj3ELj10EEvPKT0_PS1_
		.amdhsa_group_segment_fixed_size 12288
		.amdhsa_private_segment_fixed_size 0
		.amdhsa_kernarg_size 272
		.amdhsa_user_sgpr_count 6
		.amdhsa_user_sgpr_private_segment_buffer 1
		.amdhsa_user_sgpr_dispatch_ptr 0
		.amdhsa_user_sgpr_queue_ptr 0
		.amdhsa_user_sgpr_kernarg_segment_ptr 1
		.amdhsa_user_sgpr_dispatch_id 0
		.amdhsa_user_sgpr_flat_scratch_init 0
		.amdhsa_user_sgpr_private_segment_size 0
		.amdhsa_uses_dynamic_stack 0
		.amdhsa_system_sgpr_private_segment_wavefront_offset 0
		.amdhsa_system_sgpr_workgroup_id_x 1
		.amdhsa_system_sgpr_workgroup_id_y 0
		.amdhsa_system_sgpr_workgroup_id_z 0
		.amdhsa_system_sgpr_workgroup_info 0
		.amdhsa_system_vgpr_workitem_id 2
		.amdhsa_next_free_vgpr 38
		.amdhsa_next_free_sgpr 40
		.amdhsa_reserve_vcc 1
		.amdhsa_reserve_flat_scratch 0
		.amdhsa_float_round_mode_32 0
		.amdhsa_float_round_mode_16_64 0
		.amdhsa_float_denorm_mode_32 3
		.amdhsa_float_denorm_mode_16_64 3
		.amdhsa_dx10_clamp 1
		.amdhsa_ieee_mode 1
		.amdhsa_fp16_overflow 0
		.amdhsa_exception_fp_ieee_invalid_op 0
		.amdhsa_exception_fp_denorm_src 0
		.amdhsa_exception_fp_ieee_div_zero 0
		.amdhsa_exception_fp_ieee_overflow 0
		.amdhsa_exception_fp_ieee_underflow 0
		.amdhsa_exception_fp_ieee_inexact 0
		.amdhsa_exception_int_div_zero 0
	.end_amdhsa_kernel
	.section	.text._Z16sort_keys_kernelI22helper_blocked_blockedxLj512ELj3ELj10EEvPKT0_PS1_,"axG",@progbits,_Z16sort_keys_kernelI22helper_blocked_blockedxLj512ELj3ELj10EEvPKT0_PS1_,comdat
.Lfunc_end138:
	.size	_Z16sort_keys_kernelI22helper_blocked_blockedxLj512ELj3ELj10EEvPKT0_PS1_, .Lfunc_end138-_Z16sort_keys_kernelI22helper_blocked_blockedxLj512ELj3ELj10EEvPKT0_PS1_
                                        ; -- End function
	.set _Z16sort_keys_kernelI22helper_blocked_blockedxLj512ELj3ELj10EEvPKT0_PS1_.num_vgpr, 38
	.set _Z16sort_keys_kernelI22helper_blocked_blockedxLj512ELj3ELj10EEvPKT0_PS1_.num_agpr, 0
	.set _Z16sort_keys_kernelI22helper_blocked_blockedxLj512ELj3ELj10EEvPKT0_PS1_.numbered_sgpr, 40
	.set _Z16sort_keys_kernelI22helper_blocked_blockedxLj512ELj3ELj10EEvPKT0_PS1_.num_named_barrier, 0
	.set _Z16sort_keys_kernelI22helper_blocked_blockedxLj512ELj3ELj10EEvPKT0_PS1_.private_seg_size, 0
	.set _Z16sort_keys_kernelI22helper_blocked_blockedxLj512ELj3ELj10EEvPKT0_PS1_.uses_vcc, 1
	.set _Z16sort_keys_kernelI22helper_blocked_blockedxLj512ELj3ELj10EEvPKT0_PS1_.uses_flat_scratch, 0
	.set _Z16sort_keys_kernelI22helper_blocked_blockedxLj512ELj3ELj10EEvPKT0_PS1_.has_dyn_sized_stack, 0
	.set _Z16sort_keys_kernelI22helper_blocked_blockedxLj512ELj3ELj10EEvPKT0_PS1_.has_recursion, 0
	.set _Z16sort_keys_kernelI22helper_blocked_blockedxLj512ELj3ELj10EEvPKT0_PS1_.has_indirect_call, 0
	.section	.AMDGPU.csdata,"",@progbits
; Kernel info:
; codeLenInByte = 2380
; TotalNumSgprs: 44
; NumVgprs: 38
; ScratchSize: 0
; MemoryBound: 0
; FloatMode: 240
; IeeeMode: 1
; LDSByteSize: 12288 bytes/workgroup (compile time only)
; SGPRBlocks: 5
; VGPRBlocks: 9
; NumSGPRsForWavesPerEU: 44
; NumVGPRsForWavesPerEU: 38
; Occupancy: 6
; WaveLimiterHint : 1
; COMPUTE_PGM_RSRC2:SCRATCH_EN: 0
; COMPUTE_PGM_RSRC2:USER_SGPR: 6
; COMPUTE_PGM_RSRC2:TRAP_HANDLER: 0
; COMPUTE_PGM_RSRC2:TGID_X_EN: 1
; COMPUTE_PGM_RSRC2:TGID_Y_EN: 0
; COMPUTE_PGM_RSRC2:TGID_Z_EN: 0
; COMPUTE_PGM_RSRC2:TIDIG_COMP_CNT: 2
	.section	.text._Z17sort_pairs_kernelI22helper_blocked_blockedxLj512ELj3ELj10EEvPKT0_PS1_,"axG",@progbits,_Z17sort_pairs_kernelI22helper_blocked_blockedxLj512ELj3ELj10EEvPKT0_PS1_,comdat
	.protected	_Z17sort_pairs_kernelI22helper_blocked_blockedxLj512ELj3ELj10EEvPKT0_PS1_ ; -- Begin function _Z17sort_pairs_kernelI22helper_blocked_blockedxLj512ELj3ELj10EEvPKT0_PS1_
	.globl	_Z17sort_pairs_kernelI22helper_blocked_blockedxLj512ELj3ELj10EEvPKT0_PS1_
	.p2align	8
	.type	_Z17sort_pairs_kernelI22helper_blocked_blockedxLj512ELj3ELj10EEvPKT0_PS1_,@function
_Z17sort_pairs_kernelI22helper_blocked_blockedxLj512ELj3ELj10EEvPKT0_PS1_: ; @_Z17sort_pairs_kernelI22helper_blocked_blockedxLj512ELj3ELj10EEvPKT0_PS1_
; %bb.0:
	s_load_dwordx4 s[28:31], s[4:5], 0x0
	s_load_dword s33, s[4:5], 0x1c
	s_mul_i32 s36, s6, 0x600
	s_mov_b32 s37, 0
	s_lshl_b64 s[34:35], s[36:37], 3
	s_waitcnt lgkmcnt(0)
	s_add_u32 s0, s28, s34
	s_addc_u32 s1, s29, s35
	v_lshlrev_b32_e32 v3, 3, v0
	v_mov_b32_e32 v4, s1
	v_add_co_u32_e32 v5, vcc, s0, v3
	v_addc_co_u32_e32 v6, vcc, 0, v4, vcc
	global_load_dwordx2 v[3:4], v3, s[0:1]
	s_movk_i32 s0, 0x2000
	v_add_co_u32_e32 v7, vcc, s0, v5
	v_addc_co_u32_e32 v8, vcc, 0, v6, vcc
	global_load_dwordx2 v[5:6], v[7:8], off offset:-4096
	global_load_dwordx2 v[21:22], v[7:8], off
	v_mbcnt_lo_u32_b32 v7, -1, 0
	v_mbcnt_hi_u32_b32 v7, -1, v7
	v_and_b32_e32 v13, 15, v7
	v_and_b32_e32 v14, 16, v7
	s_mov_b32 s36, s37
	v_lshrrev_b32_e32 v8, 6, v0
	v_cmp_eq_u32_e64 s[10:11], 0, v13
	v_cmp_lt_u32_e64 s[12:13], 1, v13
	v_cmp_lt_u32_e64 s[14:15], 3, v13
	;; [unrolled: 1-line block ×3, first 2 shown]
	v_cmp_eq_u32_e64 s[18:19], 0, v14
	v_mov_b32_e32 v13, s36
	v_and_b32_e32 v9, 0x1c0, v0
	v_mul_u32_u24_e32 v12, 0xc0, v8
	v_subrev_co_u32_e64 v17, s[8:9], 1, v7
	v_and_b32_e32 v18, 64, v7
	v_mov_b32_e32 v14, s37
	s_lshr_b32 s36, s33, 16
	v_or_b32_e32 v16, 63, v9
	v_lshlrev_b32_e32 v12, 3, v12
	v_cmp_lt_i32_e32 vcc, v17, v18
	s_and_b32 s33, s33, 0xffff
	v_mad_u32_u24 v1, v2, s36, v1
	v_lshlrev_b32_e32 v15, 3, v7
	v_cmp_lt_u32_e64 s[6:7], 31, v7
	v_lshlrev_b32_e32 v34, 2, v8
	v_and_b32_e32 v8, 7, v7
	v_cmp_eq_u32_e64 s[20:21], v0, v16
	v_cndmask_b32_e32 v16, v17, v7, vcc
	v_mad_u64_u32 v[1:2], s[38:39], v1, s33, v[0:1]
	v_mad_u32_u24 v39, v7, 24, v12
	v_lshlrev_b32_e32 v33, 4, v0
	v_mul_u32_u24_e32 v9, 24, v9
	v_cmp_eq_u32_e64 s[22:23], 0, v8
	v_cmp_lt_u32_e64 s[24:25], 1, v8
	v_cmp_lt_u32_e64 s[26:27], 3, v8
	v_mul_u32_u24_e32 v10, 20, v0
	v_mad_i32_i24 v35, v0, -12, v33
	v_add_u32_e32 v36, v15, v9
	s_mov_b32 s28, s37
	v_add_u32_e32 v37, v35, v10
	s_mov_b32 s29, s37
	v_add_u32_e32 v40, v15, v12
	v_lshlrev_b32_e32 v41, 2, v16
	v_lshrrev_b32_e32 v1, 4, v1
	v_mov_b32_e32 v15, s28
	v_mov_b32_e32 v11, 0
	v_cmp_gt_u32_e64 s[0:1], 8, v0
	v_cmp_lt_u32_e64 s[2:3], 63, v0
	v_cmp_eq_u32_e64 s[4:5], 0, v0
	v_add_u32_e32 v38, -4, v34
	v_and_b32_e32 v42, 0xffffffc, v1
	v_mov_b32_e32 v16, s29
	s_waitcnt vmcnt(2)
	v_add_co_u32_e32 v7, vcc, 1, v3
	v_addc_co_u32_e32 v8, vcc, 0, v4, vcc
	s_waitcnt vmcnt(1)
	v_add_co_u32_e32 v9, vcc, 1, v5
	v_addc_co_u32_e32 v10, vcc, 0, v6, vcc
	;; [unrolled: 3-line block ×3, first 2 shown]
	s_branch .LBB139_2
.LBB139_1:                              ;   in Loop: Header=BB139_2 Depth=1
	v_lshlrev_b32_e32 v1, 3, v44
	v_lshlrev_b32_e32 v2, 3, v43
	;; [unrolled: 1-line block ×3, first 2 shown]
	s_barrier
	ds_write_b64 v1, v[27:28]
	ds_write_b64 v2, v[25:26]
	;; [unrolled: 1-line block ×3, first 2 shown]
	s_waitcnt lgkmcnt(0)
	s_barrier
	ds_read2_b64 v[3:6], v37 offset1:1
	ds_read_b64 v[21:22], v37 offset:16
	s_waitcnt lgkmcnt(0)
	s_barrier
	ds_write_b64 v1, v[19:20]
	ds_write_b64 v2, v[17:18]
	ds_write_b64 v7, v[9:10]
	s_waitcnt lgkmcnt(0)
	s_barrier
	ds_read2_b64 v[7:10], v37 offset1:1
	ds_read_b64 v[17:18], v37 offset:16
	s_add_i32 s37, s37, 1
	v_xor_b32_e32 v4, 0x80000000, v4
	v_xor_b32_e32 v6, 0x80000000, v6
	s_cmp_eq_u32 s37, 10
	v_xor_b32_e32 v22, 0x80000000, v22
	s_cbranch_scc1 .LBB139_18
.LBB139_2:                              ; =>This Loop Header: Depth=1
                                        ;     Child Loop BB139_4 Depth 2
	v_xor_b32_e32 v4, 0x80000000, v4
	v_xor_b32_e32 v6, 0x80000000, v6
	;; [unrolled: 1-line block ×3, first 2 shown]
	ds_write2_b64 v39, v[3:4], v[5:6] offset1:1
	ds_write_b64 v39, v[21:22] offset:16
	; wave barrier
	ds_read2st64_b64 v[1:4], v40 offset1:1
	ds_read_b64 v[29:30], v40 offset:1024
	; wave barrier
	s_waitcnt lgkmcnt(5)
	ds_write2_b64 v39, v[7:8], v[9:10] offset1:1
	s_waitcnt lgkmcnt(5)
	ds_write_b64 v39, v[17:18] offset:16
	; wave barrier
	ds_read2st64_b64 v[5:8], v40 offset1:1
	ds_read_b64 v[31:32], v40 offset:1024
	v_mov_b32_e32 v21, 0
	v_mov_b32_e32 v22, 0
	s_waitcnt lgkmcnt(0)
	s_barrier
	s_branch .LBB139_4
.LBB139_3:                              ;   in Loop: Header=BB139_4 Depth=2
	s_andn2_b64 vcc, exec, s[28:29]
	s_cbranch_vccz .LBB139_1
.LBB139_4:                              ;   Parent Loop BB139_2 Depth=1
                                        ; =>  This Inner Loop Header: Depth=2
	v_mov_b32_e32 v28, v2
	v_mov_b32_e32 v27, v1
	v_lshrrev_b64 v[1:2], v21, v[27:28]
	v_mov_b32_e32 v26, v4
	v_and_b32_e32 v2, 1, v1
	v_mov_b32_e32 v25, v3
	v_add_co_u32_e32 v3, vcc, -1, v2
	v_addc_co_u32_e64 v4, s[28:29], 0, -1, vcc
	v_cmp_ne_u32_e32 vcc, 0, v2
	v_lshlrev_b32_e32 v12, 30, v1
	v_xor_b32_e32 v2, vcc_hi, v4
	v_xor_b32_e32 v3, vcc_lo, v3
	v_cmp_gt_i64_e32 vcc, 0, v[11:12]
	v_not_b32_e32 v4, v12
	v_mov_b32_e32 v20, v6
	v_ashrrev_i32_e32 v4, 31, v4
	v_mov_b32_e32 v19, v5
	v_and_b32_e32 v3, exec_lo, v3
	v_xor_b32_e32 v5, vcc_hi, v4
	v_xor_b32_e32 v4, vcc_lo, v4
	v_lshlrev_b32_e32 v12, 29, v1
	v_and_b32_e32 v3, v3, v4
	v_cmp_gt_i64_e32 vcc, 0, v[11:12]
	v_not_b32_e32 v4, v12
	v_and_b32_e32 v2, exec_hi, v2
	v_ashrrev_i32_e32 v4, 31, v4
	v_and_b32_e32 v2, v2, v5
	v_xor_b32_e32 v5, vcc_hi, v4
	v_xor_b32_e32 v4, vcc_lo, v4
	v_lshlrev_b32_e32 v12, 28, v1
	v_and_b32_e32 v3, v3, v4
	v_cmp_gt_i64_e32 vcc, 0, v[11:12]
	v_not_b32_e32 v4, v12
	v_ashrrev_i32_e32 v4, 31, v4
	v_and_b32_e32 v2, v2, v5
	v_xor_b32_e32 v5, vcc_hi, v4
	v_xor_b32_e32 v4, vcc_lo, v4
	v_lshlrev_b32_e32 v12, 27, v1
	v_and_b32_e32 v3, v3, v4
	v_cmp_gt_i64_e32 vcc, 0, v[11:12]
	v_not_b32_e32 v4, v12
	;; [unrolled: 8-line block ×4, first 2 shown]
	v_ashrrev_i32_e32 v4, 31, v4
	v_and_b32_e32 v2, v2, v5
	v_xor_b32_e32 v5, vcc_hi, v4
	v_lshlrev_b32_e32 v12, 24, v1
	v_and_b32_e32 v2, v2, v5
	v_lshlrev_b32_e32 v5, 5, v1
	v_xor_b32_e32 v4, vcc_lo, v4
	v_cmp_gt_i64_e32 vcc, 0, v[11:12]
	v_not_b32_e32 v1, v12
	v_ashrrev_i32_e32 v1, 31, v1
	v_and_b32_e32 v3, v3, v4
	v_xor_b32_e32 v4, vcc_hi, v1
	v_xor_b32_e32 v1, vcc_lo, v1
	v_and_b32_e32 v1, v3, v1
	v_and_b32_e32 v2, v2, v4
	v_mbcnt_lo_u32_b32 v3, v1, 0
	v_mbcnt_hi_u32_b32 v6, v2, v3
	v_cmp_ne_u64_e32 vcc, 0, v[1:2]
	v_mov_b32_e32 v23, v29
	v_mov_b32_e32 v9, v31
	;; [unrolled: 1-line block ×3, first 2 shown]
	v_and_b32_e32 v5, 0x1fe0, v5
	v_cmp_eq_u32_e64 s[28:29], 0, v6
	v_mov_b32_e32 v24, v30
	v_mov_b32_e32 v10, v32
	;; [unrolled: 1-line block ×3, first 2 shown]
	v_add_u32_e32 v5, v42, v5
	s_and_b64 s[38:39], vcc, s[28:29]
	ds_write2_b64 v33, v[13:14], v[15:16] offset0:4 offset1:5
	s_waitcnt lgkmcnt(0)
	s_barrier
	; wave barrier
	s_and_saveexec_b64 s[28:29], s[38:39]
; %bb.5:                                ;   in Loop: Header=BB139_4 Depth=2
	v_bcnt_u32_b32 v1, v1, 0
	v_bcnt_u32_b32 v1, v2, v1
	ds_write_b32 v5, v1 offset:32
; %bb.6:                                ;   in Loop: Header=BB139_4 Depth=2
	s_or_b64 exec, exec, s[28:29]
	v_lshrrev_b64 v[1:2], v21, v[25:26]
	v_lshlrev_b32_e32 v2, 5, v1
	v_and_b32_e32 v2, 0x1fe0, v2
	v_add_u32_e32 v8, v42, v2
	v_and_b32_e32 v2, 1, v1
	v_add_co_u32_e32 v3, vcc, -1, v2
	v_addc_co_u32_e64 v4, s[28:29], 0, -1, vcc
	v_cmp_ne_u32_e32 vcc, 0, v2
	v_lshlrev_b32_e32 v12, 30, v1
	v_xor_b32_e32 v2, vcc_hi, v4
	v_xor_b32_e32 v3, vcc_lo, v3
	v_cmp_gt_i64_e32 vcc, 0, v[11:12]
	v_not_b32_e32 v4, v12
	v_ashrrev_i32_e32 v4, 31, v4
	v_and_b32_e32 v2, exec_hi, v2
	v_xor_b32_e32 v12, vcc_hi, v4
	v_and_b32_e32 v3, exec_lo, v3
	v_xor_b32_e32 v4, vcc_lo, v4
	v_and_b32_e32 v2, v2, v12
	v_lshlrev_b32_e32 v12, 29, v1
	v_and_b32_e32 v3, v3, v4
	v_cmp_gt_i64_e32 vcc, 0, v[11:12]
	v_not_b32_e32 v4, v12
	v_ashrrev_i32_e32 v4, 31, v4
	v_xor_b32_e32 v12, vcc_hi, v4
	v_xor_b32_e32 v4, vcc_lo, v4
	v_and_b32_e32 v2, v2, v12
	v_lshlrev_b32_e32 v12, 28, v1
	v_and_b32_e32 v3, v3, v4
	v_cmp_gt_i64_e32 vcc, 0, v[11:12]
	v_not_b32_e32 v4, v12
	v_ashrrev_i32_e32 v4, 31, v4
	v_xor_b32_e32 v12, vcc_hi, v4
	;; [unrolled: 8-line block ×5, first 2 shown]
	v_and_b32_e32 v2, v2, v12
	v_lshlrev_b32_e32 v12, 24, v1
	v_xor_b32_e32 v4, vcc_lo, v4
	v_cmp_gt_i64_e32 vcc, 0, v[11:12]
	v_not_b32_e32 v1, v12
	v_ashrrev_i32_e32 v1, 31, v1
	v_and_b32_e32 v3, v3, v4
	v_xor_b32_e32 v4, vcc_hi, v1
	v_xor_b32_e32 v1, vcc_lo, v1
	; wave barrier
	ds_read_b32 v7, v8 offset:32
	v_and_b32_e32 v1, v3, v1
	v_and_b32_e32 v2, v2, v4
	v_mbcnt_lo_u32_b32 v3, v1, 0
	v_mbcnt_hi_u32_b32 v29, v2, v3
	v_cmp_ne_u64_e32 vcc, 0, v[1:2]
	v_cmp_eq_u32_e64 s[28:29], 0, v29
	s_and_b64 s[38:39], vcc, s[28:29]
	; wave barrier
	s_and_saveexec_b64 s[28:29], s[38:39]
	s_cbranch_execz .LBB139_8
; %bb.7:                                ;   in Loop: Header=BB139_4 Depth=2
	v_bcnt_u32_b32 v1, v1, 0
	v_bcnt_u32_b32 v1, v2, v1
	s_waitcnt lgkmcnt(0)
	v_add_u32_e32 v1, v7, v1
	ds_write_b32 v8, v1 offset:32
.LBB139_8:                              ;   in Loop: Header=BB139_4 Depth=2
	s_or_b64 exec, exec, s[28:29]
	v_lshrrev_b64 v[1:2], v21, v[23:24]
	v_lshlrev_b32_e32 v2, 5, v1
	v_and_b32_e32 v2, 0x1fe0, v2
	v_add_u32_e32 v31, v42, v2
	v_and_b32_e32 v2, 1, v1
	v_add_co_u32_e32 v3, vcc, -1, v2
	v_addc_co_u32_e64 v4, s[28:29], 0, -1, vcc
	v_cmp_ne_u32_e32 vcc, 0, v2
	v_lshlrev_b32_e32 v12, 30, v1
	v_xor_b32_e32 v2, vcc_hi, v4
	v_xor_b32_e32 v3, vcc_lo, v3
	v_cmp_gt_i64_e32 vcc, 0, v[11:12]
	v_not_b32_e32 v4, v12
	v_ashrrev_i32_e32 v4, 31, v4
	v_and_b32_e32 v2, exec_hi, v2
	v_xor_b32_e32 v12, vcc_hi, v4
	v_and_b32_e32 v3, exec_lo, v3
	v_xor_b32_e32 v4, vcc_lo, v4
	v_and_b32_e32 v2, v2, v12
	v_lshlrev_b32_e32 v12, 29, v1
	v_and_b32_e32 v3, v3, v4
	v_cmp_gt_i64_e32 vcc, 0, v[11:12]
	v_not_b32_e32 v4, v12
	v_ashrrev_i32_e32 v4, 31, v4
	v_xor_b32_e32 v12, vcc_hi, v4
	v_xor_b32_e32 v4, vcc_lo, v4
	v_and_b32_e32 v2, v2, v12
	v_lshlrev_b32_e32 v12, 28, v1
	v_and_b32_e32 v3, v3, v4
	v_cmp_gt_i64_e32 vcc, 0, v[11:12]
	v_not_b32_e32 v4, v12
	v_ashrrev_i32_e32 v4, 31, v4
	v_xor_b32_e32 v12, vcc_hi, v4
	v_xor_b32_e32 v4, vcc_lo, v4
	v_and_b32_e32 v2, v2, v12
	v_lshlrev_b32_e32 v12, 27, v1
	v_and_b32_e32 v3, v3, v4
	v_cmp_gt_i64_e32 vcc, 0, v[11:12]
	v_not_b32_e32 v4, v12
	v_ashrrev_i32_e32 v4, 31, v4
	v_xor_b32_e32 v12, vcc_hi, v4
	v_xor_b32_e32 v4, vcc_lo, v4
	v_and_b32_e32 v2, v2, v12
	v_lshlrev_b32_e32 v12, 26, v1
	v_and_b32_e32 v3, v3, v4
	v_cmp_gt_i64_e32 vcc, 0, v[11:12]
	v_not_b32_e32 v4, v12
	v_ashrrev_i32_e32 v4, 31, v4
	v_xor_b32_e32 v12, vcc_hi, v4
	v_xor_b32_e32 v4, vcc_lo, v4
	v_and_b32_e32 v2, v2, v12
	v_lshlrev_b32_e32 v12, 25, v1
	v_and_b32_e32 v3, v3, v4
	v_cmp_gt_i64_e32 vcc, 0, v[11:12]
	v_not_b32_e32 v4, v12
	v_ashrrev_i32_e32 v4, 31, v4
	v_xor_b32_e32 v12, vcc_hi, v4
	v_and_b32_e32 v2, v2, v12
	v_lshlrev_b32_e32 v12, 24, v1
	v_xor_b32_e32 v4, vcc_lo, v4
	v_cmp_gt_i64_e32 vcc, 0, v[11:12]
	v_not_b32_e32 v1, v12
	v_ashrrev_i32_e32 v1, 31, v1
	v_and_b32_e32 v3, v3, v4
	v_xor_b32_e32 v4, vcc_hi, v1
	v_xor_b32_e32 v1, vcc_lo, v1
	; wave barrier
	ds_read_b32 v30, v31 offset:32
	v_and_b32_e32 v1, v3, v1
	v_and_b32_e32 v2, v2, v4
	v_mbcnt_lo_u32_b32 v3, v1, 0
	v_mbcnt_hi_u32_b32 v12, v2, v3
	v_cmp_ne_u64_e32 vcc, 0, v[1:2]
	v_cmp_eq_u32_e64 s[28:29], 0, v12
	s_and_b64 s[38:39], vcc, s[28:29]
	; wave barrier
	s_and_saveexec_b64 s[28:29], s[38:39]
	s_cbranch_execz .LBB139_10
; %bb.9:                                ;   in Loop: Header=BB139_4 Depth=2
	v_bcnt_u32_b32 v1, v1, 0
	v_bcnt_u32_b32 v1, v2, v1
	s_waitcnt lgkmcnt(0)
	v_add_u32_e32 v1, v30, v1
	ds_write_b32 v31, v1 offset:32
.LBB139_10:                             ;   in Loop: Header=BB139_4 Depth=2
	s_or_b64 exec, exec, s[28:29]
	; wave barrier
	s_waitcnt lgkmcnt(0)
	s_barrier
	ds_read2_b64 v[1:4], v33 offset0:4 offset1:5
	s_waitcnt lgkmcnt(0)
	v_add_u32_e32 v32, v2, v1
	v_add3_u32 v4, v32, v3, v4
	s_nop 1
	v_mov_b32_dpp v32, v4 row_shr:1 row_mask:0xf bank_mask:0xf
	v_cndmask_b32_e64 v32, v32, 0, s[10:11]
	v_add_u32_e32 v4, v32, v4
	s_nop 1
	v_mov_b32_dpp v32, v4 row_shr:2 row_mask:0xf bank_mask:0xf
	v_cndmask_b32_e64 v32, 0, v32, s[12:13]
	v_add_u32_e32 v4, v4, v32
	;; [unrolled: 4-line block ×4, first 2 shown]
	s_nop 1
	v_mov_b32_dpp v32, v4 row_bcast:15 row_mask:0xf bank_mask:0xf
	v_cndmask_b32_e64 v32, v32, 0, s[18:19]
	v_add_u32_e32 v4, v4, v32
	s_nop 1
	v_mov_b32_dpp v32, v4 row_bcast:31 row_mask:0xf bank_mask:0xf
	v_cndmask_b32_e64 v32, 0, v32, s[6:7]
	v_add_u32_e32 v4, v4, v32
	s_and_saveexec_b64 s[28:29], s[20:21]
; %bb.11:                               ;   in Loop: Header=BB139_4 Depth=2
	ds_write_b32 v34, v4
; %bb.12:                               ;   in Loop: Header=BB139_4 Depth=2
	s_or_b64 exec, exec, s[28:29]
	s_waitcnt lgkmcnt(0)
	s_barrier
	s_and_saveexec_b64 s[28:29], s[0:1]
	s_cbranch_execz .LBB139_14
; %bb.13:                               ;   in Loop: Header=BB139_4 Depth=2
	ds_read_b32 v32, v35
	s_waitcnt lgkmcnt(0)
	s_nop 0
	v_mov_b32_dpp v43, v32 row_shr:1 row_mask:0xf bank_mask:0xf
	v_cndmask_b32_e64 v43, v43, 0, s[22:23]
	v_add_u32_e32 v32, v43, v32
	s_nop 1
	v_mov_b32_dpp v43, v32 row_shr:2 row_mask:0xf bank_mask:0xf
	v_cndmask_b32_e64 v43, 0, v43, s[24:25]
	v_add_u32_e32 v32, v32, v43
	;; [unrolled: 4-line block ×3, first 2 shown]
	ds_write_b32 v35, v32
.LBB139_14:                             ;   in Loop: Header=BB139_4 Depth=2
	s_or_b64 exec, exec, s[28:29]
	v_mov_b32_e32 v32, 0
	s_waitcnt lgkmcnt(0)
	s_barrier
	s_and_saveexec_b64 s[28:29], s[2:3]
; %bb.15:                               ;   in Loop: Header=BB139_4 Depth=2
	ds_read_b32 v32, v38
; %bb.16:                               ;   in Loop: Header=BB139_4 Depth=2
	s_or_b64 exec, exec, s[28:29]
	s_waitcnt lgkmcnt(0)
	v_add_u32_e32 v4, v32, v4
	ds_bpermute_b32 v4, v41, v4
	v_cmp_lt_u32_e32 vcc, 55, v21
	s_and_b64 vcc, exec, vcc
	s_mov_b64 s[28:29], -1
	s_waitcnt lgkmcnt(0)
	v_cndmask_b32_e64 v4, v4, v32, s[8:9]
	v_cndmask_b32_e64 v43, v4, 0, s[4:5]
	v_add_u32_e32 v44, v43, v1
	v_add_u32_e32 v1, v44, v2
	;; [unrolled: 1-line block ×3, first 2 shown]
	ds_write2_b64 v33, v[43:44], v[1:2] offset0:4 offset1:5
	s_waitcnt lgkmcnt(0)
	s_barrier
	ds_read_b32 v1, v5 offset:32
	ds_read_b32 v2, v8 offset:32
	;; [unrolled: 1-line block ×3, first 2 shown]
                                        ; implicit-def: $vgpr31_vgpr32
	s_waitcnt lgkmcnt(2)
	v_add_u32_e32 v44, v1, v6
	s_waitcnt lgkmcnt(1)
	v_add3_u32 v43, v29, v7, v2
	s_waitcnt lgkmcnt(0)
	v_add3_u32 v12, v12, v30, v3
                                        ; implicit-def: $vgpr29_vgpr30
                                        ; implicit-def: $vgpr3_vgpr4
                                        ; implicit-def: $vgpr7_vgpr8
	s_cbranch_vccnz .LBB139_3
; %bb.17:                               ;   in Loop: Header=BB139_4 Depth=2
	v_lshlrev_b32_e32 v5, 3, v44
	v_lshlrev_b32_e32 v6, 3, v43
	;; [unrolled: 1-line block ×3, first 2 shown]
	s_barrier
	ds_write_b64 v5, v[27:28]
	ds_write_b64 v6, v[25:26]
	;; [unrolled: 1-line block ×3, first 2 shown]
	s_waitcnt lgkmcnt(0)
	s_barrier
	ds_read2st64_b64 v[1:4], v36 offset1:1
	ds_read_b64 v[29:30], v36 offset:1024
	s_waitcnt lgkmcnt(0)
	s_barrier
	ds_write_b64 v5, v[19:20]
	ds_write_b64 v6, v[17:18]
	;; [unrolled: 1-line block ×3, first 2 shown]
	s_waitcnt lgkmcnt(0)
	s_barrier
	ds_read2st64_b64 v[5:8], v36 offset1:1
	ds_read_b64 v[31:32], v36 offset:1024
	v_add_co_u32_e32 v21, vcc, 8, v21
	v_addc_co_u32_e32 v22, vcc, 0, v22, vcc
	s_mov_b64 s[28:29], 0
	s_waitcnt lgkmcnt(0)
	s_barrier
	s_branch .LBB139_3
.LBB139_18:
	s_waitcnt lgkmcnt(1)
	v_add_co_u32_e32 v1, vcc, v3, v7
	v_addc_co_u32_e32 v2, vcc, v4, v8, vcc
	v_add_co_u32_e32 v3, vcc, v5, v9
	v_addc_co_u32_e32 v4, vcc, v6, v10, vcc
	s_waitcnt lgkmcnt(0)
	v_add_co_u32_e32 v5, vcc, v21, v17
	s_add_u32 s0, s30, s34
	v_addc_co_u32_e32 v6, vcc, v22, v18, vcc
	s_addc_u32 s1, s31, s35
	v_lshlrev_b32_e32 v0, 3, v0
	v_mov_b32_e32 v7, s1
	v_add_co_u32_e32 v8, vcc, s0, v0
	v_addc_co_u32_e32 v7, vcc, 0, v7, vcc
	global_store_dwordx2 v0, v[1:2], s[0:1]
	v_add_co_u32_e32 v0, vcc, 0x1000, v8
	v_addc_co_u32_e32 v1, vcc, 0, v7, vcc
	global_store_dwordx2 v[0:1], v[3:4], off
	v_add_co_u32_e32 v0, vcc, 0x2000, v8
	v_addc_co_u32_e32 v1, vcc, 0, v7, vcc
	global_store_dwordx2 v[0:1], v[5:6], off
	s_endpgm
	.section	.rodata,"a",@progbits
	.p2align	6, 0x0
	.amdhsa_kernel _Z17sort_pairs_kernelI22helper_blocked_blockedxLj512ELj3ELj10EEvPKT0_PS1_
		.amdhsa_group_segment_fixed_size 12288
		.amdhsa_private_segment_fixed_size 0
		.amdhsa_kernarg_size 272
		.amdhsa_user_sgpr_count 6
		.amdhsa_user_sgpr_private_segment_buffer 1
		.amdhsa_user_sgpr_dispatch_ptr 0
		.amdhsa_user_sgpr_queue_ptr 0
		.amdhsa_user_sgpr_kernarg_segment_ptr 1
		.amdhsa_user_sgpr_dispatch_id 0
		.amdhsa_user_sgpr_flat_scratch_init 0
		.amdhsa_user_sgpr_private_segment_size 0
		.amdhsa_uses_dynamic_stack 0
		.amdhsa_system_sgpr_private_segment_wavefront_offset 0
		.amdhsa_system_sgpr_workgroup_id_x 1
		.amdhsa_system_sgpr_workgroup_id_y 0
		.amdhsa_system_sgpr_workgroup_id_z 0
		.amdhsa_system_sgpr_workgroup_info 0
		.amdhsa_system_vgpr_workitem_id 2
		.amdhsa_next_free_vgpr 45
		.amdhsa_next_free_sgpr 40
		.amdhsa_reserve_vcc 1
		.amdhsa_reserve_flat_scratch 0
		.amdhsa_float_round_mode_32 0
		.amdhsa_float_round_mode_16_64 0
		.amdhsa_float_denorm_mode_32 3
		.amdhsa_float_denorm_mode_16_64 3
		.amdhsa_dx10_clamp 1
		.amdhsa_ieee_mode 1
		.amdhsa_fp16_overflow 0
		.amdhsa_exception_fp_ieee_invalid_op 0
		.amdhsa_exception_fp_denorm_src 0
		.amdhsa_exception_fp_ieee_div_zero 0
		.amdhsa_exception_fp_ieee_overflow 0
		.amdhsa_exception_fp_ieee_underflow 0
		.amdhsa_exception_fp_ieee_inexact 0
		.amdhsa_exception_int_div_zero 0
	.end_amdhsa_kernel
	.section	.text._Z17sort_pairs_kernelI22helper_blocked_blockedxLj512ELj3ELj10EEvPKT0_PS1_,"axG",@progbits,_Z17sort_pairs_kernelI22helper_blocked_blockedxLj512ELj3ELj10EEvPKT0_PS1_,comdat
.Lfunc_end139:
	.size	_Z17sort_pairs_kernelI22helper_blocked_blockedxLj512ELj3ELj10EEvPKT0_PS1_, .Lfunc_end139-_Z17sort_pairs_kernelI22helper_blocked_blockedxLj512ELj3ELj10EEvPKT0_PS1_
                                        ; -- End function
	.set _Z17sort_pairs_kernelI22helper_blocked_blockedxLj512ELj3ELj10EEvPKT0_PS1_.num_vgpr, 45
	.set _Z17sort_pairs_kernelI22helper_blocked_blockedxLj512ELj3ELj10EEvPKT0_PS1_.num_agpr, 0
	.set _Z17sort_pairs_kernelI22helper_blocked_blockedxLj512ELj3ELj10EEvPKT0_PS1_.numbered_sgpr, 40
	.set _Z17sort_pairs_kernelI22helper_blocked_blockedxLj512ELj3ELj10EEvPKT0_PS1_.num_named_barrier, 0
	.set _Z17sort_pairs_kernelI22helper_blocked_blockedxLj512ELj3ELj10EEvPKT0_PS1_.private_seg_size, 0
	.set _Z17sort_pairs_kernelI22helper_blocked_blockedxLj512ELj3ELj10EEvPKT0_PS1_.uses_vcc, 1
	.set _Z17sort_pairs_kernelI22helper_blocked_blockedxLj512ELj3ELj10EEvPKT0_PS1_.uses_flat_scratch, 0
	.set _Z17sort_pairs_kernelI22helper_blocked_blockedxLj512ELj3ELj10EEvPKT0_PS1_.has_dyn_sized_stack, 0
	.set _Z17sort_pairs_kernelI22helper_blocked_blockedxLj512ELj3ELj10EEvPKT0_PS1_.has_recursion, 0
	.set _Z17sort_pairs_kernelI22helper_blocked_blockedxLj512ELj3ELj10EEvPKT0_PS1_.has_indirect_call, 0
	.section	.AMDGPU.csdata,"",@progbits
; Kernel info:
; codeLenInByte = 2592
; TotalNumSgprs: 44
; NumVgprs: 45
; ScratchSize: 0
; MemoryBound: 0
; FloatMode: 240
; IeeeMode: 1
; LDSByteSize: 12288 bytes/workgroup (compile time only)
; SGPRBlocks: 5
; VGPRBlocks: 11
; NumSGPRsForWavesPerEU: 44
; NumVGPRsForWavesPerEU: 45
; Occupancy: 5
; WaveLimiterHint : 1
; COMPUTE_PGM_RSRC2:SCRATCH_EN: 0
; COMPUTE_PGM_RSRC2:USER_SGPR: 6
; COMPUTE_PGM_RSRC2:TRAP_HANDLER: 0
; COMPUTE_PGM_RSRC2:TGID_X_EN: 1
; COMPUTE_PGM_RSRC2:TGID_Y_EN: 0
; COMPUTE_PGM_RSRC2:TGID_Z_EN: 0
; COMPUTE_PGM_RSRC2:TIDIG_COMP_CNT: 2
	.section	.text._Z16sort_keys_kernelI22helper_blocked_blockedxLj512ELj4ELj10EEvPKT0_PS1_,"axG",@progbits,_Z16sort_keys_kernelI22helper_blocked_blockedxLj512ELj4ELj10EEvPKT0_PS1_,comdat
	.protected	_Z16sort_keys_kernelI22helper_blocked_blockedxLj512ELj4ELj10EEvPKT0_PS1_ ; -- Begin function _Z16sort_keys_kernelI22helper_blocked_blockedxLj512ELj4ELj10EEvPKT0_PS1_
	.globl	_Z16sort_keys_kernelI22helper_blocked_blockedxLj512ELj4ELj10EEvPKT0_PS1_
	.p2align	8
	.type	_Z16sort_keys_kernelI22helper_blocked_blockedxLj512ELj4ELj10EEvPKT0_PS1_,@function
_Z16sort_keys_kernelI22helper_blocked_blockedxLj512ELj4ELj10EEvPKT0_PS1_: ; @_Z16sort_keys_kernelI22helper_blocked_blockedxLj512ELj4ELj10EEvPKT0_PS1_
; %bb.0:
	s_load_dwordx4 s[40:43], s[4:5], 0x0
	s_load_dword s8, s[4:5], 0x1c
	s_lshl_b32 s44, s6, 11
	s_mov_b32 s45, 0
	s_lshl_b64 s[46:47], s[44:45], 3
	s_waitcnt lgkmcnt(0)
	s_add_u32 s0, s40, s46
	s_addc_u32 s1, s41, s47
	v_lshlrev_b32_e32 v15, 3, v0
	v_mov_b32_e32 v3, s1
	v_add_co_u32_e32 v4, vcc, s0, v15
	v_addc_co_u32_e32 v3, vcc, 0, v3, vcc
	s_movk_i32 s2, 0x2000
	v_add_co_u32_e32 v11, vcc, s2, v4
	v_addc_co_u32_e32 v12, vcc, 0, v3, vcc
	s_movk_i32 s2, 0x3000
	v_add_co_u32_e32 v13, vcc, s2, v4
	v_addc_co_u32_e32 v14, vcc, 0, v3, vcc
	global_load_dwordx2 v[7:8], v15, s[0:1]
	global_load_dwordx2 v[9:10], v[11:12], off offset:-4096
	global_load_dwordx2 v[3:4], v[11:12], off
	global_load_dwordx2 v[5:6], v[13:14], off
	s_lshr_b32 s9, s8, 16
	v_mbcnt_lo_u32_b32 v11, -1, 0
	s_and_b32 s8, s8, 0xffff
	v_mad_u32_u24 v1, v2, s9, v1
	v_mbcnt_hi_u32_b32 v11, -1, v11
	v_mad_u64_u32 v[1:2], s[8:9], v1, s8, v[0:1]
	v_and_b32_e32 v2, 15, v11
	v_cmp_eq_u32_e64 s[8:9], 0, v2
	v_cmp_lt_u32_e64 s[10:11], 1, v2
	v_cmp_lt_u32_e64 s[12:13], 3, v2
	;; [unrolled: 1-line block ×3, first 2 shown]
	v_and_b32_e32 v2, 16, v11
	v_and_b32_e32 v13, 3, v11
	v_cmp_eq_u32_e64 s[16:17], 0, v2
	v_or_b32_e32 v2, 63, v0
	v_cmp_eq_u32_e64 s[0:1], 3, v13
	v_cmp_eq_u32_e64 s[2:3], 2, v13
	;; [unrolled: 1-line block ×4, first 2 shown]
	v_and_b32_e32 v13, 64, v11
	v_cmp_eq_u32_e64 s[20:21], v0, v2
	v_subrev_co_u32_e64 v2, s[26:27], 1, v11
	v_cmp_lt_i32_e32 vcc, v2, v13
	v_cndmask_b32_e32 v2, v2, v11, vcc
	v_lshlrev_b32_e32 v31, 2, v2
	v_lshrrev_b32_e32 v2, 4, v0
	v_lshrrev_b32_e32 v12, 2, v11
	v_and_b32_e32 v32, 28, v2
	v_and_b32_e32 v2, 7, v11
	v_or_b32_e32 v15, v12, v13
	v_add_u32_e32 v12, 48, v12
	v_lshlrev_b32_e32 v30, 4, v0
	v_cmp_eq_u32_e64 s[30:31], 0, v2
	v_cmp_lt_u32_e64 s[34:35], 1, v2
	v_cmp_lt_u32_e64 s[36:37], 3, v2
	v_lshlrev_b32_e32 v2, 5, v0
	v_lshrrev_b32_e32 v1, 4, v1
	s_mov_b32 s44, s45
	s_mov_b32 s38, s45
	v_lshlrev_b32_e32 v26, 2, v15
	v_and_or_b32 v12, v12, 63, v13
	v_mad_i32_i24 v33, v0, -12, v30
	v_and_b32_e32 v2, 0x3800, v2
	v_and_b32_e32 v36, 0xffffffc, v1
	v_mul_u32_u24_e32 v1, 28, v0
	s_mov_b32 s39, s45
	v_mov_b32_e32 v16, s44
	v_mov_b32_e32 v18, s38
	;; [unrolled: 1-line block ×3, first 2 shown]
	v_add_u32_e32 v27, 64, v26
	v_or_b32_e32 v28, 0x80, v26
	v_lshlrev_b32_e32 v29, 2, v12
	v_cmp_lt_u32_e64 s[18:19], 31, v11
	v_cmp_gt_u32_e64 s[22:23], 8, v0
	v_cmp_lt_u32_e64 s[24:25], 63, v0
	v_cmp_eq_u32_e64 s[28:29], 0, v0
	v_add_u32_e32 v34, -4, v32
	v_lshl_or_b32 v35, v11, 3, v2
	v_mov_b32_e32 v17, s45
	v_mov_b32_e32 v19, s39
	v_add_u32_e32 v37, v33, v1
	s_branch .LBB140_2
.LBB140_1:                              ;   in Loop: Header=BB140_2 Depth=1
	v_lshlrev_b32_e32 v1, 3, v42
	s_barrier
	ds_write_b64 v1, v[24:25]
	v_lshlrev_b32_e32 v1, 3, v39
	ds_write_b64 v1, v[22:23]
	v_lshlrev_b32_e32 v1, 3, v38
	;; [unrolled: 2-line block ×3, first 2 shown]
	ds_write_b64 v1, v[5:6]
	s_waitcnt lgkmcnt(0)
	s_barrier
	ds_read2_b64 v[7:10], v37 offset1:1
	ds_read2_b64 v[3:6], v37 offset0:2 offset1:3
	s_add_i32 s45, s45, 1
	s_cmp_eq_u32 s45, 10
	s_waitcnt lgkmcnt(1)
	v_xor_b32_e32 v8, 0x80000000, v8
	v_xor_b32_e32 v10, 0x80000000, v10
	s_waitcnt lgkmcnt(0)
	v_xor_b32_e32 v4, 0x80000000, v4
	v_xor_b32_e32 v6, 0x80000000, v6
	s_cbranch_scc1 .LBB140_20
.LBB140_2:                              ; =>This Loop Header: Depth=1
                                        ;     Child Loop BB140_4 Depth 2
	s_waitcnt vmcnt(3)
	v_xor_b32_e32 v1, 0x80000000, v8
	ds_bpermute_b32 v2, v26, v7
	ds_bpermute_b32 v8, v26, v1
	s_waitcnt vmcnt(2)
	v_xor_b32_e32 v15, 0x80000000, v10
	ds_bpermute_b32 v10, v26, v9
	ds_bpermute_b32 v11, v26, v15
	s_waitcnt vmcnt(1)
	v_xor_b32_e32 v4, 0x80000000, v4
	s_waitcnt lgkmcnt(3)
	v_cndmask_b32_e64 v2, 0, v2, s[6:7]
	ds_bpermute_b32 v12, v26, v4
	ds_bpermute_b32 v13, v26, v3
	s_waitcnt lgkmcnt(4)
	v_cndmask_b32_e64 v8, 0, v8, s[6:7]
	s_waitcnt lgkmcnt(3)
	v_cndmask_b32_e64 v2, v2, v10, s[4:5]
	s_waitcnt vmcnt(0)
	ds_bpermute_b32 v10, v26, v5
	v_xor_b32_e32 v6, 0x80000000, v6
	s_waitcnt lgkmcnt(3)
	v_cndmask_b32_e64 v8, v8, v11, s[4:5]
	ds_bpermute_b32 v11, v26, v6
	s_waitcnt lgkmcnt(3)
	v_cndmask_b32_e64 v8, v8, v12, s[2:3]
	s_waitcnt lgkmcnt(2)
	v_cndmask_b32_e64 v2, v2, v13, s[2:3]
	ds_bpermute_b32 v12, v27, v7
	s_waitcnt lgkmcnt(2)
	v_cndmask_b32_e64 v10, v2, v10, s[0:1]
	ds_bpermute_b32 v2, v27, v1
	ds_bpermute_b32 v13, v27, v9
	s_waitcnt lgkmcnt(3)
	v_cndmask_b32_e64 v11, v8, v11, s[0:1]
	ds_bpermute_b32 v8, v27, v15
	s_waitcnt lgkmcnt(3)
	v_cndmask_b32_e64 v12, 0, v12, s[6:7]
	s_waitcnt lgkmcnt(2)
	v_cndmask_b32_e64 v2, 0, v2, s[6:7]
	;; [unrolled: 2-line block ×3, first 2 shown]
	ds_bpermute_b32 v13, v27, v4
	s_waitcnt lgkmcnt(1)
	v_cndmask_b32_e64 v2, v2, v8, s[4:5]
	ds_bpermute_b32 v8, v27, v3
	ds_bpermute_b32 v21, v27, v6
	;; [unrolled: 1-line block ×4, first 2 shown]
	s_waitcnt lgkmcnt(4)
	v_cndmask_b32_e64 v2, v2, v13, s[2:3]
	s_waitcnt lgkmcnt(3)
	v_cndmask_b32_e64 v8, v12, v8, s[2:3]
	;; [unrolled: 2-line block ×3, first 2 shown]
	ds_bpermute_b32 v2, v28, v7
	ds_bpermute_b32 v21, v28, v15
	s_waitcnt lgkmcnt(3)
	v_cndmask_b32_e64 v12, v8, v20, s[0:1]
	s_waitcnt lgkmcnt(2)
	v_cndmask_b32_e64 v8, 0, v22, s[6:7]
	ds_bpermute_b32 v20, v28, v9
	ds_bpermute_b32 v22, v28, v4
	s_waitcnt lgkmcnt(3)
	v_cndmask_b32_e64 v2, 0, v2, s[6:7]
	ds_bpermute_b32 v23, v28, v3
	s_waitcnt lgkmcnt(3)
	v_cndmask_b32_e64 v8, v8, v21, s[4:5]
	s_waitcnt lgkmcnt(2)
	v_cndmask_b32_e64 v2, v2, v20, s[4:5]
	;; [unrolled: 2-line block ×3, first 2 shown]
	ds_bpermute_b32 v20, v28, v5
	ds_bpermute_b32 v21, v28, v6
	ds_bpermute_b32 v22, v29, v1
	ds_bpermute_b32 v7, v29, v7
	ds_bpermute_b32 v9, v29, v9
	ds_bpermute_b32 v15, v29, v15
	ds_bpermute_b32 v4, v29, v4
	ds_bpermute_b32 v3, v29, v3
	ds_bpermute_b32 v5, v29, v5
	ds_bpermute_b32 v6, v29, v6
	s_waitcnt lgkmcnt(10)
	v_cndmask_b32_e64 v2, v2, v23, s[2:3]
	s_waitcnt lgkmcnt(9)
	v_cndmask_b32_e64 v1, v2, v20, s[0:1]
	;; [unrolled: 2-line block ×9, first 2 shown]
	v_mov_b32_e32 v20, 0
	s_waitcnt lgkmcnt(1)
	v_cndmask_b32_e64 v3, v3, v5, s[0:1]
	s_waitcnt lgkmcnt(0)
	v_cndmask_b32_e64 v4, v4, v6, s[0:1]
	v_mov_b32_e32 v21, 0
	s_barrier
	s_branch .LBB140_4
.LBB140_3:                              ;   in Loop: Header=BB140_4 Depth=2
	s_andn2_b64 vcc, exec, s[38:39]
	s_cbranch_vccz .LBB140_1
.LBB140_4:                              ;   Parent Loop BB140_2 Depth=1
                                        ; =>  This Inner Loop Header: Depth=2
	v_mov_b32_e32 v25, v11
	v_mov_b32_e32 v8, v2
	;; [unrolled: 1-line block ×4, first 2 shown]
	v_lshrrev_b64 v[1:2], v20, v[24:25]
	v_mov_b32_e32 v6, v4
	v_lshlrev_b32_e32 v2, 5, v1
	v_and_b32_e32 v2, 0x1fe0, v2
	v_add_u32_e32 v9, v36, v2
	v_and_b32_e32 v2, 1, v1
	v_mov_b32_e32 v5, v3
	v_add_co_u32_e32 v3, vcc, -1, v2
	v_addc_co_u32_e64 v4, s[38:39], 0, -1, vcc
	v_cmp_ne_u32_e32 vcc, 0, v2
	v_lshlrev_b32_e32 v15, 30, v1
	v_xor_b32_e32 v2, vcc_hi, v4
	v_xor_b32_e32 v3, vcc_lo, v3
	v_cmp_gt_i64_e32 vcc, 0, v[14:15]
	v_not_b32_e32 v4, v15
	v_ashrrev_i32_e32 v4, 31, v4
	v_and_b32_e32 v3, exec_lo, v3
	v_xor_b32_e32 v10, vcc_hi, v4
	v_xor_b32_e32 v4, vcc_lo, v4
	v_lshlrev_b32_e32 v15, 29, v1
	v_and_b32_e32 v3, v3, v4
	v_cmp_gt_i64_e32 vcc, 0, v[14:15]
	v_not_b32_e32 v4, v15
	v_and_b32_e32 v2, exec_hi, v2
	v_ashrrev_i32_e32 v4, 31, v4
	v_and_b32_e32 v2, v2, v10
	v_xor_b32_e32 v10, vcc_hi, v4
	v_xor_b32_e32 v4, vcc_lo, v4
	v_lshlrev_b32_e32 v15, 28, v1
	v_and_b32_e32 v3, v3, v4
	v_cmp_gt_i64_e32 vcc, 0, v[14:15]
	v_not_b32_e32 v4, v15
	v_ashrrev_i32_e32 v4, 31, v4
	v_and_b32_e32 v2, v2, v10
	v_xor_b32_e32 v10, vcc_hi, v4
	v_xor_b32_e32 v4, vcc_lo, v4
	v_lshlrev_b32_e32 v15, 27, v1
	v_and_b32_e32 v3, v3, v4
	v_cmp_gt_i64_e32 vcc, 0, v[14:15]
	v_not_b32_e32 v4, v15
	;; [unrolled: 8-line block ×4, first 2 shown]
	v_ashrrev_i32_e32 v4, 31, v4
	v_lshlrev_b32_e32 v15, 24, v1
	v_and_b32_e32 v2, v2, v10
	v_xor_b32_e32 v10, vcc_hi, v4
	v_xor_b32_e32 v4, vcc_lo, v4
	v_cmp_gt_i64_e32 vcc, 0, v[14:15]
	v_not_b32_e32 v1, v15
	v_ashrrev_i32_e32 v1, 31, v1
	v_and_b32_e32 v3, v3, v4
	v_xor_b32_e32 v4, vcc_hi, v1
	v_xor_b32_e32 v1, vcc_lo, v1
	v_and_b32_e32 v2, v2, v10
	v_and_b32_e32 v1, v3, v1
	;; [unrolled: 1-line block ×3, first 2 shown]
	v_mbcnt_lo_u32_b32 v3, v1, 0
	v_mbcnt_hi_u32_b32 v10, v2, v3
	v_cmp_ne_u64_e32 vcc, 0, v[1:2]
	v_mov_b32_e32 v23, v13
	v_cmp_eq_u32_e64 s[38:39], 0, v10
	v_mov_b32_e32 v22, v12
	s_and_b64 s[40:41], vcc, s[38:39]
	ds_write2_b64 v30, v[16:17], v[18:19] offset0:4 offset1:5
	s_waitcnt lgkmcnt(0)
	s_barrier
	; wave barrier
	s_and_saveexec_b64 s[38:39], s[40:41]
; %bb.5:                                ;   in Loop: Header=BB140_4 Depth=2
	v_bcnt_u32_b32 v1, v1, 0
	v_bcnt_u32_b32 v1, v2, v1
	ds_write_b32 v9, v1 offset:32
; %bb.6:                                ;   in Loop: Header=BB140_4 Depth=2
	s_or_b64 exec, exec, s[38:39]
	v_lshrrev_b64 v[1:2], v20, v[22:23]
	v_lshlrev_b32_e32 v2, 5, v1
	v_and_b32_e32 v2, 0x1fe0, v2
	v_add_u32_e32 v12, v36, v2
	v_and_b32_e32 v2, 1, v1
	v_add_co_u32_e32 v3, vcc, -1, v2
	v_addc_co_u32_e64 v4, s[38:39], 0, -1, vcc
	v_cmp_ne_u32_e32 vcc, 0, v2
	v_lshlrev_b32_e32 v15, 30, v1
	v_xor_b32_e32 v2, vcc_hi, v4
	v_xor_b32_e32 v3, vcc_lo, v3
	v_cmp_gt_i64_e32 vcc, 0, v[14:15]
	v_not_b32_e32 v4, v15
	v_ashrrev_i32_e32 v4, 31, v4
	v_and_b32_e32 v3, exec_lo, v3
	v_xor_b32_e32 v13, vcc_hi, v4
	v_xor_b32_e32 v4, vcc_lo, v4
	v_lshlrev_b32_e32 v15, 29, v1
	v_and_b32_e32 v3, v3, v4
	v_cmp_gt_i64_e32 vcc, 0, v[14:15]
	v_not_b32_e32 v4, v15
	v_and_b32_e32 v2, exec_hi, v2
	v_ashrrev_i32_e32 v4, 31, v4
	v_and_b32_e32 v2, v2, v13
	v_xor_b32_e32 v13, vcc_hi, v4
	v_xor_b32_e32 v4, vcc_lo, v4
	v_lshlrev_b32_e32 v15, 28, v1
	v_and_b32_e32 v3, v3, v4
	v_cmp_gt_i64_e32 vcc, 0, v[14:15]
	v_not_b32_e32 v4, v15
	v_ashrrev_i32_e32 v4, 31, v4
	v_and_b32_e32 v2, v2, v13
	v_xor_b32_e32 v13, vcc_hi, v4
	v_xor_b32_e32 v4, vcc_lo, v4
	v_lshlrev_b32_e32 v15, 27, v1
	v_and_b32_e32 v3, v3, v4
	v_cmp_gt_i64_e32 vcc, 0, v[14:15]
	v_not_b32_e32 v4, v15
	;; [unrolled: 8-line block ×4, first 2 shown]
	v_ashrrev_i32_e32 v4, 31, v4
	v_lshlrev_b32_e32 v15, 24, v1
	v_and_b32_e32 v2, v2, v13
	v_xor_b32_e32 v13, vcc_hi, v4
	v_xor_b32_e32 v4, vcc_lo, v4
	v_cmp_gt_i64_e32 vcc, 0, v[14:15]
	v_not_b32_e32 v1, v15
	v_ashrrev_i32_e32 v1, 31, v1
	v_and_b32_e32 v3, v3, v4
	v_xor_b32_e32 v4, vcc_hi, v1
	v_xor_b32_e32 v1, vcc_lo, v1
	; wave barrier
	ds_read_b32 v11, v12 offset:32
	v_and_b32_e32 v2, v2, v13
	v_and_b32_e32 v1, v3, v1
	;; [unrolled: 1-line block ×3, first 2 shown]
	v_mbcnt_lo_u32_b32 v3, v1, 0
	v_mbcnt_hi_u32_b32 v13, v2, v3
	v_cmp_ne_u64_e32 vcc, 0, v[1:2]
	v_cmp_eq_u32_e64 s[38:39], 0, v13
	s_and_b64 s[40:41], vcc, s[38:39]
	; wave barrier
	s_and_saveexec_b64 s[38:39], s[40:41]
	s_cbranch_execz .LBB140_8
; %bb.7:                                ;   in Loop: Header=BB140_4 Depth=2
	v_bcnt_u32_b32 v1, v1, 0
	v_bcnt_u32_b32 v1, v2, v1
	s_waitcnt lgkmcnt(0)
	v_add_u32_e32 v1, v11, v1
	ds_write_b32 v12, v1 offset:32
.LBB140_8:                              ;   in Loop: Header=BB140_4 Depth=2
	s_or_b64 exec, exec, s[38:39]
	v_lshrrev_b64 v[1:2], v20, v[7:8]
	v_lshlrev_b32_e32 v2, 5, v1
	v_and_b32_e32 v2, 0x1fe0, v2
	v_add_u32_e32 v39, v36, v2
	v_and_b32_e32 v2, 1, v1
	v_add_co_u32_e32 v3, vcc, -1, v2
	v_addc_co_u32_e64 v4, s[38:39], 0, -1, vcc
	v_cmp_ne_u32_e32 vcc, 0, v2
	v_lshlrev_b32_e32 v15, 30, v1
	v_xor_b32_e32 v2, vcc_hi, v4
	v_xor_b32_e32 v3, vcc_lo, v3
	v_cmp_gt_i64_e32 vcc, 0, v[14:15]
	v_not_b32_e32 v4, v15
	v_ashrrev_i32_e32 v4, 31, v4
	v_and_b32_e32 v2, exec_hi, v2
	v_xor_b32_e32 v15, vcc_hi, v4
	v_and_b32_e32 v3, exec_lo, v3
	v_xor_b32_e32 v4, vcc_lo, v4
	v_and_b32_e32 v2, v2, v15
	v_lshlrev_b32_e32 v15, 29, v1
	v_and_b32_e32 v3, v3, v4
	v_cmp_gt_i64_e32 vcc, 0, v[14:15]
	v_not_b32_e32 v4, v15
	v_ashrrev_i32_e32 v4, 31, v4
	v_xor_b32_e32 v15, vcc_hi, v4
	v_xor_b32_e32 v4, vcc_lo, v4
	v_and_b32_e32 v2, v2, v15
	v_lshlrev_b32_e32 v15, 28, v1
	v_and_b32_e32 v3, v3, v4
	v_cmp_gt_i64_e32 vcc, 0, v[14:15]
	v_not_b32_e32 v4, v15
	v_ashrrev_i32_e32 v4, 31, v4
	v_xor_b32_e32 v15, vcc_hi, v4
	;; [unrolled: 8-line block ×5, first 2 shown]
	v_and_b32_e32 v2, v2, v15
	v_lshlrev_b32_e32 v15, 24, v1
	v_xor_b32_e32 v4, vcc_lo, v4
	v_cmp_gt_i64_e32 vcc, 0, v[14:15]
	v_not_b32_e32 v1, v15
	v_ashrrev_i32_e32 v1, 31, v1
	v_and_b32_e32 v3, v3, v4
	v_xor_b32_e32 v4, vcc_hi, v1
	v_xor_b32_e32 v1, vcc_lo, v1
	; wave barrier
	ds_read_b32 v38, v39 offset:32
	v_and_b32_e32 v1, v3, v1
	v_and_b32_e32 v2, v2, v4
	v_mbcnt_lo_u32_b32 v3, v1, 0
	v_mbcnt_hi_u32_b32 v40, v2, v3
	v_cmp_ne_u64_e32 vcc, 0, v[1:2]
	v_cmp_eq_u32_e64 s[38:39], 0, v40
	s_and_b64 s[40:41], vcc, s[38:39]
	; wave barrier
	s_and_saveexec_b64 s[38:39], s[40:41]
	s_cbranch_execz .LBB140_10
; %bb.9:                                ;   in Loop: Header=BB140_4 Depth=2
	v_bcnt_u32_b32 v1, v1, 0
	v_bcnt_u32_b32 v1, v2, v1
	s_waitcnt lgkmcnt(0)
	v_add_u32_e32 v1, v38, v1
	ds_write_b32 v39, v1 offset:32
.LBB140_10:                             ;   in Loop: Header=BB140_4 Depth=2
	s_or_b64 exec, exec, s[38:39]
	v_lshrrev_b64 v[1:2], v20, v[5:6]
	v_lshlrev_b32_e32 v2, 5, v1
	v_and_b32_e32 v2, 0x1fe0, v2
	v_add_u32_e32 v42, v36, v2
	v_and_b32_e32 v2, 1, v1
	v_add_co_u32_e32 v3, vcc, -1, v2
	v_addc_co_u32_e64 v4, s[38:39], 0, -1, vcc
	v_cmp_ne_u32_e32 vcc, 0, v2
	v_lshlrev_b32_e32 v15, 30, v1
	v_xor_b32_e32 v2, vcc_hi, v4
	v_xor_b32_e32 v3, vcc_lo, v3
	v_cmp_gt_i64_e32 vcc, 0, v[14:15]
	v_not_b32_e32 v4, v15
	v_ashrrev_i32_e32 v4, 31, v4
	v_and_b32_e32 v2, exec_hi, v2
	v_xor_b32_e32 v15, vcc_hi, v4
	v_and_b32_e32 v3, exec_lo, v3
	v_xor_b32_e32 v4, vcc_lo, v4
	v_and_b32_e32 v2, v2, v15
	v_lshlrev_b32_e32 v15, 29, v1
	v_and_b32_e32 v3, v3, v4
	v_cmp_gt_i64_e32 vcc, 0, v[14:15]
	v_not_b32_e32 v4, v15
	v_ashrrev_i32_e32 v4, 31, v4
	v_xor_b32_e32 v15, vcc_hi, v4
	v_xor_b32_e32 v4, vcc_lo, v4
	v_and_b32_e32 v2, v2, v15
	v_lshlrev_b32_e32 v15, 28, v1
	v_and_b32_e32 v3, v3, v4
	v_cmp_gt_i64_e32 vcc, 0, v[14:15]
	v_not_b32_e32 v4, v15
	v_ashrrev_i32_e32 v4, 31, v4
	v_xor_b32_e32 v15, vcc_hi, v4
	v_xor_b32_e32 v4, vcc_lo, v4
	v_and_b32_e32 v2, v2, v15
	v_lshlrev_b32_e32 v15, 27, v1
	v_and_b32_e32 v3, v3, v4
	v_cmp_gt_i64_e32 vcc, 0, v[14:15]
	v_not_b32_e32 v4, v15
	v_ashrrev_i32_e32 v4, 31, v4
	v_xor_b32_e32 v15, vcc_hi, v4
	v_xor_b32_e32 v4, vcc_lo, v4
	v_and_b32_e32 v2, v2, v15
	v_lshlrev_b32_e32 v15, 26, v1
	v_and_b32_e32 v3, v3, v4
	v_cmp_gt_i64_e32 vcc, 0, v[14:15]
	v_not_b32_e32 v4, v15
	v_ashrrev_i32_e32 v4, 31, v4
	v_xor_b32_e32 v15, vcc_hi, v4
	v_xor_b32_e32 v4, vcc_lo, v4
	v_and_b32_e32 v2, v2, v15
	v_lshlrev_b32_e32 v15, 25, v1
	v_and_b32_e32 v3, v3, v4
	v_cmp_gt_i64_e32 vcc, 0, v[14:15]
	v_not_b32_e32 v4, v15
	v_ashrrev_i32_e32 v4, 31, v4
	v_xor_b32_e32 v15, vcc_hi, v4
	v_and_b32_e32 v2, v2, v15
	v_lshlrev_b32_e32 v15, 24, v1
	v_xor_b32_e32 v4, vcc_lo, v4
	v_cmp_gt_i64_e32 vcc, 0, v[14:15]
	v_not_b32_e32 v1, v15
	v_ashrrev_i32_e32 v1, 31, v1
	v_and_b32_e32 v3, v3, v4
	v_xor_b32_e32 v4, vcc_hi, v1
	v_xor_b32_e32 v1, vcc_lo, v1
	; wave barrier
	ds_read_b32 v41, v42 offset:32
	v_and_b32_e32 v1, v3, v1
	v_and_b32_e32 v2, v2, v4
	v_mbcnt_lo_u32_b32 v3, v1, 0
	v_mbcnt_hi_u32_b32 v15, v2, v3
	v_cmp_ne_u64_e32 vcc, 0, v[1:2]
	v_cmp_eq_u32_e64 s[38:39], 0, v15
	s_and_b64 s[40:41], vcc, s[38:39]
	; wave barrier
	s_and_saveexec_b64 s[38:39], s[40:41]
	s_cbranch_execz .LBB140_12
; %bb.11:                               ;   in Loop: Header=BB140_4 Depth=2
	v_bcnt_u32_b32 v1, v1, 0
	v_bcnt_u32_b32 v1, v2, v1
	s_waitcnt lgkmcnt(0)
	v_add_u32_e32 v1, v41, v1
	ds_write_b32 v42, v1 offset:32
.LBB140_12:                             ;   in Loop: Header=BB140_4 Depth=2
	s_or_b64 exec, exec, s[38:39]
	; wave barrier
	s_waitcnt lgkmcnt(0)
	s_barrier
	ds_read2_b64 v[1:4], v30 offset0:4 offset1:5
	s_waitcnt lgkmcnt(0)
	v_add_u32_e32 v43, v2, v1
	v_add3_u32 v4, v43, v3, v4
	s_nop 1
	v_mov_b32_dpp v43, v4 row_shr:1 row_mask:0xf bank_mask:0xf
	v_cndmask_b32_e64 v43, v43, 0, s[8:9]
	v_add_u32_e32 v4, v43, v4
	s_nop 1
	v_mov_b32_dpp v43, v4 row_shr:2 row_mask:0xf bank_mask:0xf
	v_cndmask_b32_e64 v43, 0, v43, s[10:11]
	v_add_u32_e32 v4, v4, v43
	;; [unrolled: 4-line block ×4, first 2 shown]
	s_nop 1
	v_mov_b32_dpp v43, v4 row_bcast:15 row_mask:0xf bank_mask:0xf
	v_cndmask_b32_e64 v43, v43, 0, s[16:17]
	v_add_u32_e32 v4, v4, v43
	s_nop 1
	v_mov_b32_dpp v43, v4 row_bcast:31 row_mask:0xf bank_mask:0xf
	v_cndmask_b32_e64 v43, 0, v43, s[18:19]
	v_add_u32_e32 v4, v4, v43
	s_and_saveexec_b64 s[38:39], s[20:21]
; %bb.13:                               ;   in Loop: Header=BB140_4 Depth=2
	ds_write_b32 v32, v4
; %bb.14:                               ;   in Loop: Header=BB140_4 Depth=2
	s_or_b64 exec, exec, s[38:39]
	s_waitcnt lgkmcnt(0)
	s_barrier
	s_and_saveexec_b64 s[38:39], s[22:23]
	s_cbranch_execz .LBB140_16
; %bb.15:                               ;   in Loop: Header=BB140_4 Depth=2
	ds_read_b32 v43, v33
	s_waitcnt lgkmcnt(0)
	s_nop 0
	v_mov_b32_dpp v44, v43 row_shr:1 row_mask:0xf bank_mask:0xf
	v_cndmask_b32_e64 v44, v44, 0, s[30:31]
	v_add_u32_e32 v43, v44, v43
	s_nop 1
	v_mov_b32_dpp v44, v43 row_shr:2 row_mask:0xf bank_mask:0xf
	v_cndmask_b32_e64 v44, 0, v44, s[34:35]
	v_add_u32_e32 v43, v43, v44
	;; [unrolled: 4-line block ×3, first 2 shown]
	ds_write_b32 v33, v43
.LBB140_16:                             ;   in Loop: Header=BB140_4 Depth=2
	s_or_b64 exec, exec, s[38:39]
	v_mov_b32_e32 v43, 0
	s_waitcnt lgkmcnt(0)
	s_barrier
	s_and_saveexec_b64 s[38:39], s[24:25]
; %bb.17:                               ;   in Loop: Header=BB140_4 Depth=2
	ds_read_b32 v43, v34
; %bb.18:                               ;   in Loop: Header=BB140_4 Depth=2
	s_or_b64 exec, exec, s[38:39]
	s_waitcnt lgkmcnt(0)
	v_add_u32_e32 v4, v43, v4
	ds_bpermute_b32 v4, v31, v4
	v_cmp_lt_u32_e32 vcc, 55, v20
	s_and_b64 vcc, exec, vcc
	s_mov_b64 s[38:39], -1
	s_waitcnt lgkmcnt(0)
	v_cndmask_b32_e64 v4, v4, v43, s[26:27]
	v_cndmask_b32_e64 v43, v4, 0, s[28:29]
	v_add_u32_e32 v44, v43, v1
	v_add_u32_e32 v1, v44, v2
	;; [unrolled: 1-line block ×3, first 2 shown]
	ds_write2_b64 v30, v[43:44], v[1:2] offset0:4 offset1:5
	s_waitcnt lgkmcnt(0)
	s_barrier
	ds_read_b32 v1, v9 offset:32
	ds_read_b32 v2, v12 offset:32
	;; [unrolled: 1-line block ×4, first 2 shown]
	s_waitcnt lgkmcnt(3)
	v_add_u32_e32 v42, v1, v10
	s_waitcnt lgkmcnt(2)
	v_add3_u32 v39, v13, v11, v2
	s_waitcnt lgkmcnt(1)
	v_add3_u32 v38, v40, v38, v3
	;; [unrolled: 2-line block ×3, first 2 shown]
                                        ; implicit-def: $vgpr3_vgpr4
                                        ; implicit-def: $vgpr12_vgpr13
	s_cbranch_vccnz .LBB140_3
; %bb.19:                               ;   in Loop: Header=BB140_4 Depth=2
	v_lshlrev_b32_e32 v1, 3, v42
	s_barrier
	ds_write_b64 v1, v[24:25]
	v_lshlrev_b32_e32 v1, 3, v39
	ds_write_b64 v1, v[22:23]
	v_lshlrev_b32_e32 v1, 3, v38
	;; [unrolled: 2-line block ×3, first 2 shown]
	ds_write_b64 v1, v[5:6]
	s_waitcnt lgkmcnt(0)
	s_barrier
	ds_read2st64_b64 v[10:13], v35 offset1:1
	ds_read2st64_b64 v[1:4], v35 offset0:2 offset1:3
	v_add_co_u32_e32 v20, vcc, 8, v20
	v_addc_co_u32_e32 v21, vcc, 0, v21, vcc
	s_mov_b64 s[38:39], 0
	s_waitcnt lgkmcnt(0)
	s_barrier
	s_branch .LBB140_3
.LBB140_20:
	s_add_u32 s0, s42, s46
	s_addc_u32 s1, s43, s47
	v_lshlrev_b32_e32 v0, 3, v0
	v_mov_b32_e32 v1, s1
	v_add_co_u32_e32 v2, vcc, s0, v0
	v_addc_co_u32_e32 v11, vcc, 0, v1, vcc
	global_store_dwordx2 v0, v[7:8], s[0:1]
	v_add_co_u32_e32 v0, vcc, 0x1000, v2
	v_addc_co_u32_e32 v1, vcc, 0, v11, vcc
	global_store_dwordx2 v[0:1], v[9:10], off
	v_add_co_u32_e32 v0, vcc, 0x2000, v2
	v_addc_co_u32_e32 v1, vcc, 0, v11, vcc
	global_store_dwordx2 v[0:1], v[3:4], off
	;; [unrolled: 3-line block ×3, first 2 shown]
	s_endpgm
	.section	.rodata,"a",@progbits
	.p2align	6, 0x0
	.amdhsa_kernel _Z16sort_keys_kernelI22helper_blocked_blockedxLj512ELj4ELj10EEvPKT0_PS1_
		.amdhsa_group_segment_fixed_size 16384
		.amdhsa_private_segment_fixed_size 0
		.amdhsa_kernarg_size 272
		.amdhsa_user_sgpr_count 6
		.amdhsa_user_sgpr_private_segment_buffer 1
		.amdhsa_user_sgpr_dispatch_ptr 0
		.amdhsa_user_sgpr_queue_ptr 0
		.amdhsa_user_sgpr_kernarg_segment_ptr 1
		.amdhsa_user_sgpr_dispatch_id 0
		.amdhsa_user_sgpr_flat_scratch_init 0
		.amdhsa_user_sgpr_private_segment_size 0
		.amdhsa_uses_dynamic_stack 0
		.amdhsa_system_sgpr_private_segment_wavefront_offset 0
		.amdhsa_system_sgpr_workgroup_id_x 1
		.amdhsa_system_sgpr_workgroup_id_y 0
		.amdhsa_system_sgpr_workgroup_id_z 0
		.amdhsa_system_sgpr_workgroup_info 0
		.amdhsa_system_vgpr_workitem_id 2
		.amdhsa_next_free_vgpr 45
		.amdhsa_next_free_sgpr 61
		.amdhsa_reserve_vcc 1
		.amdhsa_reserve_flat_scratch 0
		.amdhsa_float_round_mode_32 0
		.amdhsa_float_round_mode_16_64 0
		.amdhsa_float_denorm_mode_32 3
		.amdhsa_float_denorm_mode_16_64 3
		.amdhsa_dx10_clamp 1
		.amdhsa_ieee_mode 1
		.amdhsa_fp16_overflow 0
		.amdhsa_exception_fp_ieee_invalid_op 0
		.amdhsa_exception_fp_denorm_src 0
		.amdhsa_exception_fp_ieee_div_zero 0
		.amdhsa_exception_fp_ieee_overflow 0
		.amdhsa_exception_fp_ieee_underflow 0
		.amdhsa_exception_fp_ieee_inexact 0
		.amdhsa_exception_int_div_zero 0
	.end_amdhsa_kernel
	.section	.text._Z16sort_keys_kernelI22helper_blocked_blockedxLj512ELj4ELj10EEvPKT0_PS1_,"axG",@progbits,_Z16sort_keys_kernelI22helper_blocked_blockedxLj512ELj4ELj10EEvPKT0_PS1_,comdat
.Lfunc_end140:
	.size	_Z16sort_keys_kernelI22helper_blocked_blockedxLj512ELj4ELj10EEvPKT0_PS1_, .Lfunc_end140-_Z16sort_keys_kernelI22helper_blocked_blockedxLj512ELj4ELj10EEvPKT0_PS1_
                                        ; -- End function
	.set _Z16sort_keys_kernelI22helper_blocked_blockedxLj512ELj4ELj10EEvPKT0_PS1_.num_vgpr, 45
	.set _Z16sort_keys_kernelI22helper_blocked_blockedxLj512ELj4ELj10EEvPKT0_PS1_.num_agpr, 0
	.set _Z16sort_keys_kernelI22helper_blocked_blockedxLj512ELj4ELj10EEvPKT0_PS1_.numbered_sgpr, 48
	.set _Z16sort_keys_kernelI22helper_blocked_blockedxLj512ELj4ELj10EEvPKT0_PS1_.num_named_barrier, 0
	.set _Z16sort_keys_kernelI22helper_blocked_blockedxLj512ELj4ELj10EEvPKT0_PS1_.private_seg_size, 0
	.set _Z16sort_keys_kernelI22helper_blocked_blockedxLj512ELj4ELj10EEvPKT0_PS1_.uses_vcc, 1
	.set _Z16sort_keys_kernelI22helper_blocked_blockedxLj512ELj4ELj10EEvPKT0_PS1_.uses_flat_scratch, 0
	.set _Z16sort_keys_kernelI22helper_blocked_blockedxLj512ELj4ELj10EEvPKT0_PS1_.has_dyn_sized_stack, 0
	.set _Z16sort_keys_kernelI22helper_blocked_blockedxLj512ELj4ELj10EEvPKT0_PS1_.has_recursion, 0
	.set _Z16sort_keys_kernelI22helper_blocked_blockedxLj512ELj4ELj10EEvPKT0_PS1_.has_indirect_call, 0
	.section	.AMDGPU.csdata,"",@progbits
; Kernel info:
; codeLenInByte = 3500
; TotalNumSgprs: 52
; NumVgprs: 45
; ScratchSize: 0
; MemoryBound: 0
; FloatMode: 240
; IeeeMode: 1
; LDSByteSize: 16384 bytes/workgroup (compile time only)
; SGPRBlocks: 8
; VGPRBlocks: 11
; NumSGPRsForWavesPerEU: 65
; NumVGPRsForWavesPerEU: 45
; Occupancy: 5
; WaveLimiterHint : 1
; COMPUTE_PGM_RSRC2:SCRATCH_EN: 0
; COMPUTE_PGM_RSRC2:USER_SGPR: 6
; COMPUTE_PGM_RSRC2:TRAP_HANDLER: 0
; COMPUTE_PGM_RSRC2:TGID_X_EN: 1
; COMPUTE_PGM_RSRC2:TGID_Y_EN: 0
; COMPUTE_PGM_RSRC2:TGID_Z_EN: 0
; COMPUTE_PGM_RSRC2:TIDIG_COMP_CNT: 2
	.section	.text._Z17sort_pairs_kernelI22helper_blocked_blockedxLj512ELj4ELj10EEvPKT0_PS1_,"axG",@progbits,_Z17sort_pairs_kernelI22helper_blocked_blockedxLj512ELj4ELj10EEvPKT0_PS1_,comdat
	.protected	_Z17sort_pairs_kernelI22helper_blocked_blockedxLj512ELj4ELj10EEvPKT0_PS1_ ; -- Begin function _Z17sort_pairs_kernelI22helper_blocked_blockedxLj512ELj4ELj10EEvPKT0_PS1_
	.globl	_Z17sort_pairs_kernelI22helper_blocked_blockedxLj512ELj4ELj10EEvPKT0_PS1_
	.p2align	8
	.type	_Z17sort_pairs_kernelI22helper_blocked_blockedxLj512ELj4ELj10EEvPKT0_PS1_,@function
_Z17sort_pairs_kernelI22helper_blocked_blockedxLj512ELj4ELj10EEvPKT0_PS1_: ; @_Z17sort_pairs_kernelI22helper_blocked_blockedxLj512ELj4ELj10EEvPKT0_PS1_
; %bb.0:
	s_load_dwordx4 s[40:43], s[4:5], 0x0
	s_load_dword s33, s[4:5], 0x1c
	s_lshl_b32 s46, s6, 11
	s_mov_b32 s47, 0
	s_lshl_b64 s[44:45], s[46:47], 3
	s_waitcnt lgkmcnt(0)
	s_add_u32 s0, s40, s44
	s_addc_u32 s1, s41, s45
	v_lshlrev_b32_e32 v3, 3, v0
	v_mov_b32_e32 v4, s1
	v_add_co_u32_e32 v7, vcc, s0, v3
	v_addc_co_u32_e32 v8, vcc, 0, v4, vcc
	global_load_dwordx2 v[15:16], v3, s[0:1]
	s_movk_i32 s0, 0x2000
	v_add_co_u32_e32 v5, vcc, s0, v7
	v_addc_co_u32_e32 v6, vcc, 0, v8, vcc
	global_load_dwordx2 v[17:18], v[5:6], off offset:-4096
	global_load_dwordx2 v[3:4], v[5:6], off
	s_movk_i32 s0, 0x3000
	v_add_co_u32_e32 v5, vcc, s0, v7
	v_addc_co_u32_e32 v6, vcc, 0, v8, vcc
	global_load_dwordx2 v[5:6], v[5:6], off
	v_mbcnt_lo_u32_b32 v7, -1, 0
	v_mbcnt_hi_u32_b32 v19, -1, v7
	v_or_b32_e32 v7, 63, v0
	v_lshrrev_b32_e32 v8, 4, v0
	v_lshrrev_b32_e32 v9, 2, v19
	v_and_b32_e32 v11, 64, v19
	v_cmp_eq_u32_e64 s[8:9], v0, v7
	v_subrev_co_u32_e64 v7, s[10:11], 1, v19
	v_and_b32_e32 v43, 28, v8
	v_or_b32_e32 v8, v9, v11
	v_add_u32_e32 v9, 48, v9
	v_cmp_lt_i32_e32 vcc, v7, v11
	s_lshr_b32 s36, s33, 16
	v_and_b32_e32 v12, 15, v19
	v_cndmask_b32_e32 v7, v7, v19, vcc
	v_lshlrev_b32_e32 v44, 2, v8
	v_and_or_b32 v8, v9, 63, v11
	s_and_b32 s33, s33, 0xffff
	v_mad_u32_u24 v1, v2, s36, v1
	v_and_b32_e32 v13, 16, v19
	v_cmp_eq_u32_e64 s[20:21], 0, v12
	v_cmp_lt_u32_e64 s[22:23], 1, v12
	v_cmp_lt_u32_e64 s[24:25], 3, v12
	;; [unrolled: 1-line block ×3, first 2 shown]
	v_mad_u64_u32 v[1:2], s[36:37], v1, s33, v[0:1]
	v_cmp_eq_u32_e64 s[28:29], 0, v13
	v_lshlrev_b32_e32 v45, 2, v7
	v_lshlrev_b32_e32 v42, 4, v0
	;; [unrolled: 1-line block ×4, first 2 shown]
	v_lshrrev_b32_e32 v1, 4, v1
	s_mov_b32 s46, s47
	s_mov_b32 s38, s47
	v_and_b32_e32 v10, 3, v19
	v_and_b32_e32 v20, 7, v19
	;; [unrolled: 1-line block ×3, first 2 shown]
	v_mad_i32_i24 v49, v0, -12, v42
	v_and_b32_e32 v50, 0xffffffc, v1
	v_mul_u32_u24_e32 v1, 28, v0
	s_mov_b32 s39, s47
	v_mov_b32_e32 v28, s46
	v_mov_b32_e32 v30, s38
	v_cmp_gt_u32_e64 s[0:1], 8, v0
	v_cmp_lt_u32_e64 s[2:3], 63, v0
	v_cmp_eq_u32_e64 s[4:5], 0, v0
	v_cmp_lt_u32_e64 s[6:7], 31, v19
	v_cmp_eq_u32_e64 s[12:13], 3, v10
	v_cmp_eq_u32_e64 s[14:15], 2, v10
	;; [unrolled: 1-line block ×5, first 2 shown]
	v_cmp_lt_u32_e64 s[34:35], 1, v20
	v_add_u32_e32 v46, 64, v44
	v_cmp_lt_u32_e64 s[36:37], 3, v20
	v_lshl_or_b32 v48, v19, 3, v2
	v_add_u32_e32 v51, v49, v1
	v_or_b32_e32 v52, 0x80, v44
	v_add_u32_e32 v53, -4, v43
	v_mov_b32_e32 v26, 0
	v_mov_b32_e32 v29, s47
	;; [unrolled: 1-line block ×3, first 2 shown]
	s_waitcnt vmcnt(3)
	v_add_co_u32_e32 v11, vcc, 1, v15
	v_addc_co_u32_e32 v12, vcc, 0, v16, vcc
	s_waitcnt vmcnt(2)
	v_add_co_u32_e32 v13, vcc, 1, v17
	v_addc_co_u32_e32 v14, vcc, 0, v18, vcc
	;; [unrolled: 3-line block ×4, first 2 shown]
	s_branch .LBB141_2
.LBB141_1:                              ;   in Loop: Header=BB141_2 Depth=1
	v_lshlrev_b32_e32 v1, 3, v55
	v_lshlrev_b32_e32 v2, 3, v54
	;; [unrolled: 1-line block ×4, first 2 shown]
	s_barrier
	ds_write_b64 v1, v[40:41]
	ds_write_b64 v2, v[38:39]
	;; [unrolled: 1-line block ×4, first 2 shown]
	s_waitcnt lgkmcnt(0)
	s_barrier
	ds_read2_b64 v[15:18], v51 offset1:1
	ds_read2_b64 v[3:6], v51 offset0:2 offset1:3
	s_waitcnt lgkmcnt(0)
	s_barrier
	ds_write_b64 v1, v[32:33]
	ds_write_b64 v2, v[13:14]
	ds_write_b64 v7, v[11:12]
	ds_write_b64 v8, v[9:10]
	s_waitcnt lgkmcnt(0)
	s_barrier
	ds_read2_b64 v[11:14], v51 offset1:1
	ds_read2_b64 v[7:10], v51 offset0:2 offset1:3
	s_add_i32 s47, s47, 1
	v_xor_b32_e32 v16, 0x80000000, v16
	v_xor_b32_e32 v18, 0x80000000, v18
	;; [unrolled: 1-line block ×3, first 2 shown]
	s_cmp_lg_u32 s47, 10
	v_xor_b32_e32 v6, 0x80000000, v6
	s_cbranch_scc0 .LBB141_20
.LBB141_2:                              ; =>This Loop Header: Depth=1
                                        ;     Child Loop BB141_4 Depth 2
	ds_bpermute_b32 v2, v44, v15
	ds_bpermute_b32 v19, v44, v17
	v_xor_b32_e32 v1, 0x80000000, v16
	ds_bpermute_b32 v16, v44, v1
	v_xor_b32_e32 v22, 0x80000000, v18
	ds_bpermute_b32 v18, v44, v22
	v_xor_b32_e32 v4, 0x80000000, v4
	s_waitcnt lgkmcnt(3)
	v_cndmask_b32_e64 v2, 0, v2, s[18:19]
	ds_bpermute_b32 v20, v44, v4
	v_xor_b32_e32 v6, 0x80000000, v6
	s_waitcnt lgkmcnt(3)
	v_cndmask_b32_e64 v2, v2, v19, s[16:17]
	ds_bpermute_b32 v19, v44, v3
	ds_bpermute_b32 v23, v44, v6
	s_waitcnt lgkmcnt(4)
	v_cndmask_b32_e64 v16, 0, v16, s[18:19]
	ds_bpermute_b32 v21, v44, v5
	s_waitcnt lgkmcnt(4)
	v_cndmask_b32_e64 v16, v16, v18, s[16:17]
	s_waitcnt lgkmcnt(3)
	v_cndmask_b32_e64 v16, v16, v20, s[14:15]
	ds_bpermute_b32 v20, v46, v15
	s_waitcnt lgkmcnt(3)
	v_cndmask_b32_e64 v2, v2, v19, s[14:15]
	s_waitcnt lgkmcnt(2)
	v_cndmask_b32_e64 v19, v16, v23, s[12:13]
	ds_bpermute_b32 v16, v46, v17
	s_waitcnt lgkmcnt(2)
	v_cndmask_b32_e64 v18, v2, v21, s[12:13]
	ds_bpermute_b32 v2, v46, v1
	ds_bpermute_b32 v21, v46, v22
	s_waitcnt lgkmcnt(3)
	v_cndmask_b32_e64 v20, 0, v20, s[18:19]
	ds_bpermute_b32 v24, v46, v3
	ds_bpermute_b32 v23, v46, v4
	s_waitcnt lgkmcnt(4)
	v_cndmask_b32_e64 v16, v20, v16, s[16:17]
	ds_bpermute_b32 v20, v46, v5
	s_waitcnt lgkmcnt(4)
	v_cndmask_b32_e64 v2, 0, v2, s[18:19]
	s_waitcnt lgkmcnt(3)
	v_cndmask_b32_e64 v2, v2, v21, s[16:17]
	;; [unrolled: 2-line block ×4, first 2 shown]
	ds_bpermute_b32 v21, v46, v6
	s_waitcnt lgkmcnt(1)
	v_cndmask_b32_e64 v20, v16, v20, s[12:13]
	ds_bpermute_b32 v16, v52, v1
	ds_bpermute_b32 v23, v52, v15
	;; [unrolled: 1-line block ×5, first 2 shown]
	s_waitcnt lgkmcnt(5)
	v_cndmask_b32_e64 v21, v2, v21, s[12:13]
	s_waitcnt lgkmcnt(4)
	v_cndmask_b32_e64 v2, 0, v16, s[18:19]
	;; [unrolled: 2-line block ×3, first 2 shown]
	ds_bpermute_b32 v17, v47, v17
	s_waitcnt lgkmcnt(3)
	v_cndmask_b32_e64 v16, v16, v24, s[16:17]
	ds_bpermute_b32 v24, v52, v3
	ds_bpermute_b32 v32, v47, v1
	;; [unrolled: 1-line block ×3, first 2 shown]
	s_waitcnt lgkmcnt(5)
	v_cndmask_b32_e64 v2, v2, v25, s[16:17]
	ds_bpermute_b32 v25, v52, v5
	ds_bpermute_b32 v22, v47, v22
	;; [unrolled: 1-line block ×5, first 2 shown]
	s_waitcnt lgkmcnt(9)
	v_cndmask_b32_e64 v15, 0, v15, s[18:19]
	s_waitcnt lgkmcnt(8)
	v_cndmask_b32_e64 v15, v15, v17, s[16:17]
	ds_bpermute_b32 v27, v52, v6
	s_waitcnt lgkmcnt(8)
	v_cndmask_b32_e64 v1, v16, v24, s[14:15]
	s_waitcnt lgkmcnt(7)
	v_cndmask_b32_e64 v16, 0, v32, s[18:19]
	;; [unrolled: 2-line block ×3, first 2 shown]
	ds_bpermute_b32 v6, v47, v6
	ds_bpermute_b32 v15, v44, v11
	s_waitcnt lgkmcnt(6)
	v_cndmask_b32_e64 v16, v16, v22, s[16:17]
	s_waitcnt lgkmcnt(5)
	v_cndmask_b32_e64 v3, v3, v5, s[12:13]
	ds_bpermute_b32 v5, v44, v12
	s_waitcnt lgkmcnt(4)
	v_cndmask_b32_e64 v4, v16, v4, s[14:15]
	ds_bpermute_b32 v16, v44, v14
	s_waitcnt lgkmcnt(3)
	v_cndmask_b32_e64 v4, v4, v6, s[12:13]
	s_waitcnt lgkmcnt(2)
	v_cndmask_b32_e64 v6, 0, v15, s[18:19]
	ds_bpermute_b32 v15, v44, v13
	s_waitcnt lgkmcnt(2)
	v_cndmask_b32_e64 v5, 0, v5, s[18:19]
	s_waitcnt lgkmcnt(1)
	v_cndmask_b32_e64 v5, v5, v16, s[16:17]
	ds_bpermute_b32 v16, v44, v7
	ds_bpermute_b32 v17, v44, v8
	s_waitcnt lgkmcnt(2)
	v_cndmask_b32_e64 v6, v6, v15, s[16:17]
	ds_bpermute_b32 v15, v44, v10
	ds_bpermute_b32 v22, v44, v9
	s_waitcnt lgkmcnt(3)
	v_cndmask_b32_e64 v6, v6, v16, s[14:15]
	ds_bpermute_b32 v16, v46, v11
	s_waitcnt lgkmcnt(3)
	v_cndmask_b32_e64 v5, v5, v17, s[14:15]
	v_cndmask_b32_e64 v2, v2, v23, s[14:15]
	s_waitcnt lgkmcnt(2)
	v_cndmask_b32_e64 v23, v5, v15, s[12:13]
	ds_bpermute_b32 v5, v46, v12
	s_waitcnt lgkmcnt(2)
	v_cndmask_b32_e64 v22, v6, v22, s[12:13]
	ds_bpermute_b32 v6, v46, v14
	;; [unrolled: 3-line block ×3, first 2 shown]
	ds_bpermute_b32 v17, v46, v7
	s_waitcnt lgkmcnt(3)
	v_cndmask_b32_e64 v5, 0, v5, s[18:19]
	s_waitcnt lgkmcnt(2)
	v_cndmask_b32_e64 v5, v5, v6, s[16:17]
	ds_bpermute_b32 v6, v46, v8
	s_waitcnt lgkmcnt(2)
	v_cndmask_b32_e64 v15, v15, v16, s[16:17]
	ds_bpermute_b32 v16, v46, v10
	;; [unrolled: 3-line block ×3, first 2 shown]
	v_cndmask_b32_e64 v2, v2, v27, s[12:13]
	s_waitcnt lgkmcnt(2)
	v_cndmask_b32_e64 v5, v5, v6, s[14:15]
	ds_bpermute_b32 v6, v52, v11
	ds_bpermute_b32 v27, v52, v12
	v_cndmask_b32_e64 v1, v1, v25, s[12:13]
	s_waitcnt lgkmcnt(3)
	v_cndmask_b32_e64 v25, v5, v16, s[12:13]
	ds_bpermute_b32 v5, v52, v14
	ds_bpermute_b32 v16, v52, v13
	s_waitcnt lgkmcnt(4)
	v_cndmask_b32_e64 v24, v15, v17, s[12:13]
	ds_bpermute_b32 v17, v52, v7
	s_waitcnt lgkmcnt(4)
	v_cndmask_b32_e64 v6, 0, v6, s[18:19]
	s_waitcnt lgkmcnt(3)
	v_cndmask_b32_e64 v15, 0, v27, s[18:19]
	ds_bpermute_b32 v11, v47, v11
	ds_bpermute_b32 v12, v47, v12
	s_waitcnt lgkmcnt(4)
	v_cndmask_b32_e64 v5, v15, v5, s[16:17]
	ds_bpermute_b32 v15, v52, v8
	s_waitcnt lgkmcnt(4)
	v_cndmask_b32_e64 v6, v6, v16, s[16:17]
	ds_bpermute_b32 v14, v47, v14
	ds_bpermute_b32 v13, v47, v13
	;; [unrolled: 1-line block ×3, first 2 shown]
	s_waitcnt lgkmcnt(6)
	v_cndmask_b32_e64 v16, v6, v17, s[14:15]
	ds_bpermute_b32 v17, v52, v9
	ds_bpermute_b32 v7, v47, v7
	;; [unrolled: 1-line block ×5, first 2 shown]
	s_waitcnt lgkmcnt(10)
	v_cndmask_b32_e64 v11, 0, v11, s[18:19]
	s_waitcnt lgkmcnt(9)
	v_cndmask_b32_e64 v12, 0, v12, s[18:19]
	;; [unrolled: 2-line block ×9, first 2 shown]
	v_mov_b32_e32 v15, 0
	s_waitcnt lgkmcnt(1)
	v_cndmask_b32_e64 v8, v8, v10, s[12:13]
	s_waitcnt lgkmcnt(0)
	v_cndmask_b32_e64 v7, v7, v9, s[12:13]
	v_mov_b32_e32 v16, 0
	s_barrier
	s_branch .LBB141_4
.LBB141_3:                              ;   in Loop: Header=BB141_4 Depth=2
	s_andn2_b64 vcc, exec, s[38:39]
	s_cbranch_vccz .LBB141_1
.LBB141_4:                              ;   Parent Loop BB141_2 Depth=1
                                        ; =>  This Inner Loop Header: Depth=2
	v_mov_b32_e32 v41, v19
	v_mov_b32_e32 v37, v2
	;; [unrolled: 1-line block ×4, first 2 shown]
	v_lshrrev_b64 v[1:2], v15, v[40:41]
	v_mov_b32_e32 v12, v6
	v_lshlrev_b32_e32 v2, 5, v1
	v_and_b32_e32 v2, 0x1fe0, v2
	v_mov_b32_e32 v35, v4
	v_mov_b32_e32 v11, v5
	v_add_u32_e32 v5, v50, v2
	v_and_b32_e32 v2, 1, v1
	v_mov_b32_e32 v34, v3
	v_add_co_u32_e32 v3, vcc, -1, v2
	v_addc_co_u32_e64 v4, s[38:39], 0, -1, vcc
	v_cmp_ne_u32_e32 vcc, 0, v2
	v_lshlrev_b32_e32 v27, 30, v1
	v_xor_b32_e32 v2, vcc_hi, v4
	v_xor_b32_e32 v3, vcc_lo, v3
	v_cmp_gt_i64_e32 vcc, 0, v[26:27]
	v_not_b32_e32 v4, v27
	v_ashrrev_i32_e32 v4, 31, v4
	v_and_b32_e32 v3, exec_lo, v3
	v_xor_b32_e32 v6, vcc_hi, v4
	v_xor_b32_e32 v4, vcc_lo, v4
	v_lshlrev_b32_e32 v27, 29, v1
	v_and_b32_e32 v3, v3, v4
	v_cmp_gt_i64_e32 vcc, 0, v[26:27]
	v_not_b32_e32 v4, v27
	v_and_b32_e32 v2, exec_hi, v2
	v_ashrrev_i32_e32 v4, 31, v4
	v_and_b32_e32 v2, v2, v6
	v_xor_b32_e32 v6, vcc_hi, v4
	v_xor_b32_e32 v4, vcc_lo, v4
	v_lshlrev_b32_e32 v27, 28, v1
	v_and_b32_e32 v3, v3, v4
	v_cmp_gt_i64_e32 vcc, 0, v[26:27]
	v_not_b32_e32 v4, v27
	v_ashrrev_i32_e32 v4, 31, v4
	v_and_b32_e32 v2, v2, v6
	v_xor_b32_e32 v6, vcc_hi, v4
	v_xor_b32_e32 v4, vcc_lo, v4
	v_lshlrev_b32_e32 v27, 27, v1
	v_and_b32_e32 v3, v3, v4
	v_cmp_gt_i64_e32 vcc, 0, v[26:27]
	v_not_b32_e32 v4, v27
	;; [unrolled: 8-line block ×4, first 2 shown]
	v_ashrrev_i32_e32 v4, 31, v4
	v_lshlrev_b32_e32 v27, 24, v1
	v_and_b32_e32 v2, v2, v6
	v_xor_b32_e32 v6, vcc_hi, v4
	v_xor_b32_e32 v4, vcc_lo, v4
	v_cmp_gt_i64_e32 vcc, 0, v[26:27]
	v_not_b32_e32 v1, v27
	v_ashrrev_i32_e32 v1, 31, v1
	v_and_b32_e32 v3, v3, v4
	v_xor_b32_e32 v4, vcc_hi, v1
	v_xor_b32_e32 v1, vcc_lo, v1
	v_and_b32_e32 v2, v2, v6
	v_and_b32_e32 v1, v3, v1
	;; [unrolled: 1-line block ×3, first 2 shown]
	v_mbcnt_lo_u32_b32 v3, v1, 0
	v_mbcnt_hi_u32_b32 v6, v2, v3
	v_cmp_ne_u64_e32 vcc, 0, v[1:2]
	v_mov_b32_e32 v39, v21
	v_mov_b32_e32 v33, v23
	;; [unrolled: 1-line block ×4, first 2 shown]
	v_cmp_eq_u32_e64 s[38:39], 0, v6
	v_mov_b32_e32 v38, v20
	v_mov_b32_e32 v32, v22
	;; [unrolled: 1-line block ×4, first 2 shown]
	s_and_b64 s[40:41], vcc, s[38:39]
	ds_write2_b64 v42, v[28:29], v[30:31] offset0:4 offset1:5
	s_waitcnt lgkmcnt(0)
	s_barrier
	; wave barrier
	s_and_saveexec_b64 s[38:39], s[40:41]
; %bb.5:                                ;   in Loop: Header=BB141_4 Depth=2
	v_bcnt_u32_b32 v1, v1, 0
	v_bcnt_u32_b32 v1, v2, v1
	ds_write_b32 v5, v1 offset:32
; %bb.6:                                ;   in Loop: Header=BB141_4 Depth=2
	s_or_b64 exec, exec, s[38:39]
	v_lshrrev_b64 v[1:2], v15, v[38:39]
	v_lshlrev_b32_e32 v2, 5, v1
	v_and_b32_e32 v2, 0x1fe0, v2
	v_add_u32_e32 v8, v50, v2
	v_and_b32_e32 v2, 1, v1
	v_add_co_u32_e32 v3, vcc, -1, v2
	v_addc_co_u32_e64 v4, s[38:39], 0, -1, vcc
	v_cmp_ne_u32_e32 vcc, 0, v2
	v_lshlrev_b32_e32 v27, 30, v1
	v_xor_b32_e32 v2, vcc_hi, v4
	v_xor_b32_e32 v3, vcc_lo, v3
	v_cmp_gt_i64_e32 vcc, 0, v[26:27]
	v_not_b32_e32 v4, v27
	v_ashrrev_i32_e32 v4, 31, v4
	v_and_b32_e32 v3, exec_lo, v3
	v_xor_b32_e32 v17, vcc_hi, v4
	v_xor_b32_e32 v4, vcc_lo, v4
	v_lshlrev_b32_e32 v27, 29, v1
	v_and_b32_e32 v3, v3, v4
	v_cmp_gt_i64_e32 vcc, 0, v[26:27]
	v_not_b32_e32 v4, v27
	v_and_b32_e32 v2, exec_hi, v2
	v_ashrrev_i32_e32 v4, 31, v4
	v_and_b32_e32 v2, v2, v17
	v_xor_b32_e32 v17, vcc_hi, v4
	v_xor_b32_e32 v4, vcc_lo, v4
	v_lshlrev_b32_e32 v27, 28, v1
	v_and_b32_e32 v3, v3, v4
	v_cmp_gt_i64_e32 vcc, 0, v[26:27]
	v_not_b32_e32 v4, v27
	v_ashrrev_i32_e32 v4, 31, v4
	v_and_b32_e32 v2, v2, v17
	v_xor_b32_e32 v17, vcc_hi, v4
	v_xor_b32_e32 v4, vcc_lo, v4
	v_lshlrev_b32_e32 v27, 27, v1
	v_and_b32_e32 v3, v3, v4
	v_cmp_gt_i64_e32 vcc, 0, v[26:27]
	v_not_b32_e32 v4, v27
	;; [unrolled: 8-line block ×4, first 2 shown]
	v_ashrrev_i32_e32 v4, 31, v4
	v_lshlrev_b32_e32 v27, 24, v1
	v_and_b32_e32 v2, v2, v17
	v_xor_b32_e32 v17, vcc_hi, v4
	v_xor_b32_e32 v4, vcc_lo, v4
	v_cmp_gt_i64_e32 vcc, 0, v[26:27]
	v_not_b32_e32 v1, v27
	v_ashrrev_i32_e32 v1, 31, v1
	v_and_b32_e32 v3, v3, v4
	v_xor_b32_e32 v4, vcc_hi, v1
	v_xor_b32_e32 v1, vcc_lo, v1
	; wave barrier
	ds_read_b32 v7, v8 offset:32
	v_and_b32_e32 v2, v2, v17
	v_and_b32_e32 v1, v3, v1
	;; [unrolled: 1-line block ×3, first 2 shown]
	v_mbcnt_lo_u32_b32 v3, v1, 0
	v_mbcnt_hi_u32_b32 v17, v2, v3
	v_cmp_ne_u64_e32 vcc, 0, v[1:2]
	v_cmp_eq_u32_e64 s[38:39], 0, v17
	s_and_b64 s[40:41], vcc, s[38:39]
	; wave barrier
	s_and_saveexec_b64 s[38:39], s[40:41]
	s_cbranch_execz .LBB141_8
; %bb.7:                                ;   in Loop: Header=BB141_4 Depth=2
	v_bcnt_u32_b32 v1, v1, 0
	v_bcnt_u32_b32 v1, v2, v1
	s_waitcnt lgkmcnt(0)
	v_add_u32_e32 v1, v7, v1
	ds_write_b32 v8, v1 offset:32
.LBB141_8:                              ;   in Loop: Header=BB141_4 Depth=2
	s_or_b64 exec, exec, s[38:39]
	v_lshrrev_b64 v[1:2], v15, v[36:37]
	v_lshlrev_b32_e32 v2, 5, v1
	v_and_b32_e32 v2, 0x1fe0, v2
	v_add_u32_e32 v19, v50, v2
	v_and_b32_e32 v2, 1, v1
	v_add_co_u32_e32 v3, vcc, -1, v2
	v_addc_co_u32_e64 v4, s[38:39], 0, -1, vcc
	v_cmp_ne_u32_e32 vcc, 0, v2
	v_lshlrev_b32_e32 v27, 30, v1
	v_xor_b32_e32 v2, vcc_hi, v4
	v_xor_b32_e32 v3, vcc_lo, v3
	v_cmp_gt_i64_e32 vcc, 0, v[26:27]
	v_not_b32_e32 v4, v27
	v_ashrrev_i32_e32 v4, 31, v4
	v_and_b32_e32 v3, exec_lo, v3
	v_xor_b32_e32 v20, vcc_hi, v4
	v_xor_b32_e32 v4, vcc_lo, v4
	v_lshlrev_b32_e32 v27, 29, v1
	v_and_b32_e32 v3, v3, v4
	v_cmp_gt_i64_e32 vcc, 0, v[26:27]
	v_not_b32_e32 v4, v27
	v_and_b32_e32 v2, exec_hi, v2
	v_ashrrev_i32_e32 v4, 31, v4
	v_and_b32_e32 v2, v2, v20
	v_xor_b32_e32 v20, vcc_hi, v4
	v_xor_b32_e32 v4, vcc_lo, v4
	v_lshlrev_b32_e32 v27, 28, v1
	v_and_b32_e32 v3, v3, v4
	v_cmp_gt_i64_e32 vcc, 0, v[26:27]
	v_not_b32_e32 v4, v27
	v_ashrrev_i32_e32 v4, 31, v4
	v_and_b32_e32 v2, v2, v20
	v_xor_b32_e32 v20, vcc_hi, v4
	v_xor_b32_e32 v4, vcc_lo, v4
	v_lshlrev_b32_e32 v27, 27, v1
	v_and_b32_e32 v3, v3, v4
	v_cmp_gt_i64_e32 vcc, 0, v[26:27]
	v_not_b32_e32 v4, v27
	;; [unrolled: 8-line block ×4, first 2 shown]
	v_ashrrev_i32_e32 v4, 31, v4
	v_lshlrev_b32_e32 v27, 24, v1
	v_and_b32_e32 v2, v2, v20
	v_xor_b32_e32 v20, vcc_hi, v4
	v_xor_b32_e32 v4, vcc_lo, v4
	v_cmp_gt_i64_e32 vcc, 0, v[26:27]
	v_not_b32_e32 v1, v27
	v_ashrrev_i32_e32 v1, 31, v1
	v_and_b32_e32 v3, v3, v4
	v_xor_b32_e32 v4, vcc_hi, v1
	v_xor_b32_e32 v1, vcc_lo, v1
	; wave barrier
	ds_read_b32 v18, v19 offset:32
	v_and_b32_e32 v2, v2, v20
	v_and_b32_e32 v1, v3, v1
	;; [unrolled: 1-line block ×3, first 2 shown]
	v_mbcnt_lo_u32_b32 v3, v1, 0
	v_mbcnt_hi_u32_b32 v20, v2, v3
	v_cmp_ne_u64_e32 vcc, 0, v[1:2]
	v_cmp_eq_u32_e64 s[38:39], 0, v20
	s_and_b64 s[40:41], vcc, s[38:39]
	; wave barrier
	s_and_saveexec_b64 s[38:39], s[40:41]
	s_cbranch_execz .LBB141_10
; %bb.9:                                ;   in Loop: Header=BB141_4 Depth=2
	v_bcnt_u32_b32 v1, v1, 0
	v_bcnt_u32_b32 v1, v2, v1
	s_waitcnt lgkmcnt(0)
	v_add_u32_e32 v1, v18, v1
	ds_write_b32 v19, v1 offset:32
.LBB141_10:                             ;   in Loop: Header=BB141_4 Depth=2
	s_or_b64 exec, exec, s[38:39]
	v_lshrrev_b64 v[1:2], v15, v[34:35]
	v_lshlrev_b32_e32 v2, 5, v1
	v_and_b32_e32 v2, 0x1fe0, v2
	v_add_u32_e32 v22, v50, v2
	v_and_b32_e32 v2, 1, v1
	v_add_co_u32_e32 v3, vcc, -1, v2
	v_addc_co_u32_e64 v4, s[38:39], 0, -1, vcc
	v_cmp_ne_u32_e32 vcc, 0, v2
	v_lshlrev_b32_e32 v27, 30, v1
	v_xor_b32_e32 v2, vcc_hi, v4
	v_xor_b32_e32 v3, vcc_lo, v3
	v_cmp_gt_i64_e32 vcc, 0, v[26:27]
	v_not_b32_e32 v4, v27
	v_ashrrev_i32_e32 v4, 31, v4
	v_and_b32_e32 v3, exec_lo, v3
	v_xor_b32_e32 v23, vcc_hi, v4
	v_xor_b32_e32 v4, vcc_lo, v4
	v_lshlrev_b32_e32 v27, 29, v1
	v_and_b32_e32 v3, v3, v4
	v_cmp_gt_i64_e32 vcc, 0, v[26:27]
	v_not_b32_e32 v4, v27
	v_and_b32_e32 v2, exec_hi, v2
	v_ashrrev_i32_e32 v4, 31, v4
	v_and_b32_e32 v2, v2, v23
	v_xor_b32_e32 v23, vcc_hi, v4
	v_xor_b32_e32 v4, vcc_lo, v4
	v_lshlrev_b32_e32 v27, 28, v1
	v_and_b32_e32 v3, v3, v4
	v_cmp_gt_i64_e32 vcc, 0, v[26:27]
	v_not_b32_e32 v4, v27
	v_ashrrev_i32_e32 v4, 31, v4
	v_and_b32_e32 v2, v2, v23
	v_xor_b32_e32 v23, vcc_hi, v4
	v_xor_b32_e32 v4, vcc_lo, v4
	v_lshlrev_b32_e32 v27, 27, v1
	v_and_b32_e32 v3, v3, v4
	v_cmp_gt_i64_e32 vcc, 0, v[26:27]
	v_not_b32_e32 v4, v27
	;; [unrolled: 8-line block ×4, first 2 shown]
	v_ashrrev_i32_e32 v4, 31, v4
	v_lshlrev_b32_e32 v27, 24, v1
	v_and_b32_e32 v2, v2, v23
	v_xor_b32_e32 v23, vcc_hi, v4
	v_xor_b32_e32 v4, vcc_lo, v4
	v_cmp_gt_i64_e32 vcc, 0, v[26:27]
	v_not_b32_e32 v1, v27
	v_ashrrev_i32_e32 v1, 31, v1
	v_and_b32_e32 v3, v3, v4
	v_xor_b32_e32 v4, vcc_hi, v1
	v_xor_b32_e32 v1, vcc_lo, v1
	; wave barrier
	ds_read_b32 v21, v22 offset:32
	v_and_b32_e32 v2, v2, v23
	v_and_b32_e32 v1, v3, v1
	v_and_b32_e32 v2, v2, v4
	v_mbcnt_lo_u32_b32 v3, v1, 0
	v_mbcnt_hi_u32_b32 v23, v2, v3
	v_cmp_ne_u64_e32 vcc, 0, v[1:2]
	v_cmp_eq_u32_e64 s[38:39], 0, v23
	s_and_b64 s[40:41], vcc, s[38:39]
	; wave barrier
	s_and_saveexec_b64 s[38:39], s[40:41]
	s_cbranch_execz .LBB141_12
; %bb.11:                               ;   in Loop: Header=BB141_4 Depth=2
	v_bcnt_u32_b32 v1, v1, 0
	v_bcnt_u32_b32 v1, v2, v1
	s_waitcnt lgkmcnt(0)
	v_add_u32_e32 v1, v21, v1
	ds_write_b32 v22, v1 offset:32
.LBB141_12:                             ;   in Loop: Header=BB141_4 Depth=2
	s_or_b64 exec, exec, s[38:39]
	; wave barrier
	s_waitcnt lgkmcnt(0)
	s_barrier
	ds_read2_b64 v[1:4], v42 offset0:4 offset1:5
	s_waitcnt lgkmcnt(0)
	v_add_u32_e32 v24, v2, v1
	v_add3_u32 v4, v24, v3, v4
	s_nop 1
	v_mov_b32_dpp v24, v4 row_shr:1 row_mask:0xf bank_mask:0xf
	v_cndmask_b32_e64 v24, v24, 0, s[20:21]
	v_add_u32_e32 v4, v24, v4
	s_nop 1
	v_mov_b32_dpp v24, v4 row_shr:2 row_mask:0xf bank_mask:0xf
	v_cndmask_b32_e64 v24, 0, v24, s[22:23]
	v_add_u32_e32 v4, v4, v24
	;; [unrolled: 4-line block ×4, first 2 shown]
	s_nop 1
	v_mov_b32_dpp v24, v4 row_bcast:15 row_mask:0xf bank_mask:0xf
	v_cndmask_b32_e64 v24, v24, 0, s[28:29]
	v_add_u32_e32 v4, v4, v24
	s_nop 1
	v_mov_b32_dpp v24, v4 row_bcast:31 row_mask:0xf bank_mask:0xf
	v_cndmask_b32_e64 v24, 0, v24, s[6:7]
	v_add_u32_e32 v4, v4, v24
	s_and_saveexec_b64 s[38:39], s[8:9]
; %bb.13:                               ;   in Loop: Header=BB141_4 Depth=2
	ds_write_b32 v43, v4
; %bb.14:                               ;   in Loop: Header=BB141_4 Depth=2
	s_or_b64 exec, exec, s[38:39]
	s_waitcnt lgkmcnt(0)
	s_barrier
	s_and_saveexec_b64 s[38:39], s[0:1]
	s_cbranch_execz .LBB141_16
; %bb.15:                               ;   in Loop: Header=BB141_4 Depth=2
	ds_read_b32 v24, v49
	s_waitcnt lgkmcnt(0)
	s_nop 0
	v_mov_b32_dpp v25, v24 row_shr:1 row_mask:0xf bank_mask:0xf
	v_cndmask_b32_e64 v25, v25, 0, s[30:31]
	v_add_u32_e32 v24, v25, v24
	s_nop 1
	v_mov_b32_dpp v25, v24 row_shr:2 row_mask:0xf bank_mask:0xf
	v_cndmask_b32_e64 v25, 0, v25, s[34:35]
	v_add_u32_e32 v24, v24, v25
	;; [unrolled: 4-line block ×3, first 2 shown]
	ds_write_b32 v49, v24
.LBB141_16:                             ;   in Loop: Header=BB141_4 Depth=2
	s_or_b64 exec, exec, s[38:39]
	v_mov_b32_e32 v24, 0
	s_waitcnt lgkmcnt(0)
	s_barrier
	s_and_saveexec_b64 s[38:39], s[2:3]
; %bb.17:                               ;   in Loop: Header=BB141_4 Depth=2
	ds_read_b32 v24, v53
; %bb.18:                               ;   in Loop: Header=BB141_4 Depth=2
	s_or_b64 exec, exec, s[38:39]
	s_waitcnt lgkmcnt(0)
	v_add_u32_e32 v4, v24, v4
	ds_bpermute_b32 v4, v45, v4
	v_cmp_lt_u32_e32 vcc, 55, v15
	s_and_b64 vcc, exec, vcc
	s_mov_b64 s[38:39], -1
	s_waitcnt lgkmcnt(0)
	v_cndmask_b32_e64 v4, v4, v24, s[10:11]
	v_cndmask_b32_e64 v24, v4, 0, s[4:5]
	v_add_u32_e32 v25, v24, v1
	v_add_u32_e32 v1, v25, v2
	;; [unrolled: 1-line block ×3, first 2 shown]
	ds_write2_b64 v42, v[24:25], v[1:2] offset0:4 offset1:5
	s_waitcnt lgkmcnt(0)
	s_barrier
	ds_read_b32 v1, v5 offset:32
	ds_read_b32 v2, v8 offset:32
	;; [unrolled: 1-line block ×4, first 2 shown]
	s_waitcnt lgkmcnt(3)
	v_add_u32_e32 v55, v1, v6
	s_waitcnt lgkmcnt(2)
	v_add3_u32 v54, v17, v7, v2
	s_waitcnt lgkmcnt(1)
	v_add3_u32 v27, v20, v18, v3
	;; [unrolled: 2-line block ×3, first 2 shown]
                                        ; implicit-def: $vgpr3_vgpr4
                                        ; implicit-def: $vgpr20_vgpr21
                                        ; implicit-def: $vgpr22_vgpr23
                                        ; implicit-def: $vgpr5_vgpr6
	s_cbranch_vccnz .LBB141_3
; %bb.19:                               ;   in Loop: Header=BB141_4 Depth=2
	v_lshlrev_b32_e32 v5, 3, v55
	v_lshlrev_b32_e32 v6, 3, v54
	;; [unrolled: 1-line block ×4, first 2 shown]
	s_barrier
	ds_write_b64 v5, v[40:41]
	ds_write_b64 v6, v[38:39]
	ds_write_b64 v7, v[36:37]
	ds_write_b64 v8, v[34:35]
	s_waitcnt lgkmcnt(0)
	s_barrier
	ds_read2st64_b64 v[18:21], v48 offset1:1
	ds_read2st64_b64 v[1:4], v48 offset0:2 offset1:3
	s_waitcnt lgkmcnt(0)
	s_barrier
	ds_write_b64 v5, v[32:33]
	ds_write_b64 v6, v[13:14]
	;; [unrolled: 1-line block ×4, first 2 shown]
	s_waitcnt lgkmcnt(0)
	s_barrier
	ds_read2st64_b64 v[22:25], v48 offset1:1
	ds_read2st64_b64 v[5:8], v48 offset0:2 offset1:3
	v_add_co_u32_e32 v15, vcc, 8, v15
	v_addc_co_u32_e32 v16, vcc, 0, v16, vcc
	s_mov_b64 s[38:39], 0
	s_waitcnt lgkmcnt(0)
	s_barrier
	s_branch .LBB141_3
.LBB141_20:
	s_waitcnt lgkmcnt(1)
	v_add_co_u32_e32 v1, vcc, v11, v15
	v_addc_co_u32_e32 v2, vcc, v12, v16, vcc
	v_add_co_u32_e32 v11, vcc, v13, v17
	v_addc_co_u32_e32 v12, vcc, v14, v18, vcc
	s_waitcnt lgkmcnt(0)
	v_add_co_u32_e32 v3, vcc, v7, v3
	v_addc_co_u32_e32 v4, vcc, v8, v4, vcc
	v_add_co_u32_e32 v5, vcc, v9, v5
	s_add_u32 s0, s42, s44
	v_addc_co_u32_e32 v6, vcc, v10, v6, vcc
	s_addc_u32 s1, s43, s45
	v_lshlrev_b32_e32 v0, 3, v0
	v_mov_b32_e32 v7, s1
	v_add_co_u32_e32 v8, vcc, s0, v0
	v_addc_co_u32_e32 v7, vcc, 0, v7, vcc
	global_store_dwordx2 v0, v[1:2], s[0:1]
	s_movk_i32 s0, 0x1000
	v_add_co_u32_e32 v0, vcc, s0, v8
	v_addc_co_u32_e32 v1, vcc, 0, v7, vcc
	global_store_dwordx2 v[0:1], v[11:12], off
	v_add_co_u32_e32 v0, vcc, 0x2000, v8
	v_addc_co_u32_e32 v1, vcc, 0, v7, vcc
	global_store_dwordx2 v[0:1], v[3:4], off
	;; [unrolled: 3-line block ×3, first 2 shown]
	s_endpgm
	.section	.rodata,"a",@progbits
	.p2align	6, 0x0
	.amdhsa_kernel _Z17sort_pairs_kernelI22helper_blocked_blockedxLj512ELj4ELj10EEvPKT0_PS1_
		.amdhsa_group_segment_fixed_size 16384
		.amdhsa_private_segment_fixed_size 0
		.amdhsa_kernarg_size 272
		.amdhsa_user_sgpr_count 6
		.amdhsa_user_sgpr_private_segment_buffer 1
		.amdhsa_user_sgpr_dispatch_ptr 0
		.amdhsa_user_sgpr_queue_ptr 0
		.amdhsa_user_sgpr_kernarg_segment_ptr 1
		.amdhsa_user_sgpr_dispatch_id 0
		.amdhsa_user_sgpr_flat_scratch_init 0
		.amdhsa_user_sgpr_private_segment_size 0
		.amdhsa_uses_dynamic_stack 0
		.amdhsa_system_sgpr_private_segment_wavefront_offset 0
		.amdhsa_system_sgpr_workgroup_id_x 1
		.amdhsa_system_sgpr_workgroup_id_y 0
		.amdhsa_system_sgpr_workgroup_id_z 0
		.amdhsa_system_sgpr_workgroup_info 0
		.amdhsa_system_vgpr_workitem_id 2
		.amdhsa_next_free_vgpr 56
		.amdhsa_next_free_sgpr 61
		.amdhsa_reserve_vcc 1
		.amdhsa_reserve_flat_scratch 0
		.amdhsa_float_round_mode_32 0
		.amdhsa_float_round_mode_16_64 0
		.amdhsa_float_denorm_mode_32 3
		.amdhsa_float_denorm_mode_16_64 3
		.amdhsa_dx10_clamp 1
		.amdhsa_ieee_mode 1
		.amdhsa_fp16_overflow 0
		.amdhsa_exception_fp_ieee_invalid_op 0
		.amdhsa_exception_fp_denorm_src 0
		.amdhsa_exception_fp_ieee_div_zero 0
		.amdhsa_exception_fp_ieee_overflow 0
		.amdhsa_exception_fp_ieee_underflow 0
		.amdhsa_exception_fp_ieee_inexact 0
		.amdhsa_exception_int_div_zero 0
	.end_amdhsa_kernel
	.section	.text._Z17sort_pairs_kernelI22helper_blocked_blockedxLj512ELj4ELj10EEvPKT0_PS1_,"axG",@progbits,_Z17sort_pairs_kernelI22helper_blocked_blockedxLj512ELj4ELj10EEvPKT0_PS1_,comdat
.Lfunc_end141:
	.size	_Z17sort_pairs_kernelI22helper_blocked_blockedxLj512ELj4ELj10EEvPKT0_PS1_, .Lfunc_end141-_Z17sort_pairs_kernelI22helper_blocked_blockedxLj512ELj4ELj10EEvPKT0_PS1_
                                        ; -- End function
	.set _Z17sort_pairs_kernelI22helper_blocked_blockedxLj512ELj4ELj10EEvPKT0_PS1_.num_vgpr, 56
	.set _Z17sort_pairs_kernelI22helper_blocked_blockedxLj512ELj4ELj10EEvPKT0_PS1_.num_agpr, 0
	.set _Z17sort_pairs_kernelI22helper_blocked_blockedxLj512ELj4ELj10EEvPKT0_PS1_.numbered_sgpr, 48
	.set _Z17sort_pairs_kernelI22helper_blocked_blockedxLj512ELj4ELj10EEvPKT0_PS1_.num_named_barrier, 0
	.set _Z17sort_pairs_kernelI22helper_blocked_blockedxLj512ELj4ELj10EEvPKT0_PS1_.private_seg_size, 0
	.set _Z17sort_pairs_kernelI22helper_blocked_blockedxLj512ELj4ELj10EEvPKT0_PS1_.uses_vcc, 1
	.set _Z17sort_pairs_kernelI22helper_blocked_blockedxLj512ELj4ELj10EEvPKT0_PS1_.uses_flat_scratch, 0
	.set _Z17sort_pairs_kernelI22helper_blocked_blockedxLj512ELj4ELj10EEvPKT0_PS1_.has_dyn_sized_stack, 0
	.set _Z17sort_pairs_kernelI22helper_blocked_blockedxLj512ELj4ELj10EEvPKT0_PS1_.has_recursion, 0
	.set _Z17sort_pairs_kernelI22helper_blocked_blockedxLj512ELj4ELj10EEvPKT0_PS1_.has_indirect_call, 0
	.section	.AMDGPU.csdata,"",@progbits
; Kernel info:
; codeLenInByte = 4352
; TotalNumSgprs: 52
; NumVgprs: 56
; ScratchSize: 0
; MemoryBound: 0
; FloatMode: 240
; IeeeMode: 1
; LDSByteSize: 16384 bytes/workgroup (compile time only)
; SGPRBlocks: 8
; VGPRBlocks: 13
; NumSGPRsForWavesPerEU: 65
; NumVGPRsForWavesPerEU: 56
; Occupancy: 4
; WaveLimiterHint : 1
; COMPUTE_PGM_RSRC2:SCRATCH_EN: 0
; COMPUTE_PGM_RSRC2:USER_SGPR: 6
; COMPUTE_PGM_RSRC2:TRAP_HANDLER: 0
; COMPUTE_PGM_RSRC2:TGID_X_EN: 1
; COMPUTE_PGM_RSRC2:TGID_Y_EN: 0
; COMPUTE_PGM_RSRC2:TGID_Z_EN: 0
; COMPUTE_PGM_RSRC2:TIDIG_COMP_CNT: 2
	.section	.text._Z16sort_keys_kernelI22helper_blocked_blockedxLj512ELj8ELj10EEvPKT0_PS1_,"axG",@progbits,_Z16sort_keys_kernelI22helper_blocked_blockedxLj512ELj8ELj10EEvPKT0_PS1_,comdat
	.protected	_Z16sort_keys_kernelI22helper_blocked_blockedxLj512ELj8ELj10EEvPKT0_PS1_ ; -- Begin function _Z16sort_keys_kernelI22helper_blocked_blockedxLj512ELj8ELj10EEvPKT0_PS1_
	.globl	_Z16sort_keys_kernelI22helper_blocked_blockedxLj512ELj8ELj10EEvPKT0_PS1_
	.p2align	8
	.type	_Z16sort_keys_kernelI22helper_blocked_blockedxLj512ELj8ELj10EEvPKT0_PS1_,@function
_Z16sort_keys_kernelI22helper_blocked_blockedxLj512ELj8ELj10EEvPKT0_PS1_: ; @_Z16sort_keys_kernelI22helper_blocked_blockedxLj512ELj8ELj10EEvPKT0_PS1_
; %bb.0:
	s_load_dwordx4 s[28:31], s[4:5], 0x0
	s_load_dword s2, s[4:5], 0x1c
	s_lshl_b32 s34, s6, 12
	s_mov_b32 s35, 0
	s_lshl_b64 s[36:37], s[34:35], 3
	s_waitcnt lgkmcnt(0)
	s_add_u32 s0, s28, s36
	s_addc_u32 s1, s29, s37
	v_lshlrev_b32_e32 v23, 3, v0
	v_mov_b32_e32 v3, s1
	v_add_co_u32_e32 v15, vcc, s0, v23
	v_addc_co_u32_e32 v16, vcc, 0, v3, vcc
	s_movk_i32 s3, 0x2000
	v_add_co_u32_e32 v19, vcc, s3, v15
	v_addc_co_u32_e32 v20, vcc, 0, v16, vcc
	s_movk_i32 s3, 0x4000
	;; [unrolled: 3-line block ×4, first 2 shown]
	v_add_co_u32_e32 v21, vcc, s3, v15
	global_load_dwordx2 v[13:14], v[5:6], off offset:-4096
	global_load_dwordx2 v[7:8], v[5:6], off
	global_load_dwordx2 v[9:10], v[11:12], off offset:-4096
	global_load_dwordx2 v[3:4], v[11:12], off
	v_addc_co_u32_e32 v22, vcc, 0, v16, vcc
	global_load_dwordx2 v[15:16], v23, s[0:1]
	global_load_dwordx2 v[17:18], v[19:20], off offset:-4096
	global_load_dwordx2 v[11:12], v[19:20], off
	global_load_dwordx2 v[5:6], v[21:22], off
	s_lshr_b32 s0, s2, 16
	v_mbcnt_lo_u32_b32 v20, -1, 0
	s_and_b32 s1, s2, 0xffff
	v_mad_u32_u24 v1, v2, s0, v1
	v_mbcnt_hi_u32_b32 v20, -1, v20
	v_mad_u64_u32 v[1:2], s[0:1], v1, s1, v[0:1]
	v_and_b32_e32 v2, 15, v20
	v_and_b32_e32 v21, 0x1c0, v0
	v_cmp_eq_u32_e64 s[0:1], 0, v2
	v_cmp_lt_u32_e64 s[2:3], 1, v2
	v_cmp_lt_u32_e64 s[4:5], 3, v2
	;; [unrolled: 1-line block ×3, first 2 shown]
	v_and_b32_e32 v2, 16, v20
	v_cmp_eq_u32_e64 s[8:9], 0, v2
	v_or_b32_e32 v2, 63, v21
	v_add_lshl_u32 v41, v20, v21, 6
	v_cmp_eq_u32_e64 s[12:13], v0, v2
	v_subrev_co_u32_e64 v2, s[18:19], 1, v20
	v_and_b32_e32 v21, 64, v20
	v_cmp_lt_i32_e32 vcc, v2, v21
	v_lshlrev_b32_e32 v22, 6, v0
	v_cndmask_b32_e32 v2, v2, v20, vcc
	v_and_b32_e32 v22, 0x7000, v22
	v_lshlrev_b32_e32 v43, 4, v0
	v_lshlrev_b32_e32 v44, 2, v2
	v_lshrrev_b32_e32 v2, 4, v0
	v_lshrrev_b32_e32 v1, 4, v1
	s_mov_b32 s34, s35
	s_mov_b32 s28, s35
	v_lshl_or_b32 v42, v20, 3, v22
	v_and_b32_e32 v45, 28, v2
	v_mad_i32_i24 v46, v0, -12, v43
	v_and_b32_e32 v2, 7, v20
	v_and_b32_e32 v48, 0xffffffc, v1
	v_mul_u32_u24_e32 v1, 60, v0
	s_mov_b32 s29, s35
	v_mov_b32_e32 v21, s34
	v_mov_b32_e32 v23, s28
	;; [unrolled: 1-line block ×3, first 2 shown]
	v_cmp_lt_u32_e64 s[10:11], 31, v20
	v_cmp_gt_u32_e64 s[14:15], 8, v0
	v_cmp_lt_u32_e64 s[16:17], 63, v0
	v_cmp_eq_u32_e64 s[20:21], 0, v0
	v_cmp_eq_u32_e64 s[22:23], 0, v2
	v_cmp_lt_u32_e64 s[24:25], 1, v2
	v_cmp_lt_u32_e64 s[26:27], 3, v2
	v_add_u32_e32 v47, -4, v45
	v_mov_b32_e32 v22, s35
	v_mov_b32_e32 v24, s29
	v_add_u32_e32 v49, v46, v1
	s_branch .LBB142_2
.LBB142_1:                              ;   in Loop: Header=BB142_2 Depth=1
	v_lshlrev_b32_e32 v1, 3, v61
	s_barrier
	ds_write_b64 v1, v[39:40]
	v_lshlrev_b32_e32 v1, 3, v60
	ds_write_b64 v1, v[37:38]
	v_lshlrev_b32_e32 v1, 3, v59
	;; [unrolled: 2-line block ×7, first 2 shown]
	ds_write_b64 v1, v[17:18]
	s_waitcnt lgkmcnt(0)
	s_barrier
	ds_read2_b64 v[15:18], v49 offset1:1
	ds_read2_b64 v[11:14], v49 offset0:2 offset1:3
	ds_read2_b64 v[7:10], v49 offset0:4 offset1:5
	;; [unrolled: 1-line block ×3, first 2 shown]
	s_add_i32 s35, s35, 1
	s_waitcnt lgkmcnt(3)
	v_xor_b32_e32 v16, 0x80000000, v16
	v_xor_b32_e32 v18, 0x80000000, v18
	s_waitcnt lgkmcnt(2)
	v_xor_b32_e32 v12, 0x80000000, v12
	v_xor_b32_e32 v14, 0x80000000, v14
	;; [unrolled: 3-line block ×3, first 2 shown]
	s_waitcnt lgkmcnt(0)
	v_xor_b32_e32 v4, 0x80000000, v4
	s_cmp_eq_u32 s35, 10
	v_xor_b32_e32 v6, 0x80000000, v6
	s_cbranch_scc1 .LBB142_28
.LBB142_2:                              ; =>This Loop Header: Depth=1
                                        ;     Child Loop BB142_4 Depth 2
	s_waitcnt vmcnt(3)
	v_xor_b32_e32 v16, 0x80000000, v16
	s_waitcnt vmcnt(2)
	v_xor_b32_e32 v18, 0x80000000, v18
	;; [unrolled: 2-line block ×3, first 2 shown]
	v_xor_b32_e32 v14, 0x80000000, v14
	v_xor_b32_e32 v8, 0x80000000, v8
	v_xor_b32_e32 v10, 0x80000000, v10
	v_xor_b32_e32 v4, 0x80000000, v4
	s_waitcnt vmcnt(0)
	v_xor_b32_e32 v6, 0x80000000, v6
	ds_write2_b64 v41, v[15:16], v[17:18] offset1:1
	ds_write2_b64 v41, v[11:12], v[13:14] offset0:2 offset1:3
	ds_write2_b64 v41, v[7:8], v[9:10] offset0:4 offset1:5
	ds_write2_b64 v41, v[3:4], v[5:6] offset0:6 offset1:7
	; wave barrier
	ds_read2st64_b64 v[1:4], v42 offset1:1
	ds_read2st64_b64 v[5:8], v42 offset0:2 offset1:3
	ds_read2st64_b64 v[9:12], v42 offset0:4 offset1:5
	;; [unrolled: 1-line block ×3, first 2 shown]
	v_mov_b32_e32 v29, 0
	v_mov_b32_e32 v30, 0
	s_waitcnt lgkmcnt(0)
	s_barrier
	; wave barrier
	s_barrier
	s_branch .LBB142_4
.LBB142_3:                              ;   in Loop: Header=BB142_4 Depth=2
	s_andn2_b64 vcc, exec, s[28:29]
	s_cbranch_vccz .LBB142_1
.LBB142_4:                              ;   Parent Loop BB142_2 Depth=1
                                        ; =>  This Inner Loop Header: Depth=2
	v_mov_b32_e32 v40, v2
	v_mov_b32_e32 v39, v1
	v_lshrrev_b64 v[1:2], v29, v[39:40]
	v_mov_b32_e32 v36, v6
	v_lshlrev_b32_e32 v2, 5, v1
	v_and_b32_e32 v2, 0x1fe0, v2
	v_mov_b32_e32 v35, v5
	v_mov_b32_e32 v38, v4
	v_add_u32_e32 v5, v48, v2
	v_and_b32_e32 v2, 1, v1
	v_mov_b32_e32 v37, v3
	v_add_co_u32_e32 v3, vcc, -1, v2
	v_addc_co_u32_e64 v4, s[28:29], 0, -1, vcc
	v_cmp_ne_u32_e32 vcc, 0, v2
	v_lshlrev_b32_e32 v20, 30, v1
	v_xor_b32_e32 v2, vcc_hi, v4
	v_xor_b32_e32 v3, vcc_lo, v3
	v_cmp_gt_i64_e32 vcc, 0, v[19:20]
	v_not_b32_e32 v4, v20
	v_ashrrev_i32_e32 v4, 31, v4
	v_and_b32_e32 v3, exec_lo, v3
	v_xor_b32_e32 v6, vcc_hi, v4
	v_xor_b32_e32 v4, vcc_lo, v4
	v_lshlrev_b32_e32 v20, 29, v1
	v_and_b32_e32 v3, v3, v4
	v_cmp_gt_i64_e32 vcc, 0, v[19:20]
	v_not_b32_e32 v4, v20
	v_and_b32_e32 v2, exec_hi, v2
	v_ashrrev_i32_e32 v4, 31, v4
	v_and_b32_e32 v2, v2, v6
	v_xor_b32_e32 v6, vcc_hi, v4
	v_xor_b32_e32 v4, vcc_lo, v4
	v_lshlrev_b32_e32 v20, 28, v1
	v_and_b32_e32 v3, v3, v4
	v_cmp_gt_i64_e32 vcc, 0, v[19:20]
	v_not_b32_e32 v4, v20
	v_ashrrev_i32_e32 v4, 31, v4
	v_and_b32_e32 v2, v2, v6
	v_xor_b32_e32 v6, vcc_hi, v4
	v_xor_b32_e32 v4, vcc_lo, v4
	v_lshlrev_b32_e32 v20, 27, v1
	v_and_b32_e32 v3, v3, v4
	v_cmp_gt_i64_e32 vcc, 0, v[19:20]
	v_not_b32_e32 v4, v20
	;; [unrolled: 8-line block ×4, first 2 shown]
	v_ashrrev_i32_e32 v4, 31, v4
	v_lshlrev_b32_e32 v20, 24, v1
	v_and_b32_e32 v2, v2, v6
	v_xor_b32_e32 v6, vcc_hi, v4
	v_xor_b32_e32 v4, vcc_lo, v4
	v_cmp_gt_i64_e32 vcc, 0, v[19:20]
	v_not_b32_e32 v1, v20
	v_ashrrev_i32_e32 v1, 31, v1
	v_and_b32_e32 v3, v3, v4
	v_xor_b32_e32 v4, vcc_hi, v1
	v_xor_b32_e32 v1, vcc_lo, v1
	v_and_b32_e32 v2, v2, v6
	v_and_b32_e32 v1, v3, v1
	;; [unrolled: 1-line block ×3, first 2 shown]
	v_mbcnt_lo_u32_b32 v3, v1, 0
	v_mbcnt_hi_u32_b32 v6, v2, v3
	v_cmp_ne_u64_e32 vcc, 0, v[1:2]
	v_mov_b32_e32 v18, v16
	v_mov_b32_e32 v26, v14
	;; [unrolled: 1-line block ×5, first 2 shown]
	v_cmp_eq_u32_e64 s[28:29], 0, v6
	v_mov_b32_e32 v17, v15
	v_mov_b32_e32 v25, v13
	;; [unrolled: 1-line block ×5, first 2 shown]
	s_and_b64 s[38:39], vcc, s[28:29]
	ds_write2_b64 v43, v[21:22], v[23:24] offset0:4 offset1:5
	s_waitcnt lgkmcnt(0)
	s_barrier
	; wave barrier
	s_and_saveexec_b64 s[28:29], s[38:39]
; %bb.5:                                ;   in Loop: Header=BB142_4 Depth=2
	v_bcnt_u32_b32 v1, v1, 0
	v_bcnt_u32_b32 v1, v2, v1
	ds_write_b32 v5, v1 offset:32
; %bb.6:                                ;   in Loop: Header=BB142_4 Depth=2
	s_or_b64 exec, exec, s[28:29]
	v_lshrrev_b64 v[1:2], v29, v[37:38]
	v_lshlrev_b32_e32 v2, 5, v1
	v_and_b32_e32 v2, 0x1fe0, v2
	v_add_u32_e32 v8, v48, v2
	v_and_b32_e32 v2, 1, v1
	v_add_co_u32_e32 v3, vcc, -1, v2
	v_addc_co_u32_e64 v4, s[28:29], 0, -1, vcc
	v_cmp_ne_u32_e32 vcc, 0, v2
	v_lshlrev_b32_e32 v20, 30, v1
	v_xor_b32_e32 v2, vcc_hi, v4
	v_xor_b32_e32 v3, vcc_lo, v3
	v_cmp_gt_i64_e32 vcc, 0, v[19:20]
	v_not_b32_e32 v4, v20
	v_ashrrev_i32_e32 v4, 31, v4
	v_and_b32_e32 v3, exec_lo, v3
	v_xor_b32_e32 v9, vcc_hi, v4
	v_xor_b32_e32 v4, vcc_lo, v4
	v_lshlrev_b32_e32 v20, 29, v1
	v_and_b32_e32 v3, v3, v4
	v_cmp_gt_i64_e32 vcc, 0, v[19:20]
	v_not_b32_e32 v4, v20
	v_and_b32_e32 v2, exec_hi, v2
	v_ashrrev_i32_e32 v4, 31, v4
	v_and_b32_e32 v2, v2, v9
	v_xor_b32_e32 v9, vcc_hi, v4
	v_xor_b32_e32 v4, vcc_lo, v4
	v_lshlrev_b32_e32 v20, 28, v1
	v_and_b32_e32 v3, v3, v4
	v_cmp_gt_i64_e32 vcc, 0, v[19:20]
	v_not_b32_e32 v4, v20
	v_ashrrev_i32_e32 v4, 31, v4
	v_and_b32_e32 v2, v2, v9
	v_xor_b32_e32 v9, vcc_hi, v4
	v_xor_b32_e32 v4, vcc_lo, v4
	v_lshlrev_b32_e32 v20, 27, v1
	v_and_b32_e32 v3, v3, v4
	v_cmp_gt_i64_e32 vcc, 0, v[19:20]
	v_not_b32_e32 v4, v20
	;; [unrolled: 8-line block ×4, first 2 shown]
	v_ashrrev_i32_e32 v4, 31, v4
	v_lshlrev_b32_e32 v20, 24, v1
	v_and_b32_e32 v2, v2, v9
	v_xor_b32_e32 v9, vcc_hi, v4
	v_xor_b32_e32 v4, vcc_lo, v4
	v_cmp_gt_i64_e32 vcc, 0, v[19:20]
	v_not_b32_e32 v1, v20
	v_ashrrev_i32_e32 v1, 31, v1
	v_and_b32_e32 v3, v3, v4
	v_xor_b32_e32 v4, vcc_hi, v1
	v_xor_b32_e32 v1, vcc_lo, v1
	; wave barrier
	ds_read_b32 v7, v8 offset:32
	v_and_b32_e32 v2, v2, v9
	v_and_b32_e32 v1, v3, v1
	;; [unrolled: 1-line block ×3, first 2 shown]
	v_mbcnt_lo_u32_b32 v3, v1, 0
	v_mbcnt_hi_u32_b32 v9, v2, v3
	v_cmp_ne_u64_e32 vcc, 0, v[1:2]
	v_cmp_eq_u32_e64 s[28:29], 0, v9
	s_and_b64 s[38:39], vcc, s[28:29]
	; wave barrier
	s_and_saveexec_b64 s[28:29], s[38:39]
	s_cbranch_execz .LBB142_8
; %bb.7:                                ;   in Loop: Header=BB142_4 Depth=2
	v_bcnt_u32_b32 v1, v1, 0
	v_bcnt_u32_b32 v1, v2, v1
	s_waitcnt lgkmcnt(0)
	v_add_u32_e32 v1, v7, v1
	ds_write_b32 v8, v1 offset:32
.LBB142_8:                              ;   in Loop: Header=BB142_4 Depth=2
	s_or_b64 exec, exec, s[28:29]
	v_lshrrev_b64 v[1:2], v29, v[35:36]
	v_lshlrev_b32_e32 v2, 5, v1
	v_and_b32_e32 v2, 0x1fe0, v2
	v_add_u32_e32 v11, v48, v2
	v_and_b32_e32 v2, 1, v1
	v_add_co_u32_e32 v3, vcc, -1, v2
	v_addc_co_u32_e64 v4, s[28:29], 0, -1, vcc
	v_cmp_ne_u32_e32 vcc, 0, v2
	v_lshlrev_b32_e32 v20, 30, v1
	v_xor_b32_e32 v2, vcc_hi, v4
	v_xor_b32_e32 v3, vcc_lo, v3
	v_cmp_gt_i64_e32 vcc, 0, v[19:20]
	v_not_b32_e32 v4, v20
	v_ashrrev_i32_e32 v4, 31, v4
	v_and_b32_e32 v3, exec_lo, v3
	v_xor_b32_e32 v12, vcc_hi, v4
	v_xor_b32_e32 v4, vcc_lo, v4
	v_lshlrev_b32_e32 v20, 29, v1
	v_and_b32_e32 v3, v3, v4
	v_cmp_gt_i64_e32 vcc, 0, v[19:20]
	v_not_b32_e32 v4, v20
	v_and_b32_e32 v2, exec_hi, v2
	v_ashrrev_i32_e32 v4, 31, v4
	v_and_b32_e32 v2, v2, v12
	v_xor_b32_e32 v12, vcc_hi, v4
	v_xor_b32_e32 v4, vcc_lo, v4
	v_lshlrev_b32_e32 v20, 28, v1
	v_and_b32_e32 v3, v3, v4
	v_cmp_gt_i64_e32 vcc, 0, v[19:20]
	v_not_b32_e32 v4, v20
	v_ashrrev_i32_e32 v4, 31, v4
	v_and_b32_e32 v2, v2, v12
	v_xor_b32_e32 v12, vcc_hi, v4
	v_xor_b32_e32 v4, vcc_lo, v4
	v_lshlrev_b32_e32 v20, 27, v1
	v_and_b32_e32 v3, v3, v4
	v_cmp_gt_i64_e32 vcc, 0, v[19:20]
	v_not_b32_e32 v4, v20
	;; [unrolled: 8-line block ×4, first 2 shown]
	v_ashrrev_i32_e32 v4, 31, v4
	v_lshlrev_b32_e32 v20, 24, v1
	v_and_b32_e32 v2, v2, v12
	v_xor_b32_e32 v12, vcc_hi, v4
	v_xor_b32_e32 v4, vcc_lo, v4
	v_cmp_gt_i64_e32 vcc, 0, v[19:20]
	v_not_b32_e32 v1, v20
	v_ashrrev_i32_e32 v1, 31, v1
	v_and_b32_e32 v3, v3, v4
	v_xor_b32_e32 v4, vcc_hi, v1
	v_xor_b32_e32 v1, vcc_lo, v1
	; wave barrier
	ds_read_b32 v10, v11 offset:32
	v_and_b32_e32 v2, v2, v12
	v_and_b32_e32 v1, v3, v1
	;; [unrolled: 1-line block ×3, first 2 shown]
	v_mbcnt_lo_u32_b32 v3, v1, 0
	v_mbcnt_hi_u32_b32 v12, v2, v3
	v_cmp_ne_u64_e32 vcc, 0, v[1:2]
	v_cmp_eq_u32_e64 s[28:29], 0, v12
	s_and_b64 s[38:39], vcc, s[28:29]
	; wave barrier
	s_and_saveexec_b64 s[28:29], s[38:39]
	s_cbranch_execz .LBB142_10
; %bb.9:                                ;   in Loop: Header=BB142_4 Depth=2
	v_bcnt_u32_b32 v1, v1, 0
	v_bcnt_u32_b32 v1, v2, v1
	s_waitcnt lgkmcnt(0)
	v_add_u32_e32 v1, v10, v1
	ds_write_b32 v11, v1 offset:32
.LBB142_10:                             ;   in Loop: Header=BB142_4 Depth=2
	s_or_b64 exec, exec, s[28:29]
	v_lshrrev_b64 v[1:2], v29, v[33:34]
	v_lshlrev_b32_e32 v2, 5, v1
	v_and_b32_e32 v2, 0x1fe0, v2
	v_add_u32_e32 v14, v48, v2
	v_and_b32_e32 v2, 1, v1
	v_add_co_u32_e32 v3, vcc, -1, v2
	v_addc_co_u32_e64 v4, s[28:29], 0, -1, vcc
	v_cmp_ne_u32_e32 vcc, 0, v2
	v_lshlrev_b32_e32 v20, 30, v1
	v_xor_b32_e32 v2, vcc_hi, v4
	v_xor_b32_e32 v3, vcc_lo, v3
	v_cmp_gt_i64_e32 vcc, 0, v[19:20]
	v_not_b32_e32 v4, v20
	v_ashrrev_i32_e32 v4, 31, v4
	v_and_b32_e32 v3, exec_lo, v3
	v_xor_b32_e32 v15, vcc_hi, v4
	v_xor_b32_e32 v4, vcc_lo, v4
	v_lshlrev_b32_e32 v20, 29, v1
	v_and_b32_e32 v3, v3, v4
	v_cmp_gt_i64_e32 vcc, 0, v[19:20]
	v_not_b32_e32 v4, v20
	v_and_b32_e32 v2, exec_hi, v2
	v_ashrrev_i32_e32 v4, 31, v4
	v_and_b32_e32 v2, v2, v15
	v_xor_b32_e32 v15, vcc_hi, v4
	v_xor_b32_e32 v4, vcc_lo, v4
	v_lshlrev_b32_e32 v20, 28, v1
	v_and_b32_e32 v3, v3, v4
	v_cmp_gt_i64_e32 vcc, 0, v[19:20]
	v_not_b32_e32 v4, v20
	v_ashrrev_i32_e32 v4, 31, v4
	v_and_b32_e32 v2, v2, v15
	v_xor_b32_e32 v15, vcc_hi, v4
	v_xor_b32_e32 v4, vcc_lo, v4
	v_lshlrev_b32_e32 v20, 27, v1
	v_and_b32_e32 v3, v3, v4
	v_cmp_gt_i64_e32 vcc, 0, v[19:20]
	v_not_b32_e32 v4, v20
	;; [unrolled: 8-line block ×4, first 2 shown]
	v_ashrrev_i32_e32 v4, 31, v4
	v_lshlrev_b32_e32 v20, 24, v1
	v_and_b32_e32 v2, v2, v15
	v_xor_b32_e32 v15, vcc_hi, v4
	v_xor_b32_e32 v4, vcc_lo, v4
	v_cmp_gt_i64_e32 vcc, 0, v[19:20]
	v_not_b32_e32 v1, v20
	v_ashrrev_i32_e32 v1, 31, v1
	v_and_b32_e32 v3, v3, v4
	v_xor_b32_e32 v4, vcc_hi, v1
	v_xor_b32_e32 v1, vcc_lo, v1
	; wave barrier
	ds_read_b32 v13, v14 offset:32
	v_and_b32_e32 v2, v2, v15
	v_and_b32_e32 v1, v3, v1
	;; [unrolled: 1-line block ×3, first 2 shown]
	v_mbcnt_lo_u32_b32 v3, v1, 0
	v_mbcnt_hi_u32_b32 v15, v2, v3
	v_cmp_ne_u64_e32 vcc, 0, v[1:2]
	v_cmp_eq_u32_e64 s[28:29], 0, v15
	s_and_b64 s[38:39], vcc, s[28:29]
	; wave barrier
	s_and_saveexec_b64 s[28:29], s[38:39]
	s_cbranch_execz .LBB142_12
; %bb.11:                               ;   in Loop: Header=BB142_4 Depth=2
	v_bcnt_u32_b32 v1, v1, 0
	v_bcnt_u32_b32 v1, v2, v1
	s_waitcnt lgkmcnt(0)
	v_add_u32_e32 v1, v13, v1
	ds_write_b32 v14, v1 offset:32
.LBB142_12:                             ;   in Loop: Header=BB142_4 Depth=2
	s_or_b64 exec, exec, s[28:29]
	v_lshrrev_b64 v[1:2], v29, v[31:32]
	v_lshlrev_b32_e32 v2, 5, v1
	v_and_b32_e32 v2, 0x1fe0, v2
	v_add_u32_e32 v50, v48, v2
	v_and_b32_e32 v2, 1, v1
	v_add_co_u32_e32 v3, vcc, -1, v2
	v_addc_co_u32_e64 v4, s[28:29], 0, -1, vcc
	v_cmp_ne_u32_e32 vcc, 0, v2
	v_lshlrev_b32_e32 v20, 30, v1
	v_xor_b32_e32 v2, vcc_hi, v4
	v_xor_b32_e32 v3, vcc_lo, v3
	v_cmp_gt_i64_e32 vcc, 0, v[19:20]
	v_not_b32_e32 v4, v20
	v_ashrrev_i32_e32 v4, 31, v4
	v_and_b32_e32 v2, exec_hi, v2
	v_xor_b32_e32 v20, vcc_hi, v4
	v_and_b32_e32 v3, exec_lo, v3
	v_xor_b32_e32 v4, vcc_lo, v4
	v_and_b32_e32 v2, v2, v20
	v_lshlrev_b32_e32 v20, 29, v1
	v_and_b32_e32 v3, v3, v4
	v_cmp_gt_i64_e32 vcc, 0, v[19:20]
	v_not_b32_e32 v4, v20
	v_ashrrev_i32_e32 v4, 31, v4
	v_xor_b32_e32 v20, vcc_hi, v4
	v_xor_b32_e32 v4, vcc_lo, v4
	v_and_b32_e32 v2, v2, v20
	v_lshlrev_b32_e32 v20, 28, v1
	v_and_b32_e32 v3, v3, v4
	v_cmp_gt_i64_e32 vcc, 0, v[19:20]
	v_not_b32_e32 v4, v20
	v_ashrrev_i32_e32 v4, 31, v4
	v_xor_b32_e32 v20, vcc_hi, v4
	;; [unrolled: 8-line block ×5, first 2 shown]
	v_and_b32_e32 v2, v2, v20
	v_lshlrev_b32_e32 v20, 24, v1
	v_xor_b32_e32 v4, vcc_lo, v4
	v_cmp_gt_i64_e32 vcc, 0, v[19:20]
	v_not_b32_e32 v1, v20
	v_ashrrev_i32_e32 v1, 31, v1
	v_and_b32_e32 v3, v3, v4
	v_xor_b32_e32 v4, vcc_hi, v1
	v_xor_b32_e32 v1, vcc_lo, v1
	; wave barrier
	ds_read_b32 v16, v50 offset:32
	v_and_b32_e32 v1, v3, v1
	v_and_b32_e32 v2, v2, v4
	v_mbcnt_lo_u32_b32 v3, v1, 0
	v_mbcnt_hi_u32_b32 v51, v2, v3
	v_cmp_ne_u64_e32 vcc, 0, v[1:2]
	v_cmp_eq_u32_e64 s[28:29], 0, v51
	s_and_b64 s[38:39], vcc, s[28:29]
	; wave barrier
	s_and_saveexec_b64 s[28:29], s[38:39]
	s_cbranch_execz .LBB142_14
; %bb.13:                               ;   in Loop: Header=BB142_4 Depth=2
	v_bcnt_u32_b32 v1, v1, 0
	v_bcnt_u32_b32 v1, v2, v1
	s_waitcnt lgkmcnt(0)
	v_add_u32_e32 v1, v16, v1
	ds_write_b32 v50, v1 offset:32
.LBB142_14:                             ;   in Loop: Header=BB142_4 Depth=2
	s_or_b64 exec, exec, s[28:29]
	v_lshrrev_b64 v[1:2], v29, v[27:28]
	v_lshlrev_b32_e32 v2, 5, v1
	v_and_b32_e32 v2, 0x1fe0, v2
	v_add_u32_e32 v53, v48, v2
	v_and_b32_e32 v2, 1, v1
	v_add_co_u32_e32 v3, vcc, -1, v2
	v_addc_co_u32_e64 v4, s[28:29], 0, -1, vcc
	v_cmp_ne_u32_e32 vcc, 0, v2
	v_lshlrev_b32_e32 v20, 30, v1
	v_xor_b32_e32 v2, vcc_hi, v4
	v_xor_b32_e32 v3, vcc_lo, v3
	v_cmp_gt_i64_e32 vcc, 0, v[19:20]
	v_not_b32_e32 v4, v20
	v_ashrrev_i32_e32 v4, 31, v4
	v_and_b32_e32 v2, exec_hi, v2
	v_xor_b32_e32 v20, vcc_hi, v4
	v_and_b32_e32 v3, exec_lo, v3
	v_xor_b32_e32 v4, vcc_lo, v4
	v_and_b32_e32 v2, v2, v20
	v_lshlrev_b32_e32 v20, 29, v1
	v_and_b32_e32 v3, v3, v4
	v_cmp_gt_i64_e32 vcc, 0, v[19:20]
	v_not_b32_e32 v4, v20
	v_ashrrev_i32_e32 v4, 31, v4
	v_xor_b32_e32 v20, vcc_hi, v4
	v_xor_b32_e32 v4, vcc_lo, v4
	v_and_b32_e32 v2, v2, v20
	v_lshlrev_b32_e32 v20, 28, v1
	v_and_b32_e32 v3, v3, v4
	v_cmp_gt_i64_e32 vcc, 0, v[19:20]
	v_not_b32_e32 v4, v20
	v_ashrrev_i32_e32 v4, 31, v4
	v_xor_b32_e32 v20, vcc_hi, v4
	;; [unrolled: 8-line block ×5, first 2 shown]
	v_and_b32_e32 v2, v2, v20
	v_lshlrev_b32_e32 v20, 24, v1
	v_xor_b32_e32 v4, vcc_lo, v4
	v_cmp_gt_i64_e32 vcc, 0, v[19:20]
	v_not_b32_e32 v1, v20
	v_ashrrev_i32_e32 v1, 31, v1
	v_and_b32_e32 v3, v3, v4
	v_xor_b32_e32 v4, vcc_hi, v1
	v_xor_b32_e32 v1, vcc_lo, v1
	; wave barrier
	ds_read_b32 v52, v53 offset:32
	v_and_b32_e32 v1, v3, v1
	v_and_b32_e32 v2, v2, v4
	v_mbcnt_lo_u32_b32 v3, v1, 0
	v_mbcnt_hi_u32_b32 v54, v2, v3
	v_cmp_ne_u64_e32 vcc, 0, v[1:2]
	v_cmp_eq_u32_e64 s[28:29], 0, v54
	s_and_b64 s[38:39], vcc, s[28:29]
	; wave barrier
	s_and_saveexec_b64 s[28:29], s[38:39]
	s_cbranch_execz .LBB142_16
; %bb.15:                               ;   in Loop: Header=BB142_4 Depth=2
	v_bcnt_u32_b32 v1, v1, 0
	v_bcnt_u32_b32 v1, v2, v1
	s_waitcnt lgkmcnt(0)
	v_add_u32_e32 v1, v52, v1
	ds_write_b32 v53, v1 offset:32
.LBB142_16:                             ;   in Loop: Header=BB142_4 Depth=2
	s_or_b64 exec, exec, s[28:29]
	v_lshrrev_b64 v[1:2], v29, v[25:26]
	v_lshlrev_b32_e32 v2, 5, v1
	v_and_b32_e32 v2, 0x1fe0, v2
	v_add_u32_e32 v56, v48, v2
	v_and_b32_e32 v2, 1, v1
	v_add_co_u32_e32 v3, vcc, -1, v2
	v_addc_co_u32_e64 v4, s[28:29], 0, -1, vcc
	v_cmp_ne_u32_e32 vcc, 0, v2
	v_lshlrev_b32_e32 v20, 30, v1
	v_xor_b32_e32 v2, vcc_hi, v4
	v_xor_b32_e32 v3, vcc_lo, v3
	v_cmp_gt_i64_e32 vcc, 0, v[19:20]
	v_not_b32_e32 v4, v20
	v_ashrrev_i32_e32 v4, 31, v4
	v_and_b32_e32 v2, exec_hi, v2
	v_xor_b32_e32 v20, vcc_hi, v4
	v_and_b32_e32 v3, exec_lo, v3
	v_xor_b32_e32 v4, vcc_lo, v4
	v_and_b32_e32 v2, v2, v20
	v_lshlrev_b32_e32 v20, 29, v1
	v_and_b32_e32 v3, v3, v4
	v_cmp_gt_i64_e32 vcc, 0, v[19:20]
	v_not_b32_e32 v4, v20
	v_ashrrev_i32_e32 v4, 31, v4
	v_xor_b32_e32 v20, vcc_hi, v4
	v_xor_b32_e32 v4, vcc_lo, v4
	v_and_b32_e32 v2, v2, v20
	v_lshlrev_b32_e32 v20, 28, v1
	v_and_b32_e32 v3, v3, v4
	v_cmp_gt_i64_e32 vcc, 0, v[19:20]
	v_not_b32_e32 v4, v20
	v_ashrrev_i32_e32 v4, 31, v4
	v_xor_b32_e32 v20, vcc_hi, v4
	;; [unrolled: 8-line block ×5, first 2 shown]
	v_and_b32_e32 v2, v2, v20
	v_lshlrev_b32_e32 v20, 24, v1
	v_xor_b32_e32 v4, vcc_lo, v4
	v_cmp_gt_i64_e32 vcc, 0, v[19:20]
	v_not_b32_e32 v1, v20
	v_ashrrev_i32_e32 v1, 31, v1
	v_and_b32_e32 v3, v3, v4
	v_xor_b32_e32 v4, vcc_hi, v1
	v_xor_b32_e32 v1, vcc_lo, v1
	; wave barrier
	ds_read_b32 v55, v56 offset:32
	v_and_b32_e32 v1, v3, v1
	v_and_b32_e32 v2, v2, v4
	v_mbcnt_lo_u32_b32 v3, v1, 0
	v_mbcnt_hi_u32_b32 v57, v2, v3
	v_cmp_ne_u64_e32 vcc, 0, v[1:2]
	v_cmp_eq_u32_e64 s[28:29], 0, v57
	s_and_b64 s[38:39], vcc, s[28:29]
	; wave barrier
	s_and_saveexec_b64 s[28:29], s[38:39]
	s_cbranch_execz .LBB142_18
; %bb.17:                               ;   in Loop: Header=BB142_4 Depth=2
	v_bcnt_u32_b32 v1, v1, 0
	v_bcnt_u32_b32 v1, v2, v1
	s_waitcnt lgkmcnt(0)
	v_add_u32_e32 v1, v55, v1
	ds_write_b32 v56, v1 offset:32
.LBB142_18:                             ;   in Loop: Header=BB142_4 Depth=2
	s_or_b64 exec, exec, s[28:29]
	v_lshrrev_b64 v[1:2], v29, v[17:18]
	v_lshlrev_b32_e32 v2, 5, v1
	v_and_b32_e32 v2, 0x1fe0, v2
	v_add_u32_e32 v59, v48, v2
	v_and_b32_e32 v2, 1, v1
	v_add_co_u32_e32 v3, vcc, -1, v2
	v_addc_co_u32_e64 v4, s[28:29], 0, -1, vcc
	v_cmp_ne_u32_e32 vcc, 0, v2
	v_lshlrev_b32_e32 v20, 30, v1
	v_xor_b32_e32 v2, vcc_hi, v4
	v_xor_b32_e32 v3, vcc_lo, v3
	v_cmp_gt_i64_e32 vcc, 0, v[19:20]
	v_not_b32_e32 v4, v20
	v_ashrrev_i32_e32 v4, 31, v4
	v_and_b32_e32 v2, exec_hi, v2
	v_xor_b32_e32 v20, vcc_hi, v4
	v_and_b32_e32 v3, exec_lo, v3
	v_xor_b32_e32 v4, vcc_lo, v4
	v_and_b32_e32 v2, v2, v20
	v_lshlrev_b32_e32 v20, 29, v1
	v_and_b32_e32 v3, v3, v4
	v_cmp_gt_i64_e32 vcc, 0, v[19:20]
	v_not_b32_e32 v4, v20
	v_ashrrev_i32_e32 v4, 31, v4
	v_xor_b32_e32 v20, vcc_hi, v4
	v_xor_b32_e32 v4, vcc_lo, v4
	v_and_b32_e32 v2, v2, v20
	v_lshlrev_b32_e32 v20, 28, v1
	v_and_b32_e32 v3, v3, v4
	v_cmp_gt_i64_e32 vcc, 0, v[19:20]
	v_not_b32_e32 v4, v20
	v_ashrrev_i32_e32 v4, 31, v4
	v_xor_b32_e32 v20, vcc_hi, v4
	;; [unrolled: 8-line block ×5, first 2 shown]
	v_and_b32_e32 v2, v2, v20
	v_lshlrev_b32_e32 v20, 24, v1
	v_xor_b32_e32 v4, vcc_lo, v4
	v_cmp_gt_i64_e32 vcc, 0, v[19:20]
	v_not_b32_e32 v1, v20
	v_ashrrev_i32_e32 v1, 31, v1
	v_and_b32_e32 v3, v3, v4
	v_xor_b32_e32 v4, vcc_hi, v1
	v_xor_b32_e32 v1, vcc_lo, v1
	; wave barrier
	ds_read_b32 v58, v59 offset:32
	v_and_b32_e32 v1, v3, v1
	v_and_b32_e32 v2, v2, v4
	v_mbcnt_lo_u32_b32 v3, v1, 0
	v_mbcnt_hi_u32_b32 v20, v2, v3
	v_cmp_ne_u64_e32 vcc, 0, v[1:2]
	v_cmp_eq_u32_e64 s[28:29], 0, v20
	s_and_b64 s[38:39], vcc, s[28:29]
	; wave barrier
	s_and_saveexec_b64 s[28:29], s[38:39]
	s_cbranch_execz .LBB142_20
; %bb.19:                               ;   in Loop: Header=BB142_4 Depth=2
	v_bcnt_u32_b32 v1, v1, 0
	v_bcnt_u32_b32 v1, v2, v1
	s_waitcnt lgkmcnt(0)
	v_add_u32_e32 v1, v58, v1
	ds_write_b32 v59, v1 offset:32
.LBB142_20:                             ;   in Loop: Header=BB142_4 Depth=2
	s_or_b64 exec, exec, s[28:29]
	; wave barrier
	s_waitcnt lgkmcnt(0)
	s_barrier
	ds_read2_b64 v[1:4], v43 offset0:4 offset1:5
	s_waitcnt lgkmcnt(0)
	v_add_u32_e32 v60, v2, v1
	v_add3_u32 v4, v60, v3, v4
	s_nop 1
	v_mov_b32_dpp v60, v4 row_shr:1 row_mask:0xf bank_mask:0xf
	v_cndmask_b32_e64 v60, v60, 0, s[0:1]
	v_add_u32_e32 v4, v60, v4
	s_nop 1
	v_mov_b32_dpp v60, v4 row_shr:2 row_mask:0xf bank_mask:0xf
	v_cndmask_b32_e64 v60, 0, v60, s[2:3]
	v_add_u32_e32 v4, v4, v60
	;; [unrolled: 4-line block ×4, first 2 shown]
	s_nop 1
	v_mov_b32_dpp v60, v4 row_bcast:15 row_mask:0xf bank_mask:0xf
	v_cndmask_b32_e64 v60, v60, 0, s[8:9]
	v_add_u32_e32 v4, v4, v60
	s_nop 1
	v_mov_b32_dpp v60, v4 row_bcast:31 row_mask:0xf bank_mask:0xf
	v_cndmask_b32_e64 v60, 0, v60, s[10:11]
	v_add_u32_e32 v4, v4, v60
	s_and_saveexec_b64 s[28:29], s[12:13]
; %bb.21:                               ;   in Loop: Header=BB142_4 Depth=2
	ds_write_b32 v45, v4
; %bb.22:                               ;   in Loop: Header=BB142_4 Depth=2
	s_or_b64 exec, exec, s[28:29]
	s_waitcnt lgkmcnt(0)
	s_barrier
	s_and_saveexec_b64 s[28:29], s[14:15]
	s_cbranch_execz .LBB142_24
; %bb.23:                               ;   in Loop: Header=BB142_4 Depth=2
	ds_read_b32 v60, v46
	s_waitcnt lgkmcnt(0)
	s_nop 0
	v_mov_b32_dpp v61, v60 row_shr:1 row_mask:0xf bank_mask:0xf
	v_cndmask_b32_e64 v61, v61, 0, s[22:23]
	v_add_u32_e32 v60, v61, v60
	s_nop 1
	v_mov_b32_dpp v61, v60 row_shr:2 row_mask:0xf bank_mask:0xf
	v_cndmask_b32_e64 v61, 0, v61, s[24:25]
	v_add_u32_e32 v60, v60, v61
	;; [unrolled: 4-line block ×3, first 2 shown]
	ds_write_b32 v46, v60
.LBB142_24:                             ;   in Loop: Header=BB142_4 Depth=2
	s_or_b64 exec, exec, s[28:29]
	v_mov_b32_e32 v60, 0
	s_waitcnt lgkmcnt(0)
	s_barrier
	s_and_saveexec_b64 s[28:29], s[16:17]
; %bb.25:                               ;   in Loop: Header=BB142_4 Depth=2
	ds_read_b32 v60, v47
; %bb.26:                               ;   in Loop: Header=BB142_4 Depth=2
	s_or_b64 exec, exec, s[28:29]
	s_waitcnt lgkmcnt(0)
	v_add_u32_e32 v4, v60, v4
	ds_bpermute_b32 v4, v44, v4
	v_cmp_lt_u32_e32 vcc, 55, v29
	s_and_b64 vcc, exec, vcc
	s_mov_b64 s[28:29], -1
	s_waitcnt lgkmcnt(0)
	v_cndmask_b32_e64 v4, v4, v60, s[18:19]
	v_cndmask_b32_e64 v60, v4, 0, s[20:21]
	v_add_u32_e32 v61, v60, v1
	v_add_u32_e32 v1, v61, v2
	;; [unrolled: 1-line block ×3, first 2 shown]
	ds_write2_b64 v43, v[60:61], v[1:2] offset0:4 offset1:5
	s_waitcnt lgkmcnt(0)
	s_barrier
	ds_read_b32 v1, v5 offset:32
	ds_read_b32 v2, v8 offset:32
	;; [unrolled: 1-line block ×8, first 2 shown]
	s_waitcnt lgkmcnt(7)
	v_add_u32_e32 v61, v1, v6
	s_waitcnt lgkmcnt(6)
	v_add3_u32 v60, v9, v7, v2
	s_waitcnt lgkmcnt(5)
	v_add3_u32 v59, v12, v10, v3
	;; [unrolled: 2-line block ×7, first 2 shown]
                                        ; implicit-def: $vgpr15_vgpr16
                                        ; implicit-def: $vgpr11_vgpr12
                                        ; implicit-def: $vgpr7_vgpr8
                                        ; implicit-def: $vgpr3_vgpr4
	s_cbranch_vccnz .LBB142_3
; %bb.27:                               ;   in Loop: Header=BB142_4 Depth=2
	v_lshlrev_b32_e32 v1, 3, v61
	s_barrier
	ds_write_b64 v1, v[39:40]
	v_lshlrev_b32_e32 v1, 3, v60
	ds_write_b64 v1, v[37:38]
	v_lshlrev_b32_e32 v1, 3, v59
	;; [unrolled: 2-line block ×7, first 2 shown]
	ds_write_b64 v1, v[17:18]
	s_waitcnt lgkmcnt(0)
	s_barrier
	ds_read2st64_b64 v[1:4], v42 offset1:1
	ds_read2st64_b64 v[5:8], v42 offset0:2 offset1:3
	ds_read2st64_b64 v[9:12], v42 offset0:4 offset1:5
	;; [unrolled: 1-line block ×3, first 2 shown]
	v_add_co_u32_e32 v29, vcc, 8, v29
	v_addc_co_u32_e32 v30, vcc, 0, v30, vcc
	s_mov_b64 s[28:29], 0
	s_waitcnt lgkmcnt(0)
	s_barrier
	s_branch .LBB142_3
.LBB142_28:
	s_add_u32 s0, s30, s36
	s_addc_u32 s1, s31, s37
	v_lshlrev_b32_e32 v0, 3, v0
	v_mov_b32_e32 v1, s1
	v_add_co_u32_e32 v2, vcc, s0, v0
	v_addc_co_u32_e32 v19, vcc, 0, v1, vcc
	global_store_dwordx2 v0, v[15:16], s[0:1]
	v_add_co_u32_e32 v0, vcc, 0x1000, v2
	v_addc_co_u32_e32 v1, vcc, 0, v19, vcc
	global_store_dwordx2 v[0:1], v[17:18], off
	v_add_co_u32_e32 v0, vcc, 0x2000, v2
	v_addc_co_u32_e32 v1, vcc, 0, v19, vcc
	global_store_dwordx2 v[0:1], v[11:12], off
	;; [unrolled: 3-line block ×7, first 2 shown]
	s_endpgm
	.section	.rodata,"a",@progbits
	.p2align	6, 0x0
	.amdhsa_kernel _Z16sort_keys_kernelI22helper_blocked_blockedxLj512ELj8ELj10EEvPKT0_PS1_
		.amdhsa_group_segment_fixed_size 32768
		.amdhsa_private_segment_fixed_size 0
		.amdhsa_kernarg_size 272
		.amdhsa_user_sgpr_count 6
		.amdhsa_user_sgpr_private_segment_buffer 1
		.amdhsa_user_sgpr_dispatch_ptr 0
		.amdhsa_user_sgpr_queue_ptr 0
		.amdhsa_user_sgpr_kernarg_segment_ptr 1
		.amdhsa_user_sgpr_dispatch_id 0
		.amdhsa_user_sgpr_flat_scratch_init 0
		.amdhsa_user_sgpr_private_segment_size 0
		.amdhsa_uses_dynamic_stack 0
		.amdhsa_system_sgpr_private_segment_wavefront_offset 0
		.amdhsa_system_sgpr_workgroup_id_x 1
		.amdhsa_system_sgpr_workgroup_id_y 0
		.amdhsa_system_sgpr_workgroup_id_z 0
		.amdhsa_system_sgpr_workgroup_info 0
		.amdhsa_system_vgpr_workitem_id 2
		.amdhsa_next_free_vgpr 62
		.amdhsa_next_free_sgpr 98
		.amdhsa_reserve_vcc 1
		.amdhsa_reserve_flat_scratch 0
		.amdhsa_float_round_mode_32 0
		.amdhsa_float_round_mode_16_64 0
		.amdhsa_float_denorm_mode_32 3
		.amdhsa_float_denorm_mode_16_64 3
		.amdhsa_dx10_clamp 1
		.amdhsa_ieee_mode 1
		.amdhsa_fp16_overflow 0
		.amdhsa_exception_fp_ieee_invalid_op 0
		.amdhsa_exception_fp_denorm_src 0
		.amdhsa_exception_fp_ieee_div_zero 0
		.amdhsa_exception_fp_ieee_overflow 0
		.amdhsa_exception_fp_ieee_underflow 0
		.amdhsa_exception_fp_ieee_inexact 0
		.amdhsa_exception_int_div_zero 0
	.end_amdhsa_kernel
	.section	.text._Z16sort_keys_kernelI22helper_blocked_blockedxLj512ELj8ELj10EEvPKT0_PS1_,"axG",@progbits,_Z16sort_keys_kernelI22helper_blocked_blockedxLj512ELj8ELj10EEvPKT0_PS1_,comdat
.Lfunc_end142:
	.size	_Z16sort_keys_kernelI22helper_blocked_blockedxLj512ELj8ELj10EEvPKT0_PS1_, .Lfunc_end142-_Z16sort_keys_kernelI22helper_blocked_blockedxLj512ELj8ELj10EEvPKT0_PS1_
                                        ; -- End function
	.set _Z16sort_keys_kernelI22helper_blocked_blockedxLj512ELj8ELj10EEvPKT0_PS1_.num_vgpr, 62
	.set _Z16sort_keys_kernelI22helper_blocked_blockedxLj512ELj8ELj10EEvPKT0_PS1_.num_agpr, 0
	.set _Z16sort_keys_kernelI22helper_blocked_blockedxLj512ELj8ELj10EEvPKT0_PS1_.numbered_sgpr, 40
	.set _Z16sort_keys_kernelI22helper_blocked_blockedxLj512ELj8ELj10EEvPKT0_PS1_.num_named_barrier, 0
	.set _Z16sort_keys_kernelI22helper_blocked_blockedxLj512ELj8ELj10EEvPKT0_PS1_.private_seg_size, 0
	.set _Z16sort_keys_kernelI22helper_blocked_blockedxLj512ELj8ELj10EEvPKT0_PS1_.uses_vcc, 1
	.set _Z16sort_keys_kernelI22helper_blocked_blockedxLj512ELj8ELj10EEvPKT0_PS1_.uses_flat_scratch, 0
	.set _Z16sort_keys_kernelI22helper_blocked_blockedxLj512ELj8ELj10EEvPKT0_PS1_.has_dyn_sized_stack, 0
	.set _Z16sort_keys_kernelI22helper_blocked_blockedxLj512ELj8ELj10EEvPKT0_PS1_.has_recursion, 0
	.set _Z16sort_keys_kernelI22helper_blocked_blockedxLj512ELj8ELj10EEvPKT0_PS1_.has_indirect_call, 0
	.section	.AMDGPU.csdata,"",@progbits
; Kernel info:
; codeLenInByte = 4792
; TotalNumSgprs: 44
; NumVgprs: 62
; ScratchSize: 0
; MemoryBound: 0
; FloatMode: 240
; IeeeMode: 1
; LDSByteSize: 32768 bytes/workgroup (compile time only)
; SGPRBlocks: 12
; VGPRBlocks: 15
; NumSGPRsForWavesPerEU: 102
; NumVGPRsForWavesPerEU: 62
; Occupancy: 4
; WaveLimiterHint : 1
; COMPUTE_PGM_RSRC2:SCRATCH_EN: 0
; COMPUTE_PGM_RSRC2:USER_SGPR: 6
; COMPUTE_PGM_RSRC2:TRAP_HANDLER: 0
; COMPUTE_PGM_RSRC2:TGID_X_EN: 1
; COMPUTE_PGM_RSRC2:TGID_Y_EN: 0
; COMPUTE_PGM_RSRC2:TGID_Z_EN: 0
; COMPUTE_PGM_RSRC2:TIDIG_COMP_CNT: 2
	.section	.text._Z17sort_pairs_kernelI22helper_blocked_blockedxLj512ELj8ELj10EEvPKT0_PS1_,"axG",@progbits,_Z17sort_pairs_kernelI22helper_blocked_blockedxLj512ELj8ELj10EEvPKT0_PS1_,comdat
	.protected	_Z17sort_pairs_kernelI22helper_blocked_blockedxLj512ELj8ELj10EEvPKT0_PS1_ ; -- Begin function _Z17sort_pairs_kernelI22helper_blocked_blockedxLj512ELj8ELj10EEvPKT0_PS1_
	.globl	_Z17sort_pairs_kernelI22helper_blocked_blockedxLj512ELj8ELj10EEvPKT0_PS1_
	.p2align	8
	.type	_Z17sort_pairs_kernelI22helper_blocked_blockedxLj512ELj8ELj10EEvPKT0_PS1_,@function
_Z17sort_pairs_kernelI22helper_blocked_blockedxLj512ELj8ELj10EEvPKT0_PS1_: ; @_Z17sort_pairs_kernelI22helper_blocked_blockedxLj512ELj8ELj10EEvPKT0_PS1_
; %bb.0:
	s_load_dwordx4 s[28:31], s[4:5], 0x0
	s_load_dword s2, s[4:5], 0x1c
	s_lshl_b32 s36, s6, 12
	s_mov_b32 s37, 0
	s_lshl_b64 s[34:35], s[36:37], 3
	s_waitcnt lgkmcnt(0)
	s_add_u32 s0, s28, s34
	s_addc_u32 s1, s29, s35
	v_lshlrev_b32_e32 v3, 3, v0
	v_mov_b32_e32 v4, s1
	v_add_co_u32_e32 v19, vcc, s0, v3
	v_addc_co_u32_e32 v20, vcc, 0, v4, vcc
	global_load_dwordx2 v[15:16], v3, s[0:1]
	s_movk_i32 s0, 0x2000
	v_add_co_u32_e32 v3, vcc, s0, v19
	v_addc_co_u32_e32 v4, vcc, 0, v20, vcc
	global_load_dwordx2 v[17:18], v[3:4], off offset:-4096
	global_load_dwordx2 v[11:12], v[3:4], off
	s_movk_i32 s0, 0x4000
	v_add_co_u32_e32 v3, vcc, s0, v19
	v_addc_co_u32_e32 v4, vcc, 0, v20, vcc
	global_load_dwordx2 v[13:14], v[3:4], off offset:-4096
	global_load_dwordx2 v[7:8], v[3:4], off
	;; [unrolled: 5-line block ×3, first 2 shown]
	s_movk_i32 s0, 0x7000
	v_add_co_u32_e32 v5, vcc, s0, v19
	v_addc_co_u32_e32 v6, vcc, 0, v20, vcc
	global_load_dwordx2 v[5:6], v[5:6], off
	v_mbcnt_lo_u32_b32 v19, -1, 0
	s_lshr_b32 s0, s2, 16
	v_mbcnt_hi_u32_b32 v36, -1, v19
	v_lshlrev_b32_e32 v19, 6, v0
	s_and_b32 s1, s2, 0xffff
	v_mad_u32_u24 v1, v2, s0, v1
	v_and_b32_e32 v19, 0x7000, v19
	v_mad_u64_u32 v[1:2], s[0:1], v1, s1, v[0:1]
	v_lshl_or_b32 v71, v36, 3, v19
	v_and_b32_e32 v2, 15, v36
	v_and_b32_e32 v37, 0x1c0, v0
	v_cmp_eq_u32_e64 s[0:1], 0, v2
	v_cmp_lt_u32_e64 s[2:3], 1, v2
	v_cmp_lt_u32_e64 s[4:5], 3, v2
	;; [unrolled: 1-line block ×3, first 2 shown]
	v_and_b32_e32 v2, 16, v36
	v_cmp_eq_u32_e64 s[8:9], 0, v2
	v_or_b32_e32 v2, 63, v37
	v_add_lshl_u32 v70, v36, v37, 6
	v_cmp_eq_u32_e64 s[12:13], v0, v2
	v_subrev_co_u32_e64 v2, s[18:19], 1, v36
	v_and_b32_e32 v37, 64, v36
	v_lshlrev_b32_e32 v69, 4, v0
	v_lshrrev_b32_e32 v1, 4, v1
	v_mad_i32_i24 v74, v0, -12, v69
	v_and_b32_e32 v76, 0xffffffc, v1
	v_mul_u32_u24_e32 v1, 60, v0
	v_mov_b32_e32 v35, 0
	v_cmp_lt_u32_e64 s[10:11], 31, v36
	v_cmp_gt_u32_e64 s[14:15], 8, v0
	v_cmp_lt_u32_e64 s[16:17], 63, v0
	v_cmp_eq_u32_e64 s[20:21], 0, v0
	s_mov_b32 s36, s37
	s_mov_b32 s38, s37
	;; [unrolled: 1-line block ×3, first 2 shown]
	v_add_u32_e32 v77, v74, v1
	s_mov_b32 s33, s37
	s_waitcnt vmcnt(7)
	v_add_co_u32_e32 v31, vcc, 1, v15
	v_addc_co_u32_e32 v32, vcc, 0, v16, vcc
	s_waitcnt vmcnt(6)
	v_add_co_u32_e32 v33, vcc, 1, v17
	v_addc_co_u32_e32 v34, vcc, 0, v18, vcc
	;; [unrolled: 3-line block ×8, first 2 shown]
	v_cmp_lt_i32_e32 vcc, v2, v37
	v_cndmask_b32_e32 v2, v2, v36, vcc
	v_lshlrev_b32_e32 v72, 2, v2
	v_lshrrev_b32_e32 v2, 4, v0
	v_and_b32_e32 v73, 28, v2
	v_and_b32_e32 v2, 7, v36
	v_cmp_eq_u32_e64 s[22:23], 0, v2
	v_cmp_lt_u32_e64 s[24:25], 1, v2
	v_cmp_lt_u32_e64 s[26:27], 3, v2
	v_add_u32_e32 v75, -4, v73
	s_branch .LBB143_2
.LBB143_1:                              ;   in Loop: Header=BB143_2 Depth=1
	v_lshlrev_b32_e32 v1, 3, v84
	v_lshlrev_b32_e32 v2, 3, v83
	;; [unrolled: 1-line block ×8, first 2 shown]
	s_barrier
	ds_write_b64 v1, v[67:68]
	ds_write_b64 v2, v[65:66]
	;; [unrolled: 1-line block ×8, first 2 shown]
	s_waitcnt lgkmcnt(0)
	s_barrier
	ds_read2_b64 v[15:18], v77 offset1:1
	ds_read2_b64 v[11:14], v77 offset0:2 offset1:3
	ds_read2_b64 v[7:10], v77 offset0:4 offset1:5
	;; [unrolled: 1-line block ×3, first 2 shown]
	s_waitcnt lgkmcnt(0)
	s_barrier
	ds_write_b64 v1, v[55:56]
	ds_write_b64 v2, v[51:52]
	;; [unrolled: 1-line block ×8, first 2 shown]
	s_waitcnt lgkmcnt(0)
	s_barrier
	ds_read2_b64 v[31:34], v77 offset1:1
	ds_read2_b64 v[27:30], v77 offset0:2 offset1:3
	ds_read2_b64 v[23:26], v77 offset0:4 offset1:5
	;; [unrolled: 1-line block ×3, first 2 shown]
	s_add_i32 s33, s33, 1
	v_xor_b32_e32 v16, 0x80000000, v16
	v_xor_b32_e32 v18, 0x80000000, v18
	;; [unrolled: 1-line block ×7, first 2 shown]
	s_cmp_eq_u32 s33, 10
	v_xor_b32_e32 v6, 0x80000000, v6
	s_cbranch_scc1 .LBB143_28
.LBB143_2:                              ; =>This Loop Header: Depth=1
                                        ;     Child Loop BB143_4 Depth 2
	v_xor_b32_e32 v16, 0x80000000, v16
	v_xor_b32_e32 v18, 0x80000000, v18
	;; [unrolled: 1-line block ×8, first 2 shown]
	ds_write2_b64 v70, v[15:16], v[17:18] offset1:1
	ds_write2_b64 v70, v[11:12], v[13:14] offset0:2 offset1:3
	ds_write2_b64 v70, v[7:8], v[9:10] offset0:4 offset1:5
	;; [unrolled: 1-line block ×3, first 2 shown]
	; wave barrier
	ds_read2st64_b64 v[1:4], v71 offset1:1
	ds_read2st64_b64 v[5:8], v71 offset0:2 offset1:3
	ds_read2st64_b64 v[9:12], v71 offset0:4 offset1:5
	;; [unrolled: 1-line block ×3, first 2 shown]
	; wave barrier
	s_waitcnt lgkmcnt(11)
	ds_write2_b64 v70, v[31:32], v[33:34] offset1:1
	s_waitcnt lgkmcnt(11)
	ds_write2_b64 v70, v[27:28], v[29:30] offset0:2 offset1:3
	s_waitcnt lgkmcnt(11)
	ds_write2_b64 v70, v[23:24], v[25:26] offset0:4 offset1:5
	;; [unrolled: 2-line block ×3, first 2 shown]
	; wave barrier
	ds_read2st64_b64 v[17:20], v71 offset1:1
	ds_read2st64_b64 v[21:24], v71 offset0:2 offset1:3
	ds_read2st64_b64 v[25:28], v71 offset0:4 offset1:5
	;; [unrolled: 1-line block ×3, first 2 shown]
	v_mov_b32_e32 v45, 0
	v_mov_b32_e32 v46, 0
	s_waitcnt lgkmcnt(0)
	s_barrier
	s_branch .LBB143_4
.LBB143_3:                              ;   in Loop: Header=BB143_4 Depth=2
	s_andn2_b64 vcc, exec, s[28:29]
	s_cbranch_vccz .LBB143_1
.LBB143_4:                              ;   Parent Loop BB143_2 Depth=1
                                        ; =>  This Inner Loop Header: Depth=2
	v_mov_b32_e32 v66, v4
	v_mov_b32_e32 v68, v2
	;; [unrolled: 1-line block ×8, first 2 shown]
	ds_write2_b64 v69, v[1:2], v[3:4] offset0:4 offset1:5
	v_lshrrev_b64 v[1:2], v45, v[67:68]
	v_mov_b32_e32 v64, v6
	v_lshlrev_b32_e32 v2, 5, v1
	v_and_b32_e32 v2, 0x1fe0, v2
	v_mov_b32_e32 v63, v5
	v_add_u32_e32 v5, v76, v2
	v_and_b32_e32 v2, 1, v1
	v_add_co_u32_e32 v3, vcc, -1, v2
	v_addc_co_u32_e64 v4, s[28:29], 0, -1, vcc
	v_cmp_ne_u32_e32 vcc, 0, v2
	v_lshlrev_b32_e32 v36, 30, v1
	v_xor_b32_e32 v2, vcc_hi, v4
	v_xor_b32_e32 v3, vcc_lo, v3
	v_cmp_gt_i64_e32 vcc, 0, v[35:36]
	v_not_b32_e32 v4, v36
	v_ashrrev_i32_e32 v4, 31, v4
	v_and_b32_e32 v3, exec_lo, v3
	v_xor_b32_e32 v6, vcc_hi, v4
	v_xor_b32_e32 v4, vcc_lo, v4
	v_lshlrev_b32_e32 v36, 29, v1
	v_and_b32_e32 v3, v3, v4
	v_cmp_gt_i64_e32 vcc, 0, v[35:36]
	v_not_b32_e32 v4, v36
	v_and_b32_e32 v2, exec_hi, v2
	v_ashrrev_i32_e32 v4, 31, v4
	v_and_b32_e32 v2, v2, v6
	v_xor_b32_e32 v6, vcc_hi, v4
	v_xor_b32_e32 v4, vcc_lo, v4
	v_lshlrev_b32_e32 v36, 28, v1
	v_and_b32_e32 v3, v3, v4
	v_cmp_gt_i64_e32 vcc, 0, v[35:36]
	v_not_b32_e32 v4, v36
	v_ashrrev_i32_e32 v4, 31, v4
	v_and_b32_e32 v2, v2, v6
	v_xor_b32_e32 v6, vcc_hi, v4
	v_xor_b32_e32 v4, vcc_lo, v4
	v_lshlrev_b32_e32 v36, 27, v1
	v_and_b32_e32 v3, v3, v4
	v_cmp_gt_i64_e32 vcc, 0, v[35:36]
	v_not_b32_e32 v4, v36
	;; [unrolled: 8-line block ×4, first 2 shown]
	v_ashrrev_i32_e32 v4, 31, v4
	v_lshlrev_b32_e32 v36, 24, v1
	v_and_b32_e32 v2, v2, v6
	v_xor_b32_e32 v6, vcc_hi, v4
	v_xor_b32_e32 v4, vcc_lo, v4
	v_cmp_gt_i64_e32 vcc, 0, v[35:36]
	v_not_b32_e32 v1, v36
	v_ashrrev_i32_e32 v1, 31, v1
	v_and_b32_e32 v3, v3, v4
	v_xor_b32_e32 v4, vcc_hi, v1
	v_xor_b32_e32 v1, vcc_lo, v1
	v_and_b32_e32 v2, v2, v6
	v_and_b32_e32 v1, v3, v1
	;; [unrolled: 1-line block ×3, first 2 shown]
	v_mbcnt_lo_u32_b32 v3, v1, 0
	v_mbcnt_hi_u32_b32 v6, v2, v3
	v_cmp_ne_u64_e32 vcc, 0, v[1:2]
	v_mov_b32_e32 v50, v16
	v_mov_b32_e32 v54, v14
	v_mov_b32_e32 v58, v12
	v_mov_b32_e32 v60, v10
	v_mov_b32_e32 v62, v8
	v_mov_b32_e32 v34, v32
	v_mov_b32_e32 v38, v30
	v_mov_b32_e32 v40, v28
	v_mov_b32_e32 v42, v26
	v_mov_b32_e32 v44, v24
	v_mov_b32_e32 v48, v22
	v_mov_b32_e32 v52, v20
	v_mov_b32_e32 v56, v18
	v_cmp_eq_u32_e64 s[28:29], 0, v6
	v_mov_b32_e32 v49, v15
	v_mov_b32_e32 v53, v13
	;; [unrolled: 1-line block ×13, first 2 shown]
	s_and_b64 s[40:41], vcc, s[28:29]
	s_waitcnt lgkmcnt(0)
	s_barrier
	; wave barrier
	s_and_saveexec_b64 s[28:29], s[40:41]
; %bb.5:                                ;   in Loop: Header=BB143_4 Depth=2
	v_bcnt_u32_b32 v1, v1, 0
	v_bcnt_u32_b32 v1, v2, v1
	ds_write_b32 v5, v1 offset:32
; %bb.6:                                ;   in Loop: Header=BB143_4 Depth=2
	s_or_b64 exec, exec, s[28:29]
	v_lshrrev_b64 v[1:2], v45, v[65:66]
	v_lshlrev_b32_e32 v2, 5, v1
	v_and_b32_e32 v2, 0x1fe0, v2
	v_add_u32_e32 v8, v76, v2
	v_and_b32_e32 v2, 1, v1
	v_add_co_u32_e32 v3, vcc, -1, v2
	v_addc_co_u32_e64 v4, s[28:29], 0, -1, vcc
	v_cmp_ne_u32_e32 vcc, 0, v2
	v_lshlrev_b32_e32 v36, 30, v1
	v_xor_b32_e32 v2, vcc_hi, v4
	v_xor_b32_e32 v3, vcc_lo, v3
	v_cmp_gt_i64_e32 vcc, 0, v[35:36]
	v_not_b32_e32 v4, v36
	v_ashrrev_i32_e32 v4, 31, v4
	v_and_b32_e32 v3, exec_lo, v3
	v_xor_b32_e32 v9, vcc_hi, v4
	v_xor_b32_e32 v4, vcc_lo, v4
	v_lshlrev_b32_e32 v36, 29, v1
	v_and_b32_e32 v3, v3, v4
	v_cmp_gt_i64_e32 vcc, 0, v[35:36]
	v_not_b32_e32 v4, v36
	v_and_b32_e32 v2, exec_hi, v2
	v_ashrrev_i32_e32 v4, 31, v4
	v_and_b32_e32 v2, v2, v9
	v_xor_b32_e32 v9, vcc_hi, v4
	v_xor_b32_e32 v4, vcc_lo, v4
	v_lshlrev_b32_e32 v36, 28, v1
	v_and_b32_e32 v3, v3, v4
	v_cmp_gt_i64_e32 vcc, 0, v[35:36]
	v_not_b32_e32 v4, v36
	v_ashrrev_i32_e32 v4, 31, v4
	v_and_b32_e32 v2, v2, v9
	v_xor_b32_e32 v9, vcc_hi, v4
	v_xor_b32_e32 v4, vcc_lo, v4
	v_lshlrev_b32_e32 v36, 27, v1
	v_and_b32_e32 v3, v3, v4
	v_cmp_gt_i64_e32 vcc, 0, v[35:36]
	v_not_b32_e32 v4, v36
	;; [unrolled: 8-line block ×4, first 2 shown]
	v_ashrrev_i32_e32 v4, 31, v4
	v_lshlrev_b32_e32 v36, 24, v1
	v_and_b32_e32 v2, v2, v9
	v_xor_b32_e32 v9, vcc_hi, v4
	v_xor_b32_e32 v4, vcc_lo, v4
	v_cmp_gt_i64_e32 vcc, 0, v[35:36]
	v_not_b32_e32 v1, v36
	v_ashrrev_i32_e32 v1, 31, v1
	v_and_b32_e32 v3, v3, v4
	v_xor_b32_e32 v4, vcc_hi, v1
	v_xor_b32_e32 v1, vcc_lo, v1
	; wave barrier
	ds_read_b32 v7, v8 offset:32
	v_and_b32_e32 v2, v2, v9
	v_and_b32_e32 v1, v3, v1
	;; [unrolled: 1-line block ×3, first 2 shown]
	v_mbcnt_lo_u32_b32 v3, v1, 0
	v_mbcnt_hi_u32_b32 v9, v2, v3
	v_cmp_ne_u64_e32 vcc, 0, v[1:2]
	v_cmp_eq_u32_e64 s[28:29], 0, v9
	s_and_b64 s[40:41], vcc, s[28:29]
	; wave barrier
	s_and_saveexec_b64 s[28:29], s[40:41]
	s_cbranch_execz .LBB143_8
; %bb.7:                                ;   in Loop: Header=BB143_4 Depth=2
	v_bcnt_u32_b32 v1, v1, 0
	v_bcnt_u32_b32 v1, v2, v1
	s_waitcnt lgkmcnt(0)
	v_add_u32_e32 v1, v7, v1
	ds_write_b32 v8, v1 offset:32
.LBB143_8:                              ;   in Loop: Header=BB143_4 Depth=2
	s_or_b64 exec, exec, s[28:29]
	v_lshrrev_b64 v[1:2], v45, v[63:64]
	v_lshlrev_b32_e32 v2, 5, v1
	v_and_b32_e32 v2, 0x1fe0, v2
	v_add_u32_e32 v11, v76, v2
	v_and_b32_e32 v2, 1, v1
	v_add_co_u32_e32 v3, vcc, -1, v2
	v_addc_co_u32_e64 v4, s[28:29], 0, -1, vcc
	v_cmp_ne_u32_e32 vcc, 0, v2
	v_lshlrev_b32_e32 v36, 30, v1
	v_xor_b32_e32 v2, vcc_hi, v4
	v_xor_b32_e32 v3, vcc_lo, v3
	v_cmp_gt_i64_e32 vcc, 0, v[35:36]
	v_not_b32_e32 v4, v36
	v_ashrrev_i32_e32 v4, 31, v4
	v_and_b32_e32 v3, exec_lo, v3
	v_xor_b32_e32 v12, vcc_hi, v4
	v_xor_b32_e32 v4, vcc_lo, v4
	v_lshlrev_b32_e32 v36, 29, v1
	v_and_b32_e32 v3, v3, v4
	v_cmp_gt_i64_e32 vcc, 0, v[35:36]
	v_not_b32_e32 v4, v36
	v_and_b32_e32 v2, exec_hi, v2
	v_ashrrev_i32_e32 v4, 31, v4
	v_and_b32_e32 v2, v2, v12
	v_xor_b32_e32 v12, vcc_hi, v4
	v_xor_b32_e32 v4, vcc_lo, v4
	v_lshlrev_b32_e32 v36, 28, v1
	v_and_b32_e32 v3, v3, v4
	v_cmp_gt_i64_e32 vcc, 0, v[35:36]
	v_not_b32_e32 v4, v36
	v_ashrrev_i32_e32 v4, 31, v4
	v_and_b32_e32 v2, v2, v12
	v_xor_b32_e32 v12, vcc_hi, v4
	v_xor_b32_e32 v4, vcc_lo, v4
	v_lshlrev_b32_e32 v36, 27, v1
	v_and_b32_e32 v3, v3, v4
	v_cmp_gt_i64_e32 vcc, 0, v[35:36]
	v_not_b32_e32 v4, v36
	;; [unrolled: 8-line block ×4, first 2 shown]
	v_ashrrev_i32_e32 v4, 31, v4
	v_lshlrev_b32_e32 v36, 24, v1
	v_and_b32_e32 v2, v2, v12
	v_xor_b32_e32 v12, vcc_hi, v4
	v_xor_b32_e32 v4, vcc_lo, v4
	v_cmp_gt_i64_e32 vcc, 0, v[35:36]
	v_not_b32_e32 v1, v36
	v_ashrrev_i32_e32 v1, 31, v1
	v_and_b32_e32 v3, v3, v4
	v_xor_b32_e32 v4, vcc_hi, v1
	v_xor_b32_e32 v1, vcc_lo, v1
	; wave barrier
	ds_read_b32 v10, v11 offset:32
	v_and_b32_e32 v2, v2, v12
	v_and_b32_e32 v1, v3, v1
	v_and_b32_e32 v2, v2, v4
	v_mbcnt_lo_u32_b32 v3, v1, 0
	v_mbcnt_hi_u32_b32 v12, v2, v3
	v_cmp_ne_u64_e32 vcc, 0, v[1:2]
	v_cmp_eq_u32_e64 s[28:29], 0, v12
	s_and_b64 s[40:41], vcc, s[28:29]
	; wave barrier
	s_and_saveexec_b64 s[28:29], s[40:41]
	s_cbranch_execz .LBB143_10
; %bb.9:                                ;   in Loop: Header=BB143_4 Depth=2
	v_bcnt_u32_b32 v1, v1, 0
	v_bcnt_u32_b32 v1, v2, v1
	s_waitcnt lgkmcnt(0)
	v_add_u32_e32 v1, v10, v1
	ds_write_b32 v11, v1 offset:32
.LBB143_10:                             ;   in Loop: Header=BB143_4 Depth=2
	s_or_b64 exec, exec, s[28:29]
	v_lshrrev_b64 v[1:2], v45, v[61:62]
	v_lshlrev_b32_e32 v2, 5, v1
	v_and_b32_e32 v2, 0x1fe0, v2
	v_add_u32_e32 v14, v76, v2
	v_and_b32_e32 v2, 1, v1
	v_add_co_u32_e32 v3, vcc, -1, v2
	v_addc_co_u32_e64 v4, s[28:29], 0, -1, vcc
	v_cmp_ne_u32_e32 vcc, 0, v2
	v_lshlrev_b32_e32 v36, 30, v1
	v_xor_b32_e32 v2, vcc_hi, v4
	v_xor_b32_e32 v3, vcc_lo, v3
	v_cmp_gt_i64_e32 vcc, 0, v[35:36]
	v_not_b32_e32 v4, v36
	v_ashrrev_i32_e32 v4, 31, v4
	v_and_b32_e32 v3, exec_lo, v3
	v_xor_b32_e32 v15, vcc_hi, v4
	v_xor_b32_e32 v4, vcc_lo, v4
	v_lshlrev_b32_e32 v36, 29, v1
	v_and_b32_e32 v3, v3, v4
	v_cmp_gt_i64_e32 vcc, 0, v[35:36]
	v_not_b32_e32 v4, v36
	v_and_b32_e32 v2, exec_hi, v2
	v_ashrrev_i32_e32 v4, 31, v4
	v_and_b32_e32 v2, v2, v15
	v_xor_b32_e32 v15, vcc_hi, v4
	v_xor_b32_e32 v4, vcc_lo, v4
	v_lshlrev_b32_e32 v36, 28, v1
	v_and_b32_e32 v3, v3, v4
	v_cmp_gt_i64_e32 vcc, 0, v[35:36]
	v_not_b32_e32 v4, v36
	v_ashrrev_i32_e32 v4, 31, v4
	v_and_b32_e32 v2, v2, v15
	v_xor_b32_e32 v15, vcc_hi, v4
	v_xor_b32_e32 v4, vcc_lo, v4
	v_lshlrev_b32_e32 v36, 27, v1
	v_and_b32_e32 v3, v3, v4
	v_cmp_gt_i64_e32 vcc, 0, v[35:36]
	v_not_b32_e32 v4, v36
	;; [unrolled: 8-line block ×4, first 2 shown]
	v_ashrrev_i32_e32 v4, 31, v4
	v_lshlrev_b32_e32 v36, 24, v1
	v_and_b32_e32 v2, v2, v15
	v_xor_b32_e32 v15, vcc_hi, v4
	v_xor_b32_e32 v4, vcc_lo, v4
	v_cmp_gt_i64_e32 vcc, 0, v[35:36]
	v_not_b32_e32 v1, v36
	v_ashrrev_i32_e32 v1, 31, v1
	v_and_b32_e32 v3, v3, v4
	v_xor_b32_e32 v4, vcc_hi, v1
	v_xor_b32_e32 v1, vcc_lo, v1
	; wave barrier
	ds_read_b32 v13, v14 offset:32
	v_and_b32_e32 v2, v2, v15
	v_and_b32_e32 v1, v3, v1
	;; [unrolled: 1-line block ×3, first 2 shown]
	v_mbcnt_lo_u32_b32 v3, v1, 0
	v_mbcnt_hi_u32_b32 v15, v2, v3
	v_cmp_ne_u64_e32 vcc, 0, v[1:2]
	v_cmp_eq_u32_e64 s[28:29], 0, v15
	s_and_b64 s[40:41], vcc, s[28:29]
	; wave barrier
	s_and_saveexec_b64 s[28:29], s[40:41]
	s_cbranch_execz .LBB143_12
; %bb.11:                               ;   in Loop: Header=BB143_4 Depth=2
	v_bcnt_u32_b32 v1, v1, 0
	v_bcnt_u32_b32 v1, v2, v1
	s_waitcnt lgkmcnt(0)
	v_add_u32_e32 v1, v13, v1
	ds_write_b32 v14, v1 offset:32
.LBB143_12:                             ;   in Loop: Header=BB143_4 Depth=2
	s_or_b64 exec, exec, s[28:29]
	v_lshrrev_b64 v[1:2], v45, v[59:60]
	v_lshlrev_b32_e32 v2, 5, v1
	v_and_b32_e32 v2, 0x1fe0, v2
	v_add_u32_e32 v17, v76, v2
	v_and_b32_e32 v2, 1, v1
	v_add_co_u32_e32 v3, vcc, -1, v2
	v_addc_co_u32_e64 v4, s[28:29], 0, -1, vcc
	v_cmp_ne_u32_e32 vcc, 0, v2
	v_lshlrev_b32_e32 v36, 30, v1
	v_xor_b32_e32 v2, vcc_hi, v4
	v_xor_b32_e32 v3, vcc_lo, v3
	v_cmp_gt_i64_e32 vcc, 0, v[35:36]
	v_not_b32_e32 v4, v36
	v_ashrrev_i32_e32 v4, 31, v4
	v_and_b32_e32 v3, exec_lo, v3
	v_xor_b32_e32 v18, vcc_hi, v4
	v_xor_b32_e32 v4, vcc_lo, v4
	v_lshlrev_b32_e32 v36, 29, v1
	v_and_b32_e32 v3, v3, v4
	v_cmp_gt_i64_e32 vcc, 0, v[35:36]
	v_not_b32_e32 v4, v36
	v_and_b32_e32 v2, exec_hi, v2
	v_ashrrev_i32_e32 v4, 31, v4
	v_and_b32_e32 v2, v2, v18
	v_xor_b32_e32 v18, vcc_hi, v4
	v_xor_b32_e32 v4, vcc_lo, v4
	v_lshlrev_b32_e32 v36, 28, v1
	v_and_b32_e32 v3, v3, v4
	v_cmp_gt_i64_e32 vcc, 0, v[35:36]
	v_not_b32_e32 v4, v36
	v_ashrrev_i32_e32 v4, 31, v4
	v_and_b32_e32 v2, v2, v18
	v_xor_b32_e32 v18, vcc_hi, v4
	v_xor_b32_e32 v4, vcc_lo, v4
	v_lshlrev_b32_e32 v36, 27, v1
	v_and_b32_e32 v3, v3, v4
	v_cmp_gt_i64_e32 vcc, 0, v[35:36]
	v_not_b32_e32 v4, v36
	;; [unrolled: 8-line block ×4, first 2 shown]
	v_ashrrev_i32_e32 v4, 31, v4
	v_lshlrev_b32_e32 v36, 24, v1
	v_and_b32_e32 v2, v2, v18
	v_xor_b32_e32 v18, vcc_hi, v4
	v_xor_b32_e32 v4, vcc_lo, v4
	v_cmp_gt_i64_e32 vcc, 0, v[35:36]
	v_not_b32_e32 v1, v36
	v_ashrrev_i32_e32 v1, 31, v1
	v_and_b32_e32 v3, v3, v4
	v_xor_b32_e32 v4, vcc_hi, v1
	v_xor_b32_e32 v1, vcc_lo, v1
	; wave barrier
	ds_read_b32 v16, v17 offset:32
	v_and_b32_e32 v2, v2, v18
	v_and_b32_e32 v1, v3, v1
	;; [unrolled: 1-line block ×3, first 2 shown]
	v_mbcnt_lo_u32_b32 v3, v1, 0
	v_mbcnt_hi_u32_b32 v18, v2, v3
	v_cmp_ne_u64_e32 vcc, 0, v[1:2]
	v_cmp_eq_u32_e64 s[28:29], 0, v18
	s_and_b64 s[40:41], vcc, s[28:29]
	; wave barrier
	s_and_saveexec_b64 s[28:29], s[40:41]
	s_cbranch_execz .LBB143_14
; %bb.13:                               ;   in Loop: Header=BB143_4 Depth=2
	v_bcnt_u32_b32 v1, v1, 0
	v_bcnt_u32_b32 v1, v2, v1
	s_waitcnt lgkmcnt(0)
	v_add_u32_e32 v1, v16, v1
	ds_write_b32 v17, v1 offset:32
.LBB143_14:                             ;   in Loop: Header=BB143_4 Depth=2
	s_or_b64 exec, exec, s[28:29]
	v_lshrrev_b64 v[1:2], v45, v[57:58]
	v_lshlrev_b32_e32 v2, 5, v1
	v_and_b32_e32 v2, 0x1fe0, v2
	v_add_u32_e32 v20, v76, v2
	v_and_b32_e32 v2, 1, v1
	v_add_co_u32_e32 v3, vcc, -1, v2
	v_addc_co_u32_e64 v4, s[28:29], 0, -1, vcc
	v_cmp_ne_u32_e32 vcc, 0, v2
	v_lshlrev_b32_e32 v36, 30, v1
	v_xor_b32_e32 v2, vcc_hi, v4
	v_xor_b32_e32 v3, vcc_lo, v3
	v_cmp_gt_i64_e32 vcc, 0, v[35:36]
	v_not_b32_e32 v4, v36
	v_ashrrev_i32_e32 v4, 31, v4
	v_and_b32_e32 v3, exec_lo, v3
	v_xor_b32_e32 v21, vcc_hi, v4
	v_xor_b32_e32 v4, vcc_lo, v4
	v_lshlrev_b32_e32 v36, 29, v1
	v_and_b32_e32 v3, v3, v4
	v_cmp_gt_i64_e32 vcc, 0, v[35:36]
	v_not_b32_e32 v4, v36
	v_and_b32_e32 v2, exec_hi, v2
	v_ashrrev_i32_e32 v4, 31, v4
	v_and_b32_e32 v2, v2, v21
	v_xor_b32_e32 v21, vcc_hi, v4
	v_xor_b32_e32 v4, vcc_lo, v4
	v_lshlrev_b32_e32 v36, 28, v1
	v_and_b32_e32 v3, v3, v4
	v_cmp_gt_i64_e32 vcc, 0, v[35:36]
	v_not_b32_e32 v4, v36
	v_ashrrev_i32_e32 v4, 31, v4
	v_and_b32_e32 v2, v2, v21
	v_xor_b32_e32 v21, vcc_hi, v4
	v_xor_b32_e32 v4, vcc_lo, v4
	v_lshlrev_b32_e32 v36, 27, v1
	v_and_b32_e32 v3, v3, v4
	v_cmp_gt_i64_e32 vcc, 0, v[35:36]
	v_not_b32_e32 v4, v36
	;; [unrolled: 8-line block ×4, first 2 shown]
	v_ashrrev_i32_e32 v4, 31, v4
	v_lshlrev_b32_e32 v36, 24, v1
	v_and_b32_e32 v2, v2, v21
	v_xor_b32_e32 v21, vcc_hi, v4
	v_xor_b32_e32 v4, vcc_lo, v4
	v_cmp_gt_i64_e32 vcc, 0, v[35:36]
	v_not_b32_e32 v1, v36
	v_ashrrev_i32_e32 v1, 31, v1
	v_and_b32_e32 v3, v3, v4
	v_xor_b32_e32 v4, vcc_hi, v1
	v_xor_b32_e32 v1, vcc_lo, v1
	; wave barrier
	ds_read_b32 v19, v20 offset:32
	v_and_b32_e32 v2, v2, v21
	v_and_b32_e32 v1, v3, v1
	;; [unrolled: 1-line block ×3, first 2 shown]
	v_mbcnt_lo_u32_b32 v3, v1, 0
	v_mbcnt_hi_u32_b32 v21, v2, v3
	v_cmp_ne_u64_e32 vcc, 0, v[1:2]
	v_cmp_eq_u32_e64 s[28:29], 0, v21
	s_and_b64 s[40:41], vcc, s[28:29]
	; wave barrier
	s_and_saveexec_b64 s[28:29], s[40:41]
	s_cbranch_execz .LBB143_16
; %bb.15:                               ;   in Loop: Header=BB143_4 Depth=2
	v_bcnt_u32_b32 v1, v1, 0
	v_bcnt_u32_b32 v1, v2, v1
	s_waitcnt lgkmcnt(0)
	v_add_u32_e32 v1, v19, v1
	ds_write_b32 v20, v1 offset:32
.LBB143_16:                             ;   in Loop: Header=BB143_4 Depth=2
	s_or_b64 exec, exec, s[28:29]
	v_lshrrev_b64 v[1:2], v45, v[53:54]
	v_lshlrev_b32_e32 v2, 5, v1
	v_and_b32_e32 v2, 0x1fe0, v2
	v_add_u32_e32 v23, v76, v2
	v_and_b32_e32 v2, 1, v1
	v_add_co_u32_e32 v3, vcc, -1, v2
	v_addc_co_u32_e64 v4, s[28:29], 0, -1, vcc
	v_cmp_ne_u32_e32 vcc, 0, v2
	v_lshlrev_b32_e32 v36, 30, v1
	v_xor_b32_e32 v2, vcc_hi, v4
	v_xor_b32_e32 v3, vcc_lo, v3
	v_cmp_gt_i64_e32 vcc, 0, v[35:36]
	v_not_b32_e32 v4, v36
	v_ashrrev_i32_e32 v4, 31, v4
	v_and_b32_e32 v3, exec_lo, v3
	v_xor_b32_e32 v24, vcc_hi, v4
	v_xor_b32_e32 v4, vcc_lo, v4
	v_lshlrev_b32_e32 v36, 29, v1
	v_and_b32_e32 v3, v3, v4
	v_cmp_gt_i64_e32 vcc, 0, v[35:36]
	v_not_b32_e32 v4, v36
	v_and_b32_e32 v2, exec_hi, v2
	v_ashrrev_i32_e32 v4, 31, v4
	v_and_b32_e32 v2, v2, v24
	v_xor_b32_e32 v24, vcc_hi, v4
	v_xor_b32_e32 v4, vcc_lo, v4
	v_lshlrev_b32_e32 v36, 28, v1
	v_and_b32_e32 v3, v3, v4
	v_cmp_gt_i64_e32 vcc, 0, v[35:36]
	v_not_b32_e32 v4, v36
	v_ashrrev_i32_e32 v4, 31, v4
	v_and_b32_e32 v2, v2, v24
	v_xor_b32_e32 v24, vcc_hi, v4
	v_xor_b32_e32 v4, vcc_lo, v4
	v_lshlrev_b32_e32 v36, 27, v1
	v_and_b32_e32 v3, v3, v4
	v_cmp_gt_i64_e32 vcc, 0, v[35:36]
	v_not_b32_e32 v4, v36
	;; [unrolled: 8-line block ×4, first 2 shown]
	v_ashrrev_i32_e32 v4, 31, v4
	v_lshlrev_b32_e32 v36, 24, v1
	v_and_b32_e32 v2, v2, v24
	v_xor_b32_e32 v24, vcc_hi, v4
	v_xor_b32_e32 v4, vcc_lo, v4
	v_cmp_gt_i64_e32 vcc, 0, v[35:36]
	v_not_b32_e32 v1, v36
	v_ashrrev_i32_e32 v1, 31, v1
	v_and_b32_e32 v3, v3, v4
	v_xor_b32_e32 v4, vcc_hi, v1
	v_xor_b32_e32 v1, vcc_lo, v1
	; wave barrier
	ds_read_b32 v22, v23 offset:32
	v_and_b32_e32 v2, v2, v24
	v_and_b32_e32 v1, v3, v1
	;; [unrolled: 1-line block ×3, first 2 shown]
	v_mbcnt_lo_u32_b32 v3, v1, 0
	v_mbcnt_hi_u32_b32 v24, v2, v3
	v_cmp_ne_u64_e32 vcc, 0, v[1:2]
	v_cmp_eq_u32_e64 s[28:29], 0, v24
	s_and_b64 s[40:41], vcc, s[28:29]
	; wave barrier
	s_and_saveexec_b64 s[28:29], s[40:41]
	s_cbranch_execz .LBB143_18
; %bb.17:                               ;   in Loop: Header=BB143_4 Depth=2
	v_bcnt_u32_b32 v1, v1, 0
	v_bcnt_u32_b32 v1, v2, v1
	s_waitcnt lgkmcnt(0)
	v_add_u32_e32 v1, v22, v1
	ds_write_b32 v23, v1 offset:32
.LBB143_18:                             ;   in Loop: Header=BB143_4 Depth=2
	s_or_b64 exec, exec, s[28:29]
	v_lshrrev_b64 v[1:2], v45, v[49:50]
	v_lshlrev_b32_e32 v2, 5, v1
	v_and_b32_e32 v2, 0x1fe0, v2
	v_add_u32_e32 v26, v76, v2
	v_and_b32_e32 v2, 1, v1
	v_add_co_u32_e32 v3, vcc, -1, v2
	v_addc_co_u32_e64 v4, s[28:29], 0, -1, vcc
	v_cmp_ne_u32_e32 vcc, 0, v2
	v_lshlrev_b32_e32 v36, 30, v1
	v_xor_b32_e32 v2, vcc_hi, v4
	v_xor_b32_e32 v3, vcc_lo, v3
	v_cmp_gt_i64_e32 vcc, 0, v[35:36]
	v_not_b32_e32 v4, v36
	v_ashrrev_i32_e32 v4, 31, v4
	v_and_b32_e32 v3, exec_lo, v3
	v_xor_b32_e32 v27, vcc_hi, v4
	v_xor_b32_e32 v4, vcc_lo, v4
	v_lshlrev_b32_e32 v36, 29, v1
	v_and_b32_e32 v3, v3, v4
	v_cmp_gt_i64_e32 vcc, 0, v[35:36]
	v_not_b32_e32 v4, v36
	v_and_b32_e32 v2, exec_hi, v2
	v_ashrrev_i32_e32 v4, 31, v4
	v_and_b32_e32 v2, v2, v27
	v_xor_b32_e32 v27, vcc_hi, v4
	v_xor_b32_e32 v4, vcc_lo, v4
	v_lshlrev_b32_e32 v36, 28, v1
	v_and_b32_e32 v3, v3, v4
	v_cmp_gt_i64_e32 vcc, 0, v[35:36]
	v_not_b32_e32 v4, v36
	v_ashrrev_i32_e32 v4, 31, v4
	v_and_b32_e32 v2, v2, v27
	v_xor_b32_e32 v27, vcc_hi, v4
	v_xor_b32_e32 v4, vcc_lo, v4
	v_lshlrev_b32_e32 v36, 27, v1
	v_and_b32_e32 v3, v3, v4
	v_cmp_gt_i64_e32 vcc, 0, v[35:36]
	v_not_b32_e32 v4, v36
	;; [unrolled: 8-line block ×4, first 2 shown]
	v_ashrrev_i32_e32 v4, 31, v4
	v_lshlrev_b32_e32 v36, 24, v1
	v_and_b32_e32 v2, v2, v27
	v_xor_b32_e32 v27, vcc_hi, v4
	v_xor_b32_e32 v4, vcc_lo, v4
	v_cmp_gt_i64_e32 vcc, 0, v[35:36]
	v_not_b32_e32 v1, v36
	v_ashrrev_i32_e32 v1, 31, v1
	v_and_b32_e32 v3, v3, v4
	v_xor_b32_e32 v4, vcc_hi, v1
	v_xor_b32_e32 v1, vcc_lo, v1
	; wave barrier
	ds_read_b32 v25, v26 offset:32
	v_and_b32_e32 v2, v2, v27
	v_and_b32_e32 v1, v3, v1
	;; [unrolled: 1-line block ×3, first 2 shown]
	v_mbcnt_lo_u32_b32 v3, v1, 0
	v_mbcnt_hi_u32_b32 v27, v2, v3
	v_cmp_ne_u64_e32 vcc, 0, v[1:2]
	v_cmp_eq_u32_e64 s[28:29], 0, v27
	s_and_b64 s[40:41], vcc, s[28:29]
	; wave barrier
	s_and_saveexec_b64 s[28:29], s[40:41]
	s_cbranch_execz .LBB143_20
; %bb.19:                               ;   in Loop: Header=BB143_4 Depth=2
	v_bcnt_u32_b32 v1, v1, 0
	v_bcnt_u32_b32 v1, v2, v1
	s_waitcnt lgkmcnt(0)
	v_add_u32_e32 v1, v25, v1
	ds_write_b32 v26, v1 offset:32
.LBB143_20:                             ;   in Loop: Header=BB143_4 Depth=2
	s_or_b64 exec, exec, s[28:29]
	; wave barrier
	s_waitcnt lgkmcnt(0)
	s_barrier
	ds_read2_b64 v[1:4], v69 offset0:4 offset1:5
	s_waitcnt lgkmcnt(0)
	v_add_u32_e32 v28, v2, v1
	v_add3_u32 v4, v28, v3, v4
	s_nop 1
	v_mov_b32_dpp v28, v4 row_shr:1 row_mask:0xf bank_mask:0xf
	v_cndmask_b32_e64 v28, v28, 0, s[0:1]
	v_add_u32_e32 v4, v28, v4
	s_nop 1
	v_mov_b32_dpp v28, v4 row_shr:2 row_mask:0xf bank_mask:0xf
	v_cndmask_b32_e64 v28, 0, v28, s[2:3]
	v_add_u32_e32 v4, v4, v28
	;; [unrolled: 4-line block ×4, first 2 shown]
	s_nop 1
	v_mov_b32_dpp v28, v4 row_bcast:15 row_mask:0xf bank_mask:0xf
	v_cndmask_b32_e64 v28, v28, 0, s[8:9]
	v_add_u32_e32 v4, v4, v28
	s_nop 1
	v_mov_b32_dpp v28, v4 row_bcast:31 row_mask:0xf bank_mask:0xf
	v_cndmask_b32_e64 v28, 0, v28, s[10:11]
	v_add_u32_e32 v4, v4, v28
	s_and_saveexec_b64 s[28:29], s[12:13]
; %bb.21:                               ;   in Loop: Header=BB143_4 Depth=2
	ds_write_b32 v73, v4
; %bb.22:                               ;   in Loop: Header=BB143_4 Depth=2
	s_or_b64 exec, exec, s[28:29]
	s_waitcnt lgkmcnt(0)
	s_barrier
	s_and_saveexec_b64 s[28:29], s[14:15]
	s_cbranch_execz .LBB143_24
; %bb.23:                               ;   in Loop: Header=BB143_4 Depth=2
	ds_read_b32 v28, v74
	s_waitcnt lgkmcnt(0)
	s_nop 0
	v_mov_b32_dpp v29, v28 row_shr:1 row_mask:0xf bank_mask:0xf
	v_cndmask_b32_e64 v29, v29, 0, s[22:23]
	v_add_u32_e32 v28, v29, v28
	s_nop 1
	v_mov_b32_dpp v29, v28 row_shr:2 row_mask:0xf bank_mask:0xf
	v_cndmask_b32_e64 v29, 0, v29, s[24:25]
	v_add_u32_e32 v28, v28, v29
	;; [unrolled: 4-line block ×3, first 2 shown]
	ds_write_b32 v74, v28
.LBB143_24:                             ;   in Loop: Header=BB143_4 Depth=2
	s_or_b64 exec, exec, s[28:29]
	v_mov_b32_e32 v28, 0
	s_waitcnt lgkmcnt(0)
	s_barrier
	s_and_saveexec_b64 s[28:29], s[16:17]
; %bb.25:                               ;   in Loop: Header=BB143_4 Depth=2
	ds_read_b32 v28, v75
; %bb.26:                               ;   in Loop: Header=BB143_4 Depth=2
	s_or_b64 exec, exec, s[28:29]
	s_waitcnt lgkmcnt(0)
	v_add_u32_e32 v4, v28, v4
	ds_bpermute_b32 v4, v72, v4
	v_cmp_lt_u32_e32 vcc, 55, v45
	s_and_b64 vcc, exec, vcc
	s_mov_b64 s[28:29], -1
	s_waitcnt lgkmcnt(0)
	v_cndmask_b32_e64 v4, v4, v28, s[18:19]
	v_cndmask_b32_e64 v28, v4, 0, s[20:21]
	v_add_u32_e32 v29, v28, v1
	v_add_u32_e32 v1, v29, v2
	;; [unrolled: 1-line block ×3, first 2 shown]
	ds_write2_b64 v69, v[28:29], v[1:2] offset0:4 offset1:5
	s_waitcnt lgkmcnt(0)
	s_barrier
	ds_read_b32 v1, v5 offset:32
	ds_read_b32 v2, v8 offset:32
	;; [unrolled: 1-line block ×8, first 2 shown]
	s_waitcnt lgkmcnt(7)
	v_add_u32_e32 v84, v1, v6
	s_waitcnt lgkmcnt(6)
	v_add3_u32 v83, v9, v7, v2
	s_waitcnt lgkmcnt(5)
	v_add3_u32 v82, v12, v10, v3
	;; [unrolled: 2-line block ×7, first 2 shown]
                                        ; implicit-def: $vgpr15_vgpr16
                                        ; implicit-def: $vgpr11_vgpr12
                                        ; implicit-def: $vgpr7_vgpr8
                                        ; implicit-def: $vgpr3_vgpr4
                                        ; implicit-def: $vgpr31_vgpr32
                                        ; implicit-def: $vgpr27_vgpr28
                                        ; implicit-def: $vgpr23_vgpr24
                                        ; implicit-def: $vgpr19_vgpr20
	s_cbranch_vccnz .LBB143_3
; %bb.27:                               ;   in Loop: Header=BB143_4 Depth=2
	v_lshlrev_b32_e32 v17, 3, v84
	v_lshlrev_b32_e32 v18, 3, v83
	;; [unrolled: 1-line block ×8, first 2 shown]
	s_barrier
	ds_write_b64 v17, v[67:68]
	ds_write_b64 v18, v[65:66]
	;; [unrolled: 1-line block ×8, first 2 shown]
	s_waitcnt lgkmcnt(0)
	s_barrier
	ds_read2st64_b64 v[1:4], v71 offset1:1
	ds_read2st64_b64 v[5:8], v71 offset0:2 offset1:3
	ds_read2st64_b64 v[9:12], v71 offset0:4 offset1:5
	;; [unrolled: 1-line block ×3, first 2 shown]
	s_waitcnt lgkmcnt(0)
	s_barrier
	ds_write_b64 v17, v[55:56]
	ds_write_b64 v18, v[51:52]
	;; [unrolled: 1-line block ×8, first 2 shown]
	s_waitcnt lgkmcnt(0)
	s_barrier
	ds_read2st64_b64 v[17:20], v71 offset1:1
	ds_read2st64_b64 v[21:24], v71 offset0:2 offset1:3
	ds_read2st64_b64 v[25:28], v71 offset0:4 offset1:5
	;; [unrolled: 1-line block ×3, first 2 shown]
	v_add_co_u32_e32 v45, vcc, 8, v45
	v_addc_co_u32_e32 v46, vcc, 0, v46, vcc
	s_mov_b64 s[28:29], 0
	s_waitcnt lgkmcnt(0)
	s_barrier
	s_branch .LBB143_3
.LBB143_28:
	s_waitcnt lgkmcnt(3)
	v_add_co_u32_e32 v1, vcc, v15, v31
	v_addc_co_u32_e32 v2, vcc, v16, v32, vcc
	v_add_co_u32_e32 v15, vcc, v17, v33
	v_addc_co_u32_e32 v16, vcc, v18, v34, vcc
	s_waitcnt lgkmcnt(2)
	v_add_co_u32_e32 v11, vcc, v11, v27
	v_addc_co_u32_e32 v12, vcc, v12, v28, vcc
	v_add_co_u32_e32 v13, vcc, v13, v29
	v_addc_co_u32_e32 v14, vcc, v14, v30, vcc
	;; [unrolled: 5-line block ×3, first 2 shown]
	s_waitcnt lgkmcnt(0)
	v_add_co_u32_e32 v3, vcc, v3, v19
	v_addc_co_u32_e32 v4, vcc, v4, v20, vcc
	v_add_co_u32_e32 v5, vcc, v5, v21
	s_add_u32 s0, s30, s34
	v_addc_co_u32_e32 v6, vcc, v6, v22, vcc
	s_addc_u32 s1, s31, s35
	v_lshlrev_b32_e32 v0, 3, v0
	v_mov_b32_e32 v17, s1
	v_add_co_u32_e32 v18, vcc, s0, v0
	v_addc_co_u32_e32 v17, vcc, 0, v17, vcc
	global_store_dwordx2 v0, v[1:2], s[0:1]
	s_movk_i32 s0, 0x2000
	v_add_co_u32_e32 v0, vcc, s0, v18
	v_addc_co_u32_e32 v1, vcc, 0, v17, vcc
	s_movk_i32 s0, 0x4000
	global_store_dwordx2 v[0:1], v[15:16], off offset:-4096
	global_store_dwordx2 v[0:1], v[11:12], off
	v_add_co_u32_e32 v0, vcc, s0, v18
	v_addc_co_u32_e32 v1, vcc, 0, v17, vcc
	s_movk_i32 s0, 0x5000
	global_store_dwordx2 v[0:1], v[13:14], off offset:-4096
	global_store_dwordx2 v[0:1], v[7:8], off
	v_add_co_u32_e32 v0, vcc, s0, v18
	v_addc_co_u32_e32 v1, vcc, 0, v17, vcc
	global_store_dwordx2 v[0:1], v[9:10], off
	v_add_co_u32_e32 v0, vcc, 0x6000, v18
	v_addc_co_u32_e32 v1, vcc, 0, v17, vcc
	;; [unrolled: 3-line block ×3, first 2 shown]
	global_store_dwordx2 v[0:1], v[5:6], off
	s_endpgm
	.section	.rodata,"a",@progbits
	.p2align	6, 0x0
	.amdhsa_kernel _Z17sort_pairs_kernelI22helper_blocked_blockedxLj512ELj8ELj10EEvPKT0_PS1_
		.amdhsa_group_segment_fixed_size 32768
		.amdhsa_private_segment_fixed_size 0
		.amdhsa_kernarg_size 272
		.amdhsa_user_sgpr_count 6
		.amdhsa_user_sgpr_private_segment_buffer 1
		.amdhsa_user_sgpr_dispatch_ptr 0
		.amdhsa_user_sgpr_queue_ptr 0
		.amdhsa_user_sgpr_kernarg_segment_ptr 1
		.amdhsa_user_sgpr_dispatch_id 0
		.amdhsa_user_sgpr_flat_scratch_init 0
		.amdhsa_user_sgpr_private_segment_size 0
		.amdhsa_uses_dynamic_stack 0
		.amdhsa_system_sgpr_private_segment_wavefront_offset 0
		.amdhsa_system_sgpr_workgroup_id_x 1
		.amdhsa_system_sgpr_workgroup_id_y 0
		.amdhsa_system_sgpr_workgroup_id_z 0
		.amdhsa_system_sgpr_workgroup_info 0
		.amdhsa_system_vgpr_workitem_id 2
		.amdhsa_next_free_vgpr 85
		.amdhsa_next_free_sgpr 98
		.amdhsa_reserve_vcc 1
		.amdhsa_reserve_flat_scratch 0
		.amdhsa_float_round_mode_32 0
		.amdhsa_float_round_mode_16_64 0
		.amdhsa_float_denorm_mode_32 3
		.amdhsa_float_denorm_mode_16_64 3
		.amdhsa_dx10_clamp 1
		.amdhsa_ieee_mode 1
		.amdhsa_fp16_overflow 0
		.amdhsa_exception_fp_ieee_invalid_op 0
		.amdhsa_exception_fp_denorm_src 0
		.amdhsa_exception_fp_ieee_div_zero 0
		.amdhsa_exception_fp_ieee_overflow 0
		.amdhsa_exception_fp_ieee_underflow 0
		.amdhsa_exception_fp_ieee_inexact 0
		.amdhsa_exception_int_div_zero 0
	.end_amdhsa_kernel
	.section	.text._Z17sort_pairs_kernelI22helper_blocked_blockedxLj512ELj8ELj10EEvPKT0_PS1_,"axG",@progbits,_Z17sort_pairs_kernelI22helper_blocked_blockedxLj512ELj8ELj10EEvPKT0_PS1_,comdat
.Lfunc_end143:
	.size	_Z17sort_pairs_kernelI22helper_blocked_blockedxLj512ELj8ELj10EEvPKT0_PS1_, .Lfunc_end143-_Z17sort_pairs_kernelI22helper_blocked_blockedxLj512ELj8ELj10EEvPKT0_PS1_
                                        ; -- End function
	.set _Z17sort_pairs_kernelI22helper_blocked_blockedxLj512ELj8ELj10EEvPKT0_PS1_.num_vgpr, 85
	.set _Z17sort_pairs_kernelI22helper_blocked_blockedxLj512ELj8ELj10EEvPKT0_PS1_.num_agpr, 0
	.set _Z17sort_pairs_kernelI22helper_blocked_blockedxLj512ELj8ELj10EEvPKT0_PS1_.numbered_sgpr, 42
	.set _Z17sort_pairs_kernelI22helper_blocked_blockedxLj512ELj8ELj10EEvPKT0_PS1_.num_named_barrier, 0
	.set _Z17sort_pairs_kernelI22helper_blocked_blockedxLj512ELj8ELj10EEvPKT0_PS1_.private_seg_size, 0
	.set _Z17sort_pairs_kernelI22helper_blocked_blockedxLj512ELj8ELj10EEvPKT0_PS1_.uses_vcc, 1
	.set _Z17sort_pairs_kernelI22helper_blocked_blockedxLj512ELj8ELj10EEvPKT0_PS1_.uses_flat_scratch, 0
	.set _Z17sort_pairs_kernelI22helper_blocked_blockedxLj512ELj8ELj10EEvPKT0_PS1_.has_dyn_sized_stack, 0
	.set _Z17sort_pairs_kernelI22helper_blocked_blockedxLj512ELj8ELj10EEvPKT0_PS1_.has_recursion, 0
	.set _Z17sort_pairs_kernelI22helper_blocked_blockedxLj512ELj8ELj10EEvPKT0_PS1_.has_indirect_call, 0
	.section	.AMDGPU.csdata,"",@progbits
; Kernel info:
; codeLenInByte = 5280
; TotalNumSgprs: 46
; NumVgprs: 85
; ScratchSize: 0
; MemoryBound: 0
; FloatMode: 240
; IeeeMode: 1
; LDSByteSize: 32768 bytes/workgroup (compile time only)
; SGPRBlocks: 12
; VGPRBlocks: 21
; NumSGPRsForWavesPerEU: 102
; NumVGPRsForWavesPerEU: 85
; Occupancy: 2
; WaveLimiterHint : 1
; COMPUTE_PGM_RSRC2:SCRATCH_EN: 0
; COMPUTE_PGM_RSRC2:USER_SGPR: 6
; COMPUTE_PGM_RSRC2:TRAP_HANDLER: 0
; COMPUTE_PGM_RSRC2:TGID_X_EN: 1
; COMPUTE_PGM_RSRC2:TGID_Y_EN: 0
; COMPUTE_PGM_RSRC2:TGID_Z_EN: 0
; COMPUTE_PGM_RSRC2:TIDIG_COMP_CNT: 2
	.section	.text._Z16sort_keys_kernelI22helper_blocked_blockedN15benchmark_utils11custom_typeIiiEELj64ELj1ELj10EEvPKT0_PS4_,"axG",@progbits,_Z16sort_keys_kernelI22helper_blocked_blockedN15benchmark_utils11custom_typeIiiEELj64ELj1ELj10EEvPKT0_PS4_,comdat
	.protected	_Z16sort_keys_kernelI22helper_blocked_blockedN15benchmark_utils11custom_typeIiiEELj64ELj1ELj10EEvPKT0_PS4_ ; -- Begin function _Z16sort_keys_kernelI22helper_blocked_blockedN15benchmark_utils11custom_typeIiiEELj64ELj1ELj10EEvPKT0_PS4_
	.globl	_Z16sort_keys_kernelI22helper_blocked_blockedN15benchmark_utils11custom_typeIiiEELj64ELj1ELj10EEvPKT0_PS4_
	.p2align	8
	.type	_Z16sort_keys_kernelI22helper_blocked_blockedN15benchmark_utils11custom_typeIiiEELj64ELj1ELj10EEvPKT0_PS4_,@function
_Z16sort_keys_kernelI22helper_blocked_blockedN15benchmark_utils11custom_typeIiiEELj64ELj1ELj10EEvPKT0_PS4_: ; @_Z16sort_keys_kernelI22helper_blocked_blockedN15benchmark_utils11custom_typeIiiEELj64ELj1ELj10EEvPKT0_PS4_
; %bb.0:
	s_load_dwordx4 s[16:19], s[4:5], 0x0
	s_load_dword s24, s[4:5], 0x1c
	s_lshl_b32 s0, s6, 6
	s_mov_b32 s1, 0
	s_lshl_b64 s[20:21], s[0:1], 3
	s_waitcnt lgkmcnt(0)
	s_add_u32 s0, s16, s20
	s_addc_u32 s1, s17, s21
	v_lshlrev_b32_e32 v6, 3, v0
	global_load_dwordx2 v[4:5], v6, s[0:1]
	v_mbcnt_lo_u32_b32 v7, -1, 0
	v_mbcnt_hi_u32_b32 v7, -1, v7
	s_lshr_b32 s25, s24, 16
	v_subrev_co_u32_e64 v19, s[14:15], 1, v7
	v_and_b32_e32 v20, 64, v7
	s_and_b32 s24, s24, 0xffff
	v_mad_u32_u24 v1, v2, s25, v1
	v_cmp_lt_i32_e64 s[16:17], v19, v20
	v_mad_u32_u24 v1, v1, s24, v0
	v_lshlrev_b32_e32 v15, 4, v0
	v_cmp_eq_u32_e64 s[12:13], 0, v0
	v_and_b32_e32 v17, 15, v7
	v_and_b32_e32 v18, 16, v7
	v_cmp_lt_u32_e64 s[0:1], 31, v7
	v_lshlrev_b32_e32 v16, 3, v7
	v_sub_u32_e32 v6, 0, v6
	v_cndmask_b32_e64 v7, v19, v7, s[16:17]
	v_lshrrev_b32_e32 v1, 4, v1
	v_mov_b32_e32 v3, 0
	s_mov_b32 s22, 10
	s_movk_i32 s23, 0xff
	v_mov_b32_e32 v8, 1
	v_mov_b32_e32 v9, 30
	;; [unrolled: 1-line block ×7, first 2 shown]
	v_cmp_eq_u32_e32 vcc, 63, v0
	v_cmp_eq_u32_e64 s[2:3], 0, v17
	v_cmp_lt_u32_e64 s[4:5], 1, v17
	v_cmp_lt_u32_e64 s[6:7], 3, v17
	;; [unrolled: 1-line block ×3, first 2 shown]
	v_cmp_eq_u32_e64 s[10:11], 0, v18
	v_add_u32_e32 v17, v15, v6
	v_lshlrev_b32_e32 v18, 2, v7
	s_or_b64 s[16:17], s[12:13], s[14:15]
	v_and_b32_e32 v19, 0xffffffc, v1
	v_mov_b32_e32 v20, 24
	s_waitcnt vmcnt(0)
	v_xor_b32_e32 v1, 0x80000000, v4
	v_xor_b32_e32 v2, 0x80000000, v5
	s_branch .LBB144_2
.LBB144_1:                              ;   in Loop: Header=BB144_2 Depth=1
	s_or_b64 exec, exec, s[12:13]
	ds_bpermute_b32 v5, v18, v5
	s_waitcnt lgkmcnt(0)
	; wave barrier
	s_add_i32 s22, s22, -1
	s_cmp_eq_u32 s22, 0
	v_cndmask_b32_e64 v5, v5, 0, s[16:17]
	v_add_u32_e32 v6, v5, v6
	v_add_u32_e32 v7, v6, v7
	;; [unrolled: 1-line block ×3, first 2 shown]
	ds_write2_b32 v15, v5, v6 offset0:1 offset1:2
	ds_write2_b32 v15, v7, v4 offset0:3 offset1:4
	s_waitcnt lgkmcnt(0)
	; wave barrier
	ds_read_b32 v4, v21 offset:4
	v_lshlrev_b32_e32 v5, 3, v22
	s_waitcnt lgkmcnt(0)
	; wave barrier
	v_lshl_add_u32 v4, v4, 3, v5
	ds_write_b64 v4, v[1:2]
	s_waitcnt lgkmcnt(0)
	; wave barrier
	ds_read_b64 v[1:2], v17
	s_cbranch_scc1 .LBB144_34
.LBB144_2:                              ; =>This Inner Loop Header: Depth=1
	s_waitcnt lgkmcnt(0)
	v_and_b32_e32 v4, 0xff, v2
	v_lshl_add_u32 v21, v4, 2, v19
	v_and_b32_e32 v4, 1, v2
	v_add_co_u32_e64 v5, s[12:13], -1, v4
	v_addc_co_u32_e64 v6, s[12:13], 0, -1, s[12:13]
	v_cmp_ne_u32_e64 s[12:13], 0, v4
	v_xor_b32_e32 v4, s13, v6
	v_and_b32_e32 v6, exec_hi, v4
	v_lshlrev_b32_e32 v4, 30, v2
	v_xor_b32_e32 v5, s12, v5
	v_cmp_gt_i64_e64 s[12:13], 0, v[3:4]
	v_not_b32_e32 v4, v4
	v_ashrrev_i32_e32 v4, 31, v4
	v_and_b32_e32 v5, exec_lo, v5
	v_xor_b32_e32 v7, s13, v4
	v_xor_b32_e32 v4, s12, v4
	v_and_b32_e32 v5, v5, v4
	v_lshlrev_b32_e32 v4, 29, v2
	v_cmp_gt_i64_e64 s[12:13], 0, v[3:4]
	v_not_b32_e32 v4, v4
	v_ashrrev_i32_e32 v4, 31, v4
	v_and_b32_e32 v6, v6, v7
	v_xor_b32_e32 v7, s13, v4
	v_xor_b32_e32 v4, s12, v4
	v_and_b32_e32 v5, v5, v4
	v_lshlrev_b32_e32 v4, 28, v2
	v_cmp_gt_i64_e64 s[12:13], 0, v[3:4]
	v_not_b32_e32 v4, v4
	v_ashrrev_i32_e32 v4, 31, v4
	v_and_b32_e32 v6, v6, v7
	;; [unrolled: 8-line block ×5, first 2 shown]
	v_xor_b32_e32 v7, s13, v4
	v_xor_b32_e32 v4, s12, v4
	v_and_b32_e32 v6, v6, v7
	v_and_b32_e32 v7, v5, v4
	v_lshlrev_b32_e32 v4, 24, v2
	v_cmp_gt_i64_e64 s[12:13], 0, v[3:4]
	v_not_b32_e32 v4, v4
	v_ashrrev_i32_e32 v4, 31, v4
	v_xor_b32_e32 v5, s13, v4
	v_xor_b32_e32 v4, s12, v4
	v_and_b32_e32 v4, v7, v4
	v_and_b32_e32 v5, v6, v5
	v_mbcnt_lo_u32_b32 v6, v4, 0
	v_mbcnt_hi_u32_b32 v22, v5, v6
	v_cmp_ne_u64_e64 s[12:13], 0, v[4:5]
	v_cmp_eq_u32_e64 s[14:15], 0, v22
	s_and_b64 s[14:15], s[14:15], s[12:13]
	ds_write2_b32 v15, v3, v3 offset0:1 offset1:2
	ds_write2_b32 v15, v3, v3 offset0:3 offset1:4
	s_waitcnt lgkmcnt(0)
	; wave barrier
	; wave barrier
	s_and_saveexec_b64 s[12:13], s[14:15]
; %bb.3:                                ;   in Loop: Header=BB144_2 Depth=1
	v_bcnt_u32_b32 v4, v4, 0
	v_bcnt_u32_b32 v4, v5, v4
	ds_write_b32 v21, v4 offset:4
; %bb.4:                                ;   in Loop: Header=BB144_2 Depth=1
	s_or_b64 exec, exec, s[12:13]
	; wave barrier
	s_waitcnt lgkmcnt(0)
	; wave barrier
	ds_read2_b32 v[6:7], v15 offset0:1 offset1:2
	ds_read2_b32 v[4:5], v15 offset0:3 offset1:4
	s_waitcnt lgkmcnt(1)
	v_add_u32_e32 v23, v7, v6
	s_waitcnt lgkmcnt(0)
	v_add3_u32 v5, v23, v4, v5
	s_nop 1
	v_mov_b32_dpp v23, v5 row_shr:1 row_mask:0xf bank_mask:0xf
	v_cndmask_b32_e64 v23, v23, 0, s[2:3]
	v_add_u32_e32 v5, v23, v5
	s_nop 1
	v_mov_b32_dpp v23, v5 row_shr:2 row_mask:0xf bank_mask:0xf
	v_cndmask_b32_e64 v23, 0, v23, s[4:5]
	v_add_u32_e32 v5, v5, v23
	;; [unrolled: 4-line block ×4, first 2 shown]
	s_nop 1
	v_mov_b32_dpp v23, v5 row_bcast:15 row_mask:0xf bank_mask:0xf
	v_cndmask_b32_e64 v23, v23, 0, s[10:11]
	v_add_u32_e32 v5, v5, v23
	s_nop 1
	v_mov_b32_dpp v23, v5 row_bcast:31 row_mask:0xf bank_mask:0xf
	v_cndmask_b32_e64 v23, 0, v23, s[0:1]
	v_add_u32_e32 v5, v5, v23
	s_and_saveexec_b64 s[12:13], vcc
; %bb.5:                                ;   in Loop: Header=BB144_2 Depth=1
	ds_write_b32 v3, v5
; %bb.6:                                ;   in Loop: Header=BB144_2 Depth=1
	s_or_b64 exec, exec, s[12:13]
	ds_bpermute_b32 v5, v18, v5
	s_waitcnt lgkmcnt(0)
	; wave barrier
	v_cndmask_b32_e64 v5, v5, 0, s[16:17]
	v_add_u32_e32 v6, v5, v6
	v_add_u32_e32 v7, v6, v7
	;; [unrolled: 1-line block ×3, first 2 shown]
	ds_write2_b32 v15, v5, v6 offset0:1 offset1:2
	ds_write2_b32 v15, v7, v4 offset0:3 offset1:4
	s_waitcnt lgkmcnt(0)
	; wave barrier
	ds_read_b32 v4, v21 offset:4
	v_lshlrev_b32_e32 v5, 3, v22
	s_waitcnt lgkmcnt(0)
	; wave barrier
	v_lshl_add_u32 v4, v4, 3, v5
	ds_write_b64 v4, v[1:2]
	s_waitcnt lgkmcnt(0)
	; wave barrier
	ds_read_b64 v[1:2], v16
	s_waitcnt lgkmcnt(0)
	; wave barrier
	ds_write2_b32 v15, v3, v3 offset0:1 offset1:2
	ds_write2_b32 v15, v3, v3 offset0:3 offset1:4
	s_waitcnt lgkmcnt(0)
	v_lshrrev_b32_e32 v5, 8, v2
	v_and_b32_e32 v4, 0xff, v5
	v_lshl_add_u32 v21, v4, 2, v19
	v_and_b32_e32 v4, 1, v5
	v_add_co_u32_e64 v6, s[12:13], -1, v4
	v_addc_co_u32_e64 v7, s[12:13], 0, -1, s[12:13]
	v_cmp_ne_u32_e64 s[12:13], 0, v4
	v_xor_b32_e32 v4, s13, v7
	v_and_b32_e32 v7, exec_hi, v4
	v_lshlrev_b32_e32 v4, 30, v5
	v_xor_b32_e32 v6, s12, v6
	v_cmp_gt_i64_e64 s[12:13], 0, v[3:4]
	v_not_b32_e32 v4, v4
	v_ashrrev_i32_e32 v4, 31, v4
	v_and_b32_e32 v6, exec_lo, v6
	v_xor_b32_e32 v22, s13, v4
	v_xor_b32_e32 v4, s12, v4
	v_and_b32_e32 v6, v6, v4
	v_lshlrev_b32_e32 v4, 29, v5
	v_cmp_gt_i64_e64 s[12:13], 0, v[3:4]
	v_not_b32_e32 v4, v4
	v_ashrrev_i32_e32 v4, 31, v4
	v_and_b32_e32 v7, v7, v22
	v_xor_b32_e32 v22, s13, v4
	v_xor_b32_e32 v4, s12, v4
	v_and_b32_e32 v6, v6, v4
	v_lshlrev_b32_e32 v4, 28, v5
	v_cmp_gt_i64_e64 s[12:13], 0, v[3:4]
	v_not_b32_e32 v4, v4
	v_ashrrev_i32_e32 v4, 31, v4
	v_and_b32_e32 v7, v7, v22
	;; [unrolled: 8-line block ×5, first 2 shown]
	v_xor_b32_e32 v22, s13, v4
	v_xor_b32_e32 v4, s12, v4
	v_and_b32_e32 v6, v6, v4
	v_lshlrev_b32_e32 v4, 24, v5
	v_cmp_gt_i64_e64 s[12:13], 0, v[3:4]
	v_not_b32_e32 v4, v4
	v_ashrrev_i32_e32 v4, 31, v4
	v_xor_b32_e32 v5, s13, v4
	v_xor_b32_e32 v4, s12, v4
	v_and_b32_e32 v7, v7, v22
	v_and_b32_e32 v4, v6, v4
	;; [unrolled: 1-line block ×3, first 2 shown]
	v_mbcnt_lo_u32_b32 v6, v4, 0
	v_mbcnt_hi_u32_b32 v22, v5, v6
	v_cmp_ne_u64_e64 s[12:13], 0, v[4:5]
	v_cmp_eq_u32_e64 s[14:15], 0, v22
	s_and_b64 s[14:15], s[14:15], s[12:13]
	; wave barrier
	; wave barrier
	s_and_saveexec_b64 s[12:13], s[14:15]
; %bb.7:                                ;   in Loop: Header=BB144_2 Depth=1
	v_bcnt_u32_b32 v4, v4, 0
	v_bcnt_u32_b32 v4, v5, v4
	ds_write_b32 v21, v4 offset:4
; %bb.8:                                ;   in Loop: Header=BB144_2 Depth=1
	s_or_b64 exec, exec, s[12:13]
	; wave barrier
	s_waitcnt lgkmcnt(0)
	; wave barrier
	ds_read2_b32 v[6:7], v15 offset0:1 offset1:2
	ds_read2_b32 v[4:5], v15 offset0:3 offset1:4
	s_waitcnt lgkmcnt(1)
	v_add_u32_e32 v23, v7, v6
	s_waitcnt lgkmcnt(0)
	v_add3_u32 v5, v23, v4, v5
	s_nop 1
	v_mov_b32_dpp v23, v5 row_shr:1 row_mask:0xf bank_mask:0xf
	v_cndmask_b32_e64 v23, v23, 0, s[2:3]
	v_add_u32_e32 v5, v23, v5
	s_nop 1
	v_mov_b32_dpp v23, v5 row_shr:2 row_mask:0xf bank_mask:0xf
	v_cndmask_b32_e64 v23, 0, v23, s[4:5]
	v_add_u32_e32 v5, v5, v23
	;; [unrolled: 4-line block ×4, first 2 shown]
	s_nop 1
	v_mov_b32_dpp v23, v5 row_bcast:15 row_mask:0xf bank_mask:0xf
	v_cndmask_b32_e64 v23, v23, 0, s[10:11]
	v_add_u32_e32 v5, v5, v23
	s_nop 1
	v_mov_b32_dpp v23, v5 row_bcast:31 row_mask:0xf bank_mask:0xf
	v_cndmask_b32_e64 v23, 0, v23, s[0:1]
	v_add_u32_e32 v5, v5, v23
	s_and_saveexec_b64 s[12:13], vcc
; %bb.9:                                ;   in Loop: Header=BB144_2 Depth=1
	ds_write_b32 v3, v5
; %bb.10:                               ;   in Loop: Header=BB144_2 Depth=1
	s_or_b64 exec, exec, s[12:13]
	ds_bpermute_b32 v5, v18, v5
	s_waitcnt lgkmcnt(0)
	; wave barrier
	v_cndmask_b32_e64 v5, v5, 0, s[16:17]
	v_add_u32_e32 v6, v5, v6
	v_add_u32_e32 v7, v6, v7
	;; [unrolled: 1-line block ×3, first 2 shown]
	ds_write2_b32 v15, v5, v6 offset0:1 offset1:2
	ds_write2_b32 v15, v7, v4 offset0:3 offset1:4
	s_waitcnt lgkmcnt(0)
	; wave barrier
	ds_read_b32 v4, v21 offset:4
	v_lshlrev_b32_e32 v5, 3, v22
	s_waitcnt lgkmcnt(0)
	; wave barrier
	v_lshl_add_u32 v4, v4, 3, v5
	ds_write_b64 v4, v[1:2]
	s_waitcnt lgkmcnt(0)
	; wave barrier
	ds_read_b64 v[1:2], v16
	s_waitcnt lgkmcnt(0)
	; wave barrier
	ds_write2_b32 v15, v3, v3 offset0:1 offset1:2
	ds_write2_b32 v15, v3, v3 offset0:3 offset1:4
	s_waitcnt lgkmcnt(0)
	v_and_b32_sdwa v4, v2, s23 dst_sel:DWORD dst_unused:UNUSED_PAD src0_sel:WORD_1 src1_sel:DWORD
	v_lshl_add_u32 v21, v4, 2, v19
	v_and_b32_sdwa v4, v2, v8 dst_sel:DWORD dst_unused:UNUSED_PAD src0_sel:WORD_1 src1_sel:DWORD
	v_add_co_u32_e64 v5, s[12:13], -1, v4
	v_addc_co_u32_e64 v6, s[12:13], 0, -1, s[12:13]
	v_cmp_ne_u32_e64 s[12:13], 0, v4
	v_xor_b32_e32 v4, s13, v6
	v_and_b32_e32 v6, exec_hi, v4
	v_lshlrev_b32_sdwa v4, v9, v2 dst_sel:DWORD dst_unused:UNUSED_PAD src0_sel:DWORD src1_sel:WORD_1
	v_xor_b32_e32 v5, s12, v5
	v_cmp_gt_i64_e64 s[12:13], 0, v[3:4]
	v_not_b32_e32 v4, v4
	v_ashrrev_i32_e32 v4, 31, v4
	v_and_b32_e32 v5, exec_lo, v5
	v_xor_b32_e32 v7, s13, v4
	v_xor_b32_e32 v4, s12, v4
	v_and_b32_e32 v5, v5, v4
	v_lshlrev_b32_sdwa v4, v10, v2 dst_sel:DWORD dst_unused:UNUSED_PAD src0_sel:DWORD src1_sel:WORD_1
	v_cmp_gt_i64_e64 s[12:13], 0, v[3:4]
	v_not_b32_e32 v4, v4
	v_ashrrev_i32_e32 v4, 31, v4
	v_and_b32_e32 v6, v6, v7
	v_xor_b32_e32 v7, s13, v4
	v_xor_b32_e32 v4, s12, v4
	v_and_b32_e32 v5, v5, v4
	v_lshlrev_b32_sdwa v4, v11, v2 dst_sel:DWORD dst_unused:UNUSED_PAD src0_sel:DWORD src1_sel:WORD_1
	v_cmp_gt_i64_e64 s[12:13], 0, v[3:4]
	v_not_b32_e32 v4, v4
	v_ashrrev_i32_e32 v4, 31, v4
	v_and_b32_e32 v6, v6, v7
	;; [unrolled: 8-line block ×5, first 2 shown]
	v_xor_b32_e32 v7, s13, v4
	v_xor_b32_e32 v4, s12, v4
	v_and_b32_e32 v6, v6, v7
	v_and_b32_e32 v7, v5, v4
	v_lshlrev_b32_sdwa v4, v20, v2 dst_sel:DWORD dst_unused:UNUSED_PAD src0_sel:DWORD src1_sel:WORD_1
	v_cmp_gt_i64_e64 s[12:13], 0, v[3:4]
	v_not_b32_e32 v4, v4
	v_ashrrev_i32_e32 v4, 31, v4
	v_xor_b32_e32 v5, s13, v4
	v_xor_b32_e32 v4, s12, v4
	v_and_b32_e32 v4, v7, v4
	v_and_b32_e32 v5, v6, v5
	v_mbcnt_lo_u32_b32 v6, v4, 0
	v_mbcnt_hi_u32_b32 v22, v5, v6
	v_cmp_ne_u64_e64 s[12:13], 0, v[4:5]
	v_cmp_eq_u32_e64 s[14:15], 0, v22
	s_and_b64 s[14:15], s[14:15], s[12:13]
	; wave barrier
	; wave barrier
	s_and_saveexec_b64 s[12:13], s[14:15]
; %bb.11:                               ;   in Loop: Header=BB144_2 Depth=1
	v_bcnt_u32_b32 v4, v4, 0
	v_bcnt_u32_b32 v4, v5, v4
	ds_write_b32 v21, v4 offset:4
; %bb.12:                               ;   in Loop: Header=BB144_2 Depth=1
	s_or_b64 exec, exec, s[12:13]
	; wave barrier
	s_waitcnt lgkmcnt(0)
	; wave barrier
	ds_read2_b32 v[6:7], v15 offset0:1 offset1:2
	ds_read2_b32 v[4:5], v15 offset0:3 offset1:4
	s_waitcnt lgkmcnt(1)
	v_add_u32_e32 v23, v7, v6
	s_waitcnt lgkmcnt(0)
	v_add3_u32 v5, v23, v4, v5
	s_nop 1
	v_mov_b32_dpp v23, v5 row_shr:1 row_mask:0xf bank_mask:0xf
	v_cndmask_b32_e64 v23, v23, 0, s[2:3]
	v_add_u32_e32 v5, v23, v5
	s_nop 1
	v_mov_b32_dpp v23, v5 row_shr:2 row_mask:0xf bank_mask:0xf
	v_cndmask_b32_e64 v23, 0, v23, s[4:5]
	v_add_u32_e32 v5, v5, v23
	;; [unrolled: 4-line block ×4, first 2 shown]
	s_nop 1
	v_mov_b32_dpp v23, v5 row_bcast:15 row_mask:0xf bank_mask:0xf
	v_cndmask_b32_e64 v23, v23, 0, s[10:11]
	v_add_u32_e32 v5, v5, v23
	s_nop 1
	v_mov_b32_dpp v23, v5 row_bcast:31 row_mask:0xf bank_mask:0xf
	v_cndmask_b32_e64 v23, 0, v23, s[0:1]
	v_add_u32_e32 v5, v5, v23
	s_and_saveexec_b64 s[12:13], vcc
; %bb.13:                               ;   in Loop: Header=BB144_2 Depth=1
	ds_write_b32 v3, v5
; %bb.14:                               ;   in Loop: Header=BB144_2 Depth=1
	s_or_b64 exec, exec, s[12:13]
	ds_bpermute_b32 v5, v18, v5
	s_waitcnt lgkmcnt(0)
	; wave barrier
	v_cndmask_b32_e64 v5, v5, 0, s[16:17]
	v_add_u32_e32 v6, v5, v6
	v_add_u32_e32 v7, v6, v7
	;; [unrolled: 1-line block ×3, first 2 shown]
	ds_write2_b32 v15, v5, v6 offset0:1 offset1:2
	ds_write2_b32 v15, v7, v4 offset0:3 offset1:4
	s_waitcnt lgkmcnt(0)
	; wave barrier
	ds_read_b32 v4, v21 offset:4
	v_lshlrev_b32_e32 v5, 3, v22
	s_waitcnt lgkmcnt(0)
	; wave barrier
	v_lshl_add_u32 v4, v4, 3, v5
	ds_write_b64 v4, v[1:2]
	s_waitcnt lgkmcnt(0)
	; wave barrier
	ds_read_b64 v[1:2], v16
	s_waitcnt lgkmcnt(0)
	; wave barrier
	ds_write2_b32 v15, v3, v3 offset0:1 offset1:2
	ds_write2_b32 v15, v3, v3 offset0:3 offset1:4
	s_waitcnt lgkmcnt(0)
	v_lshrrev_b32_e32 v5, 24, v2
	v_and_b32_e32 v4, 1, v5
	v_add_co_u32_e64 v6, s[12:13], -1, v4
	v_addc_co_u32_e64 v7, s[12:13], 0, -1, s[12:13]
	v_cmp_ne_u32_e64 s[12:13], 0, v4
	v_xor_b32_e32 v4, s13, v7
	v_and_b32_e32 v7, exec_hi, v4
	v_lshlrev_b32_e32 v4, 30, v5
	v_xor_b32_e32 v6, s12, v6
	v_cmp_gt_i64_e64 s[12:13], 0, v[3:4]
	v_not_b32_e32 v4, v4
	v_ashrrev_i32_e32 v4, 31, v4
	v_and_b32_e32 v6, exec_lo, v6
	v_xor_b32_e32 v22, s13, v4
	v_xor_b32_e32 v4, s12, v4
	v_and_b32_e32 v6, v6, v4
	v_lshlrev_b32_e32 v4, 29, v5
	v_cmp_gt_i64_e64 s[12:13], 0, v[3:4]
	v_not_b32_e32 v4, v4
	v_ashrrev_i32_e32 v4, 31, v4
	v_and_b32_e32 v7, v7, v22
	v_xor_b32_e32 v22, s13, v4
	v_xor_b32_e32 v4, s12, v4
	v_and_b32_e32 v6, v6, v4
	v_lshlrev_b32_e32 v4, 28, v5
	v_cmp_gt_i64_e64 s[12:13], 0, v[3:4]
	v_not_b32_e32 v4, v4
	v_ashrrev_i32_e32 v4, 31, v4
	v_and_b32_e32 v7, v7, v22
	;; [unrolled: 8-line block ×5, first 2 shown]
	v_xor_b32_e32 v22, s13, v4
	v_xor_b32_e32 v4, s12, v4
	v_and_b32_e32 v6, v6, v4
	v_lshlrev_b32_e32 v4, 24, v5
	v_cmp_gt_i64_e64 s[12:13], 0, v[3:4]
	v_not_b32_e32 v4, v4
	v_ashrrev_i32_e32 v4, 31, v4
	v_lshl_add_u32 v21, v5, 2, v19
	v_xor_b32_e32 v5, s13, v4
	v_xor_b32_e32 v4, s12, v4
	v_and_b32_e32 v7, v7, v22
	v_and_b32_e32 v4, v6, v4
	;; [unrolled: 1-line block ×3, first 2 shown]
	v_mbcnt_lo_u32_b32 v6, v4, 0
	v_mbcnt_hi_u32_b32 v22, v5, v6
	v_cmp_ne_u64_e64 s[12:13], 0, v[4:5]
	v_cmp_eq_u32_e64 s[14:15], 0, v22
	s_and_b64 s[14:15], s[14:15], s[12:13]
	; wave barrier
	; wave barrier
	s_and_saveexec_b64 s[12:13], s[14:15]
; %bb.15:                               ;   in Loop: Header=BB144_2 Depth=1
	v_bcnt_u32_b32 v4, v4, 0
	v_bcnt_u32_b32 v4, v5, v4
	ds_write_b32 v21, v4 offset:4
; %bb.16:                               ;   in Loop: Header=BB144_2 Depth=1
	s_or_b64 exec, exec, s[12:13]
	; wave barrier
	s_waitcnt lgkmcnt(0)
	; wave barrier
	ds_read2_b32 v[6:7], v15 offset0:1 offset1:2
	ds_read2_b32 v[4:5], v15 offset0:3 offset1:4
	s_waitcnt lgkmcnt(1)
	v_add_u32_e32 v23, v7, v6
	s_waitcnt lgkmcnt(0)
	v_add3_u32 v5, v23, v4, v5
	s_nop 1
	v_mov_b32_dpp v23, v5 row_shr:1 row_mask:0xf bank_mask:0xf
	v_cndmask_b32_e64 v23, v23, 0, s[2:3]
	v_add_u32_e32 v5, v23, v5
	s_nop 1
	v_mov_b32_dpp v23, v5 row_shr:2 row_mask:0xf bank_mask:0xf
	v_cndmask_b32_e64 v23, 0, v23, s[4:5]
	v_add_u32_e32 v5, v5, v23
	;; [unrolled: 4-line block ×4, first 2 shown]
	s_nop 1
	v_mov_b32_dpp v23, v5 row_bcast:15 row_mask:0xf bank_mask:0xf
	v_cndmask_b32_e64 v23, v23, 0, s[10:11]
	v_add_u32_e32 v5, v5, v23
	s_nop 1
	v_mov_b32_dpp v23, v5 row_bcast:31 row_mask:0xf bank_mask:0xf
	v_cndmask_b32_e64 v23, 0, v23, s[0:1]
	v_add_u32_e32 v5, v5, v23
	s_and_saveexec_b64 s[12:13], vcc
; %bb.17:                               ;   in Loop: Header=BB144_2 Depth=1
	ds_write_b32 v3, v5
; %bb.18:                               ;   in Loop: Header=BB144_2 Depth=1
	s_or_b64 exec, exec, s[12:13]
	ds_bpermute_b32 v5, v18, v5
	s_waitcnt lgkmcnt(0)
	; wave barrier
	v_cndmask_b32_e64 v5, v5, 0, s[16:17]
	v_add_u32_e32 v6, v5, v6
	v_add_u32_e32 v7, v6, v7
	;; [unrolled: 1-line block ×3, first 2 shown]
	ds_write2_b32 v15, v5, v6 offset0:1 offset1:2
	ds_write2_b32 v15, v7, v4 offset0:3 offset1:4
	s_waitcnt lgkmcnt(0)
	; wave barrier
	ds_read_b32 v4, v21 offset:4
	v_lshlrev_b32_e32 v5, 3, v22
	s_waitcnt lgkmcnt(0)
	; wave barrier
	v_lshl_add_u32 v4, v4, 3, v5
	ds_write_b64 v4, v[1:2]
	s_waitcnt lgkmcnt(0)
	; wave barrier
	ds_read_b64 v[1:2], v16
	s_waitcnt lgkmcnt(0)
	; wave barrier
	ds_write2_b32 v15, v3, v3 offset0:1 offset1:2
	ds_write2_b32 v15, v3, v3 offset0:3 offset1:4
	s_waitcnt lgkmcnt(0)
	v_and_b32_e32 v4, 0xff, v1
	v_lshl_add_u32 v21, v4, 2, v19
	v_and_b32_e32 v4, 1, v1
	v_add_co_u32_e64 v5, s[12:13], -1, v4
	v_addc_co_u32_e64 v6, s[12:13], 0, -1, s[12:13]
	v_cmp_ne_u32_e64 s[12:13], 0, v4
	v_xor_b32_e32 v4, s13, v6
	v_and_b32_e32 v6, exec_hi, v4
	v_lshlrev_b32_e32 v4, 30, v1
	v_xor_b32_e32 v5, s12, v5
	v_cmp_gt_i64_e64 s[12:13], 0, v[3:4]
	v_not_b32_e32 v4, v4
	v_ashrrev_i32_e32 v4, 31, v4
	v_and_b32_e32 v5, exec_lo, v5
	v_xor_b32_e32 v7, s13, v4
	v_xor_b32_e32 v4, s12, v4
	v_and_b32_e32 v5, v5, v4
	v_lshlrev_b32_e32 v4, 29, v1
	v_cmp_gt_i64_e64 s[12:13], 0, v[3:4]
	v_not_b32_e32 v4, v4
	v_ashrrev_i32_e32 v4, 31, v4
	v_and_b32_e32 v6, v6, v7
	v_xor_b32_e32 v7, s13, v4
	v_xor_b32_e32 v4, s12, v4
	v_and_b32_e32 v5, v5, v4
	v_lshlrev_b32_e32 v4, 28, v1
	v_cmp_gt_i64_e64 s[12:13], 0, v[3:4]
	v_not_b32_e32 v4, v4
	v_ashrrev_i32_e32 v4, 31, v4
	v_and_b32_e32 v6, v6, v7
	;; [unrolled: 8-line block ×5, first 2 shown]
	v_xor_b32_e32 v7, s13, v4
	v_xor_b32_e32 v4, s12, v4
	v_and_b32_e32 v6, v6, v7
	v_and_b32_e32 v7, v5, v4
	v_lshlrev_b32_e32 v4, 24, v1
	v_cmp_gt_i64_e64 s[12:13], 0, v[3:4]
	v_not_b32_e32 v4, v4
	v_ashrrev_i32_e32 v4, 31, v4
	v_xor_b32_e32 v5, s13, v4
	v_xor_b32_e32 v4, s12, v4
	v_and_b32_e32 v4, v7, v4
	v_and_b32_e32 v5, v6, v5
	v_mbcnt_lo_u32_b32 v6, v4, 0
	v_mbcnt_hi_u32_b32 v22, v5, v6
	v_cmp_ne_u64_e64 s[12:13], 0, v[4:5]
	v_cmp_eq_u32_e64 s[14:15], 0, v22
	s_and_b64 s[14:15], s[14:15], s[12:13]
	; wave barrier
	; wave barrier
	s_and_saveexec_b64 s[12:13], s[14:15]
; %bb.19:                               ;   in Loop: Header=BB144_2 Depth=1
	v_bcnt_u32_b32 v4, v4, 0
	v_bcnt_u32_b32 v4, v5, v4
	ds_write_b32 v21, v4 offset:4
; %bb.20:                               ;   in Loop: Header=BB144_2 Depth=1
	s_or_b64 exec, exec, s[12:13]
	; wave barrier
	s_waitcnt lgkmcnt(0)
	; wave barrier
	ds_read2_b32 v[6:7], v15 offset0:1 offset1:2
	ds_read2_b32 v[4:5], v15 offset0:3 offset1:4
	s_waitcnt lgkmcnt(1)
	v_add_u32_e32 v23, v7, v6
	s_waitcnt lgkmcnt(0)
	v_add3_u32 v5, v23, v4, v5
	s_nop 1
	v_mov_b32_dpp v23, v5 row_shr:1 row_mask:0xf bank_mask:0xf
	v_cndmask_b32_e64 v23, v23, 0, s[2:3]
	v_add_u32_e32 v5, v23, v5
	s_nop 1
	v_mov_b32_dpp v23, v5 row_shr:2 row_mask:0xf bank_mask:0xf
	v_cndmask_b32_e64 v23, 0, v23, s[4:5]
	v_add_u32_e32 v5, v5, v23
	;; [unrolled: 4-line block ×4, first 2 shown]
	s_nop 1
	v_mov_b32_dpp v23, v5 row_bcast:15 row_mask:0xf bank_mask:0xf
	v_cndmask_b32_e64 v23, v23, 0, s[10:11]
	v_add_u32_e32 v5, v5, v23
	s_nop 1
	v_mov_b32_dpp v23, v5 row_bcast:31 row_mask:0xf bank_mask:0xf
	v_cndmask_b32_e64 v23, 0, v23, s[0:1]
	v_add_u32_e32 v5, v5, v23
	s_and_saveexec_b64 s[12:13], vcc
; %bb.21:                               ;   in Loop: Header=BB144_2 Depth=1
	ds_write_b32 v3, v5
; %bb.22:                               ;   in Loop: Header=BB144_2 Depth=1
	s_or_b64 exec, exec, s[12:13]
	ds_bpermute_b32 v5, v18, v5
	s_waitcnt lgkmcnt(0)
	; wave barrier
	v_cndmask_b32_e64 v5, v5, 0, s[16:17]
	v_add_u32_e32 v6, v5, v6
	v_add_u32_e32 v7, v6, v7
	;; [unrolled: 1-line block ×3, first 2 shown]
	ds_write2_b32 v15, v5, v6 offset0:1 offset1:2
	ds_write2_b32 v15, v7, v4 offset0:3 offset1:4
	s_waitcnt lgkmcnt(0)
	; wave barrier
	ds_read_b32 v4, v21 offset:4
	v_lshlrev_b32_e32 v5, 3, v22
	s_waitcnt lgkmcnt(0)
	; wave barrier
	v_lshl_add_u32 v4, v4, 3, v5
	ds_write_b64 v4, v[1:2]
	s_waitcnt lgkmcnt(0)
	; wave barrier
	ds_read_b64 v[1:2], v16
	s_waitcnt lgkmcnt(0)
	; wave barrier
	ds_write2_b32 v15, v3, v3 offset0:1 offset1:2
	ds_write2_b32 v15, v3, v3 offset0:3 offset1:4
	s_waitcnt lgkmcnt(0)
	v_lshrrev_b32_e32 v5, 8, v1
	v_and_b32_e32 v4, 0xff, v5
	v_lshl_add_u32 v21, v4, 2, v19
	v_and_b32_e32 v4, 1, v5
	v_add_co_u32_e64 v6, s[12:13], -1, v4
	v_addc_co_u32_e64 v7, s[12:13], 0, -1, s[12:13]
	v_cmp_ne_u32_e64 s[12:13], 0, v4
	v_xor_b32_e32 v4, s13, v7
	v_and_b32_e32 v7, exec_hi, v4
	v_lshlrev_b32_e32 v4, 30, v5
	v_xor_b32_e32 v6, s12, v6
	v_cmp_gt_i64_e64 s[12:13], 0, v[3:4]
	v_not_b32_e32 v4, v4
	v_ashrrev_i32_e32 v4, 31, v4
	v_and_b32_e32 v6, exec_lo, v6
	v_xor_b32_e32 v22, s13, v4
	v_xor_b32_e32 v4, s12, v4
	v_and_b32_e32 v6, v6, v4
	v_lshlrev_b32_e32 v4, 29, v5
	v_cmp_gt_i64_e64 s[12:13], 0, v[3:4]
	v_not_b32_e32 v4, v4
	v_ashrrev_i32_e32 v4, 31, v4
	v_and_b32_e32 v7, v7, v22
	v_xor_b32_e32 v22, s13, v4
	v_xor_b32_e32 v4, s12, v4
	v_and_b32_e32 v6, v6, v4
	v_lshlrev_b32_e32 v4, 28, v5
	v_cmp_gt_i64_e64 s[12:13], 0, v[3:4]
	v_not_b32_e32 v4, v4
	v_ashrrev_i32_e32 v4, 31, v4
	v_and_b32_e32 v7, v7, v22
	;; [unrolled: 8-line block ×5, first 2 shown]
	v_xor_b32_e32 v22, s13, v4
	v_xor_b32_e32 v4, s12, v4
	v_and_b32_e32 v6, v6, v4
	v_lshlrev_b32_e32 v4, 24, v5
	v_cmp_gt_i64_e64 s[12:13], 0, v[3:4]
	v_not_b32_e32 v4, v4
	v_ashrrev_i32_e32 v4, 31, v4
	v_xor_b32_e32 v5, s13, v4
	v_xor_b32_e32 v4, s12, v4
	v_and_b32_e32 v7, v7, v22
	v_and_b32_e32 v4, v6, v4
	;; [unrolled: 1-line block ×3, first 2 shown]
	v_mbcnt_lo_u32_b32 v6, v4, 0
	v_mbcnt_hi_u32_b32 v22, v5, v6
	v_cmp_ne_u64_e64 s[12:13], 0, v[4:5]
	v_cmp_eq_u32_e64 s[14:15], 0, v22
	s_and_b64 s[14:15], s[14:15], s[12:13]
	; wave barrier
	; wave barrier
	s_and_saveexec_b64 s[12:13], s[14:15]
; %bb.23:                               ;   in Loop: Header=BB144_2 Depth=1
	v_bcnt_u32_b32 v4, v4, 0
	v_bcnt_u32_b32 v4, v5, v4
	ds_write_b32 v21, v4 offset:4
; %bb.24:                               ;   in Loop: Header=BB144_2 Depth=1
	s_or_b64 exec, exec, s[12:13]
	; wave barrier
	s_waitcnt lgkmcnt(0)
	; wave barrier
	ds_read2_b32 v[6:7], v15 offset0:1 offset1:2
	ds_read2_b32 v[4:5], v15 offset0:3 offset1:4
	s_waitcnt lgkmcnt(1)
	v_add_u32_e32 v23, v7, v6
	s_waitcnt lgkmcnt(0)
	v_add3_u32 v5, v23, v4, v5
	s_nop 1
	v_mov_b32_dpp v23, v5 row_shr:1 row_mask:0xf bank_mask:0xf
	v_cndmask_b32_e64 v23, v23, 0, s[2:3]
	v_add_u32_e32 v5, v23, v5
	s_nop 1
	v_mov_b32_dpp v23, v5 row_shr:2 row_mask:0xf bank_mask:0xf
	v_cndmask_b32_e64 v23, 0, v23, s[4:5]
	v_add_u32_e32 v5, v5, v23
	;; [unrolled: 4-line block ×4, first 2 shown]
	s_nop 1
	v_mov_b32_dpp v23, v5 row_bcast:15 row_mask:0xf bank_mask:0xf
	v_cndmask_b32_e64 v23, v23, 0, s[10:11]
	v_add_u32_e32 v5, v5, v23
	s_nop 1
	v_mov_b32_dpp v23, v5 row_bcast:31 row_mask:0xf bank_mask:0xf
	v_cndmask_b32_e64 v23, 0, v23, s[0:1]
	v_add_u32_e32 v5, v5, v23
	s_and_saveexec_b64 s[12:13], vcc
; %bb.25:                               ;   in Loop: Header=BB144_2 Depth=1
	ds_write_b32 v3, v5
; %bb.26:                               ;   in Loop: Header=BB144_2 Depth=1
	s_or_b64 exec, exec, s[12:13]
	ds_bpermute_b32 v5, v18, v5
	s_waitcnt lgkmcnt(0)
	; wave barrier
	v_cndmask_b32_e64 v5, v5, 0, s[16:17]
	v_add_u32_e32 v6, v5, v6
	v_add_u32_e32 v7, v6, v7
	;; [unrolled: 1-line block ×3, first 2 shown]
	ds_write2_b32 v15, v5, v6 offset0:1 offset1:2
	ds_write2_b32 v15, v7, v4 offset0:3 offset1:4
	s_waitcnt lgkmcnt(0)
	; wave barrier
	ds_read_b32 v4, v21 offset:4
	v_lshlrev_b32_e32 v5, 3, v22
	s_waitcnt lgkmcnt(0)
	; wave barrier
	v_lshl_add_u32 v4, v4, 3, v5
	ds_write_b64 v4, v[1:2]
	s_waitcnt lgkmcnt(0)
	; wave barrier
	ds_read_b64 v[1:2], v16
	s_waitcnt lgkmcnt(0)
	; wave barrier
	ds_write2_b32 v15, v3, v3 offset0:1 offset1:2
	ds_write2_b32 v15, v3, v3 offset0:3 offset1:4
	s_waitcnt lgkmcnt(0)
	v_and_b32_sdwa v4, v1, s23 dst_sel:DWORD dst_unused:UNUSED_PAD src0_sel:WORD_1 src1_sel:DWORD
	v_lshl_add_u32 v21, v4, 2, v19
	v_and_b32_sdwa v4, v1, v8 dst_sel:DWORD dst_unused:UNUSED_PAD src0_sel:WORD_1 src1_sel:DWORD
	v_add_co_u32_e64 v5, s[12:13], -1, v4
	v_addc_co_u32_e64 v6, s[12:13], 0, -1, s[12:13]
	v_cmp_ne_u32_e64 s[12:13], 0, v4
	v_xor_b32_e32 v4, s13, v6
	v_and_b32_e32 v6, exec_hi, v4
	v_lshlrev_b32_sdwa v4, v9, v1 dst_sel:DWORD dst_unused:UNUSED_PAD src0_sel:DWORD src1_sel:WORD_1
	v_xor_b32_e32 v5, s12, v5
	v_cmp_gt_i64_e64 s[12:13], 0, v[3:4]
	v_not_b32_e32 v4, v4
	v_ashrrev_i32_e32 v4, 31, v4
	v_and_b32_e32 v5, exec_lo, v5
	v_xor_b32_e32 v7, s13, v4
	v_xor_b32_e32 v4, s12, v4
	v_and_b32_e32 v5, v5, v4
	v_lshlrev_b32_sdwa v4, v10, v1 dst_sel:DWORD dst_unused:UNUSED_PAD src0_sel:DWORD src1_sel:WORD_1
	v_cmp_gt_i64_e64 s[12:13], 0, v[3:4]
	v_not_b32_e32 v4, v4
	v_ashrrev_i32_e32 v4, 31, v4
	v_and_b32_e32 v6, v6, v7
	v_xor_b32_e32 v7, s13, v4
	v_xor_b32_e32 v4, s12, v4
	v_and_b32_e32 v5, v5, v4
	v_lshlrev_b32_sdwa v4, v11, v1 dst_sel:DWORD dst_unused:UNUSED_PAD src0_sel:DWORD src1_sel:WORD_1
	v_cmp_gt_i64_e64 s[12:13], 0, v[3:4]
	v_not_b32_e32 v4, v4
	v_ashrrev_i32_e32 v4, 31, v4
	v_and_b32_e32 v6, v6, v7
	;; [unrolled: 8-line block ×5, first 2 shown]
	v_xor_b32_e32 v7, s13, v4
	v_xor_b32_e32 v4, s12, v4
	v_and_b32_e32 v6, v6, v7
	v_and_b32_e32 v7, v5, v4
	v_lshlrev_b32_sdwa v4, v20, v1 dst_sel:DWORD dst_unused:UNUSED_PAD src0_sel:DWORD src1_sel:WORD_1
	v_cmp_gt_i64_e64 s[12:13], 0, v[3:4]
	v_not_b32_e32 v4, v4
	v_ashrrev_i32_e32 v4, 31, v4
	v_xor_b32_e32 v5, s13, v4
	v_xor_b32_e32 v4, s12, v4
	v_and_b32_e32 v4, v7, v4
	v_and_b32_e32 v5, v6, v5
	v_mbcnt_lo_u32_b32 v6, v4, 0
	v_mbcnt_hi_u32_b32 v22, v5, v6
	v_cmp_ne_u64_e64 s[12:13], 0, v[4:5]
	v_cmp_eq_u32_e64 s[14:15], 0, v22
	s_and_b64 s[14:15], s[14:15], s[12:13]
	; wave barrier
	; wave barrier
	s_and_saveexec_b64 s[12:13], s[14:15]
; %bb.27:                               ;   in Loop: Header=BB144_2 Depth=1
	v_bcnt_u32_b32 v4, v4, 0
	v_bcnt_u32_b32 v4, v5, v4
	ds_write_b32 v21, v4 offset:4
; %bb.28:                               ;   in Loop: Header=BB144_2 Depth=1
	s_or_b64 exec, exec, s[12:13]
	; wave barrier
	s_waitcnt lgkmcnt(0)
	; wave barrier
	ds_read2_b32 v[6:7], v15 offset0:1 offset1:2
	ds_read2_b32 v[4:5], v15 offset0:3 offset1:4
	s_waitcnt lgkmcnt(1)
	v_add_u32_e32 v23, v7, v6
	s_waitcnt lgkmcnt(0)
	v_add3_u32 v5, v23, v4, v5
	s_nop 1
	v_mov_b32_dpp v23, v5 row_shr:1 row_mask:0xf bank_mask:0xf
	v_cndmask_b32_e64 v23, v23, 0, s[2:3]
	v_add_u32_e32 v5, v23, v5
	s_nop 1
	v_mov_b32_dpp v23, v5 row_shr:2 row_mask:0xf bank_mask:0xf
	v_cndmask_b32_e64 v23, 0, v23, s[4:5]
	v_add_u32_e32 v5, v5, v23
	;; [unrolled: 4-line block ×4, first 2 shown]
	s_nop 1
	v_mov_b32_dpp v23, v5 row_bcast:15 row_mask:0xf bank_mask:0xf
	v_cndmask_b32_e64 v23, v23, 0, s[10:11]
	v_add_u32_e32 v5, v5, v23
	s_nop 1
	v_mov_b32_dpp v23, v5 row_bcast:31 row_mask:0xf bank_mask:0xf
	v_cndmask_b32_e64 v23, 0, v23, s[0:1]
	v_add_u32_e32 v5, v5, v23
	s_and_saveexec_b64 s[12:13], vcc
; %bb.29:                               ;   in Loop: Header=BB144_2 Depth=1
	ds_write_b32 v3, v5
; %bb.30:                               ;   in Loop: Header=BB144_2 Depth=1
	s_or_b64 exec, exec, s[12:13]
	ds_bpermute_b32 v5, v18, v5
	s_waitcnt lgkmcnt(0)
	; wave barrier
	v_cndmask_b32_e64 v5, v5, 0, s[16:17]
	v_add_u32_e32 v6, v5, v6
	v_add_u32_e32 v7, v6, v7
	;; [unrolled: 1-line block ×3, first 2 shown]
	ds_write2_b32 v15, v5, v6 offset0:1 offset1:2
	ds_write2_b32 v15, v7, v4 offset0:3 offset1:4
	s_waitcnt lgkmcnt(0)
	; wave barrier
	ds_read_b32 v4, v21 offset:4
	v_lshlrev_b32_e32 v5, 3, v22
	s_waitcnt lgkmcnt(0)
	; wave barrier
	v_lshl_add_u32 v4, v4, 3, v5
	ds_write_b64 v4, v[1:2]
	s_waitcnt lgkmcnt(0)
	; wave barrier
	ds_read_b64 v[1:2], v16
	s_waitcnt lgkmcnt(0)
	; wave barrier
	ds_write2_b32 v15, v3, v3 offset0:1 offset1:2
	ds_write2_b32 v15, v3, v3 offset0:3 offset1:4
	s_waitcnt lgkmcnt(0)
	v_lshrrev_b32_e32 v5, 24, v1
	v_and_b32_e32 v4, 1, v5
	v_add_co_u32_e64 v6, s[12:13], -1, v4
	v_addc_co_u32_e64 v7, s[12:13], 0, -1, s[12:13]
	v_cmp_ne_u32_e64 s[12:13], 0, v4
	v_xor_b32_e32 v4, s13, v7
	v_and_b32_e32 v7, exec_hi, v4
	v_lshlrev_b32_e32 v4, 30, v5
	v_xor_b32_e32 v6, s12, v6
	v_cmp_gt_i64_e64 s[12:13], 0, v[3:4]
	v_not_b32_e32 v4, v4
	v_ashrrev_i32_e32 v4, 31, v4
	v_and_b32_e32 v6, exec_lo, v6
	v_xor_b32_e32 v22, s13, v4
	v_xor_b32_e32 v4, s12, v4
	v_and_b32_e32 v6, v6, v4
	v_lshlrev_b32_e32 v4, 29, v5
	v_cmp_gt_i64_e64 s[12:13], 0, v[3:4]
	v_not_b32_e32 v4, v4
	v_ashrrev_i32_e32 v4, 31, v4
	v_and_b32_e32 v7, v7, v22
	v_xor_b32_e32 v22, s13, v4
	v_xor_b32_e32 v4, s12, v4
	v_and_b32_e32 v6, v6, v4
	v_lshlrev_b32_e32 v4, 28, v5
	v_cmp_gt_i64_e64 s[12:13], 0, v[3:4]
	v_not_b32_e32 v4, v4
	v_ashrrev_i32_e32 v4, 31, v4
	v_and_b32_e32 v7, v7, v22
	;; [unrolled: 8-line block ×5, first 2 shown]
	v_xor_b32_e32 v22, s13, v4
	v_xor_b32_e32 v4, s12, v4
	v_and_b32_e32 v6, v6, v4
	v_lshlrev_b32_e32 v4, 24, v5
	v_cmp_gt_i64_e64 s[12:13], 0, v[3:4]
	v_not_b32_e32 v4, v4
	v_ashrrev_i32_e32 v4, 31, v4
	v_lshl_add_u32 v21, v5, 2, v19
	v_xor_b32_e32 v5, s13, v4
	v_xor_b32_e32 v4, s12, v4
	v_and_b32_e32 v7, v7, v22
	v_and_b32_e32 v4, v6, v4
	;; [unrolled: 1-line block ×3, first 2 shown]
	v_mbcnt_lo_u32_b32 v6, v4, 0
	v_mbcnt_hi_u32_b32 v22, v5, v6
	v_cmp_ne_u64_e64 s[12:13], 0, v[4:5]
	v_cmp_eq_u32_e64 s[14:15], 0, v22
	s_and_b64 s[14:15], s[14:15], s[12:13]
	; wave barrier
	; wave barrier
	s_and_saveexec_b64 s[12:13], s[14:15]
; %bb.31:                               ;   in Loop: Header=BB144_2 Depth=1
	v_bcnt_u32_b32 v4, v4, 0
	v_bcnt_u32_b32 v4, v5, v4
	ds_write_b32 v21, v4 offset:4
; %bb.32:                               ;   in Loop: Header=BB144_2 Depth=1
	s_or_b64 exec, exec, s[12:13]
	; wave barrier
	s_waitcnt lgkmcnt(0)
	; wave barrier
	ds_read2_b32 v[6:7], v15 offset0:1 offset1:2
	ds_read2_b32 v[4:5], v15 offset0:3 offset1:4
	s_waitcnt lgkmcnt(1)
	v_add_u32_e32 v23, v7, v6
	s_waitcnt lgkmcnt(0)
	v_add3_u32 v5, v23, v4, v5
	s_nop 1
	v_mov_b32_dpp v23, v5 row_shr:1 row_mask:0xf bank_mask:0xf
	v_cndmask_b32_e64 v23, v23, 0, s[2:3]
	v_add_u32_e32 v5, v23, v5
	s_nop 1
	v_mov_b32_dpp v23, v5 row_shr:2 row_mask:0xf bank_mask:0xf
	v_cndmask_b32_e64 v23, 0, v23, s[4:5]
	v_add_u32_e32 v5, v5, v23
	;; [unrolled: 4-line block ×4, first 2 shown]
	s_nop 1
	v_mov_b32_dpp v23, v5 row_bcast:15 row_mask:0xf bank_mask:0xf
	v_cndmask_b32_e64 v23, v23, 0, s[10:11]
	v_add_u32_e32 v5, v5, v23
	s_nop 1
	v_mov_b32_dpp v23, v5 row_bcast:31 row_mask:0xf bank_mask:0xf
	v_cndmask_b32_e64 v23, 0, v23, s[0:1]
	v_add_u32_e32 v5, v5, v23
	s_and_saveexec_b64 s[12:13], vcc
	s_cbranch_execz .LBB144_1
; %bb.33:                               ;   in Loop: Header=BB144_2 Depth=1
	ds_write_b32 v3, v5
	s_branch .LBB144_1
.LBB144_34:
	s_add_u32 s0, s18, s20
	s_waitcnt lgkmcnt(0)
	v_xor_b32_e32 v2, 0x80000000, v2
	v_xor_b32_e32 v1, 0x80000000, v1
	s_addc_u32 s1, s19, s21
	v_lshlrev_b32_e32 v0, 3, v0
	global_store_dwordx2 v0, v[1:2], s[0:1]
	s_endpgm
	.section	.rodata,"a",@progbits
	.p2align	6, 0x0
	.amdhsa_kernel _Z16sort_keys_kernelI22helper_blocked_blockedN15benchmark_utils11custom_typeIiiEELj64ELj1ELj10EEvPKT0_PS4_
		.amdhsa_group_segment_fixed_size 1040
		.amdhsa_private_segment_fixed_size 0
		.amdhsa_kernarg_size 272
		.amdhsa_user_sgpr_count 6
		.amdhsa_user_sgpr_private_segment_buffer 1
		.amdhsa_user_sgpr_dispatch_ptr 0
		.amdhsa_user_sgpr_queue_ptr 0
		.amdhsa_user_sgpr_kernarg_segment_ptr 1
		.amdhsa_user_sgpr_dispatch_id 0
		.amdhsa_user_sgpr_flat_scratch_init 0
		.amdhsa_user_sgpr_private_segment_size 0
		.amdhsa_uses_dynamic_stack 0
		.amdhsa_system_sgpr_private_segment_wavefront_offset 0
		.amdhsa_system_sgpr_workgroup_id_x 1
		.amdhsa_system_sgpr_workgroup_id_y 0
		.amdhsa_system_sgpr_workgroup_id_z 0
		.amdhsa_system_sgpr_workgroup_info 0
		.amdhsa_system_vgpr_workitem_id 2
		.amdhsa_next_free_vgpr 24
		.amdhsa_next_free_sgpr 26
		.amdhsa_reserve_vcc 1
		.amdhsa_reserve_flat_scratch 0
		.amdhsa_float_round_mode_32 0
		.amdhsa_float_round_mode_16_64 0
		.amdhsa_float_denorm_mode_32 3
		.amdhsa_float_denorm_mode_16_64 3
		.amdhsa_dx10_clamp 1
		.amdhsa_ieee_mode 1
		.amdhsa_fp16_overflow 0
		.amdhsa_exception_fp_ieee_invalid_op 0
		.amdhsa_exception_fp_denorm_src 0
		.amdhsa_exception_fp_ieee_div_zero 0
		.amdhsa_exception_fp_ieee_overflow 0
		.amdhsa_exception_fp_ieee_underflow 0
		.amdhsa_exception_fp_ieee_inexact 0
		.amdhsa_exception_int_div_zero 0
	.end_amdhsa_kernel
	.section	.text._Z16sort_keys_kernelI22helper_blocked_blockedN15benchmark_utils11custom_typeIiiEELj64ELj1ELj10EEvPKT0_PS4_,"axG",@progbits,_Z16sort_keys_kernelI22helper_blocked_blockedN15benchmark_utils11custom_typeIiiEELj64ELj1ELj10EEvPKT0_PS4_,comdat
.Lfunc_end144:
	.size	_Z16sort_keys_kernelI22helper_blocked_blockedN15benchmark_utils11custom_typeIiiEELj64ELj1ELj10EEvPKT0_PS4_, .Lfunc_end144-_Z16sort_keys_kernelI22helper_blocked_blockedN15benchmark_utils11custom_typeIiiEELj64ELj1ELj10EEvPKT0_PS4_
                                        ; -- End function
	.set _Z16sort_keys_kernelI22helper_blocked_blockedN15benchmark_utils11custom_typeIiiEELj64ELj1ELj10EEvPKT0_PS4_.num_vgpr, 24
	.set _Z16sort_keys_kernelI22helper_blocked_blockedN15benchmark_utils11custom_typeIiiEELj64ELj1ELj10EEvPKT0_PS4_.num_agpr, 0
	.set _Z16sort_keys_kernelI22helper_blocked_blockedN15benchmark_utils11custom_typeIiiEELj64ELj1ELj10EEvPKT0_PS4_.numbered_sgpr, 26
	.set _Z16sort_keys_kernelI22helper_blocked_blockedN15benchmark_utils11custom_typeIiiEELj64ELj1ELj10EEvPKT0_PS4_.num_named_barrier, 0
	.set _Z16sort_keys_kernelI22helper_blocked_blockedN15benchmark_utils11custom_typeIiiEELj64ELj1ELj10EEvPKT0_PS4_.private_seg_size, 0
	.set _Z16sort_keys_kernelI22helper_blocked_blockedN15benchmark_utils11custom_typeIiiEELj64ELj1ELj10EEvPKT0_PS4_.uses_vcc, 1
	.set _Z16sort_keys_kernelI22helper_blocked_blockedN15benchmark_utils11custom_typeIiiEELj64ELj1ELj10EEvPKT0_PS4_.uses_flat_scratch, 0
	.set _Z16sort_keys_kernelI22helper_blocked_blockedN15benchmark_utils11custom_typeIiiEELj64ELj1ELj10EEvPKT0_PS4_.has_dyn_sized_stack, 0
	.set _Z16sort_keys_kernelI22helper_blocked_blockedN15benchmark_utils11custom_typeIiiEELj64ELj1ELj10EEvPKT0_PS4_.has_recursion, 0
	.set _Z16sort_keys_kernelI22helper_blocked_blockedN15benchmark_utils11custom_typeIiiEELj64ELj1ELj10EEvPKT0_PS4_.has_indirect_call, 0
	.section	.AMDGPU.csdata,"",@progbits
; Kernel info:
; codeLenInByte = 6024
; TotalNumSgprs: 30
; NumVgprs: 24
; ScratchSize: 0
; MemoryBound: 0
; FloatMode: 240
; IeeeMode: 1
; LDSByteSize: 1040 bytes/workgroup (compile time only)
; SGPRBlocks: 3
; VGPRBlocks: 5
; NumSGPRsForWavesPerEU: 30
; NumVGPRsForWavesPerEU: 24
; Occupancy: 10
; WaveLimiterHint : 0
; COMPUTE_PGM_RSRC2:SCRATCH_EN: 0
; COMPUTE_PGM_RSRC2:USER_SGPR: 6
; COMPUTE_PGM_RSRC2:TRAP_HANDLER: 0
; COMPUTE_PGM_RSRC2:TGID_X_EN: 1
; COMPUTE_PGM_RSRC2:TGID_Y_EN: 0
; COMPUTE_PGM_RSRC2:TGID_Z_EN: 0
; COMPUTE_PGM_RSRC2:TIDIG_COMP_CNT: 2
	.section	.text._Z17sort_pairs_kernelI22helper_blocked_blockedN15benchmark_utils11custom_typeIiiEELj64ELj1ELj10EEvPKT0_PS4_,"axG",@progbits,_Z17sort_pairs_kernelI22helper_blocked_blockedN15benchmark_utils11custom_typeIiiEELj64ELj1ELj10EEvPKT0_PS4_,comdat
	.protected	_Z17sort_pairs_kernelI22helper_blocked_blockedN15benchmark_utils11custom_typeIiiEELj64ELj1ELj10EEvPKT0_PS4_ ; -- Begin function _Z17sort_pairs_kernelI22helper_blocked_blockedN15benchmark_utils11custom_typeIiiEELj64ELj1ELj10EEvPKT0_PS4_
	.globl	_Z17sort_pairs_kernelI22helper_blocked_blockedN15benchmark_utils11custom_typeIiiEELj64ELj1ELj10EEvPKT0_PS4_
	.p2align	8
	.type	_Z17sort_pairs_kernelI22helper_blocked_blockedN15benchmark_utils11custom_typeIiiEELj64ELj1ELj10EEvPKT0_PS4_,@function
_Z17sort_pairs_kernelI22helper_blocked_blockedN15benchmark_utils11custom_typeIiiEELj64ELj1ELj10EEvPKT0_PS4_: ; @_Z17sort_pairs_kernelI22helper_blocked_blockedN15benchmark_utils11custom_typeIiiEELj64ELj1ELj10EEvPKT0_PS4_
; %bb.0:
	s_load_dwordx4 s[16:19], s[4:5], 0x0
	s_load_dword s24, s[4:5], 0x1c
	s_lshl_b32 s0, s6, 6
	s_mov_b32 s1, 0
	s_lshl_b64 s[20:21], s[0:1], 3
	s_waitcnt lgkmcnt(0)
	s_add_u32 s0, s16, s20
	s_addc_u32 s1, s17, s21
	v_lshlrev_b32_e32 v4, 3, v0
	global_load_dwordx2 v[5:6], v4, s[0:1]
	v_mbcnt_lo_u32_b32 v7, -1, 0
	v_mbcnt_hi_u32_b32 v7, -1, v7
	s_lshr_b32 s25, s24, 16
	v_subrev_co_u32_e64 v10, s[14:15], 1, v7
	v_and_b32_e32 v20, 64, v7
	s_and_b32 s24, s24, 0xffff
	v_mad_u32_u24 v1, v2, s25, v1
	v_cmp_lt_i32_e64 s[16:17], v10, v20
	v_mad_u32_u24 v1, v1, s24, v0
	v_lshlrev_b32_e32 v18, 4, v0
	v_cmp_eq_u32_e64 s[12:13], 0, v0
	v_and_b32_e32 v8, 15, v7
	v_and_b32_e32 v9, 16, v7
	v_cmp_lt_u32_e64 s[0:1], 31, v7
	v_lshlrev_b32_e32 v19, 3, v7
	v_sub_u32_e32 v4, 0, v4
	v_cndmask_b32_e64 v7, v10, v7, s[16:17]
	v_lshrrev_b32_e32 v1, 4, v1
	v_mov_b32_e32 v3, 0
	s_mov_b32 s22, 10
	s_movk_i32 s23, 0xff
	v_mov_b32_e32 v11, 1
	v_mov_b32_e32 v12, 30
	;; [unrolled: 1-line block ×7, first 2 shown]
	v_cmp_eq_u32_e32 vcc, 63, v0
	v_cmp_eq_u32_e64 s[2:3], 0, v8
	v_cmp_lt_u32_e64 s[4:5], 1, v8
	v_cmp_lt_u32_e64 s[6:7], 3, v8
	;; [unrolled: 1-line block ×3, first 2 shown]
	v_cmp_eq_u32_e64 s[10:11], 0, v9
	v_add_u32_e32 v20, v18, v4
	v_lshlrev_b32_e32 v21, 2, v7
	s_or_b64 s[16:17], s[12:13], s[14:15]
	v_and_b32_e32 v22, 0xffffffc, v1
	v_mov_b32_e32 v23, 24
	s_waitcnt vmcnt(0)
	v_add_u32_e32 v2, 1, v6
	v_add_u32_e32 v1, 1, v5
	v_xor_b32_e32 v5, 0x80000000, v5
	v_xor_b32_e32 v6, 0x80000000, v6
	s_branch .LBB145_2
.LBB145_1:                              ;   in Loop: Header=BB145_2 Depth=1
	s_or_b64 exec, exec, s[12:13]
	ds_bpermute_b32 v8, v21, v8
	s_waitcnt lgkmcnt(0)
	; wave barrier
	v_lshlrev_b32_e32 v4, 3, v4
	s_add_i32 s22, s22, -1
	v_cndmask_b32_e64 v8, v8, 0, s[16:17]
	v_add_u32_e32 v9, v8, v9
	v_add_u32_e32 v10, v9, v10
	;; [unrolled: 1-line block ×3, first 2 shown]
	ds_write2_b32 v18, v8, v9 offset0:1 offset1:2
	ds_write2_b32 v18, v10, v7 offset0:3 offset1:4
	s_waitcnt lgkmcnt(0)
	; wave barrier
	ds_read_b32 v7, v24 offset:4
	s_waitcnt lgkmcnt(0)
	; wave barrier
	s_cmp_eq_u32 s22, 0
	v_lshl_add_u32 v4, v7, 3, v4
	ds_write_b64 v4, v[5:6]
	s_waitcnt lgkmcnt(0)
	; wave barrier
	ds_read_b64 v[5:6], v20
	s_waitcnt lgkmcnt(0)
	; wave barrier
	ds_write_b64 v4, v[1:2]
	s_waitcnt lgkmcnt(0)
	; wave barrier
	ds_read_b64 v[1:2], v20
	s_cbranch_scc1 .LBB145_34
.LBB145_2:                              ; =>This Inner Loop Header: Depth=1
	v_and_b32_e32 v4, 0xff, v6
	v_lshl_add_u32 v24, v4, 2, v22
	v_and_b32_e32 v4, 1, v6
	v_add_co_u32_e64 v7, s[12:13], -1, v4
	v_addc_co_u32_e64 v8, s[12:13], 0, -1, s[12:13]
	v_cmp_ne_u32_e64 s[12:13], 0, v4
	v_xor_b32_e32 v4, s13, v8
	v_and_b32_e32 v8, exec_hi, v4
	v_lshlrev_b32_e32 v4, 30, v6
	v_xor_b32_e32 v7, s12, v7
	v_cmp_gt_i64_e64 s[12:13], 0, v[3:4]
	v_not_b32_e32 v4, v4
	v_ashrrev_i32_e32 v4, 31, v4
	v_and_b32_e32 v7, exec_lo, v7
	v_xor_b32_e32 v9, s13, v4
	v_xor_b32_e32 v4, s12, v4
	v_and_b32_e32 v7, v7, v4
	v_lshlrev_b32_e32 v4, 29, v6
	v_cmp_gt_i64_e64 s[12:13], 0, v[3:4]
	v_not_b32_e32 v4, v4
	v_ashrrev_i32_e32 v4, 31, v4
	v_and_b32_e32 v8, v8, v9
	v_xor_b32_e32 v9, s13, v4
	v_xor_b32_e32 v4, s12, v4
	v_and_b32_e32 v7, v7, v4
	v_lshlrev_b32_e32 v4, 28, v6
	v_cmp_gt_i64_e64 s[12:13], 0, v[3:4]
	v_not_b32_e32 v4, v4
	v_ashrrev_i32_e32 v4, 31, v4
	v_and_b32_e32 v8, v8, v9
	;; [unrolled: 8-line block ×6, first 2 shown]
	v_xor_b32_e32 v9, s13, v4
	v_xor_b32_e32 v4, s12, v4
	v_and_b32_e32 v7, v7, v4
	v_and_b32_e32 v8, v8, v9
	v_mbcnt_lo_u32_b32 v4, v7, 0
	v_mbcnt_hi_u32_b32 v4, v8, v4
	v_cmp_ne_u64_e64 s[12:13], 0, v[7:8]
	v_cmp_eq_u32_e64 s[14:15], 0, v4
	s_and_b64 s[14:15], s[14:15], s[12:13]
	ds_write2_b32 v18, v3, v3 offset0:1 offset1:2
	ds_write2_b32 v18, v3, v3 offset0:3 offset1:4
	s_waitcnt lgkmcnt(0)
	; wave barrier
	; wave barrier
	s_and_saveexec_b64 s[12:13], s[14:15]
; %bb.3:                                ;   in Loop: Header=BB145_2 Depth=1
	v_bcnt_u32_b32 v7, v7, 0
	v_bcnt_u32_b32 v7, v8, v7
	ds_write_b32 v24, v7 offset:4
; %bb.4:                                ;   in Loop: Header=BB145_2 Depth=1
	s_or_b64 exec, exec, s[12:13]
	; wave barrier
	s_waitcnt lgkmcnt(0)
	; wave barrier
	ds_read2_b32 v[9:10], v18 offset0:1 offset1:2
	ds_read2_b32 v[7:8], v18 offset0:3 offset1:4
	s_waitcnt lgkmcnt(1)
	v_add_u32_e32 v25, v10, v9
	s_waitcnt lgkmcnt(0)
	v_add3_u32 v8, v25, v7, v8
	s_nop 1
	v_mov_b32_dpp v25, v8 row_shr:1 row_mask:0xf bank_mask:0xf
	v_cndmask_b32_e64 v25, v25, 0, s[2:3]
	v_add_u32_e32 v8, v25, v8
	s_nop 1
	v_mov_b32_dpp v25, v8 row_shr:2 row_mask:0xf bank_mask:0xf
	v_cndmask_b32_e64 v25, 0, v25, s[4:5]
	v_add_u32_e32 v8, v8, v25
	;; [unrolled: 4-line block ×4, first 2 shown]
	s_nop 1
	v_mov_b32_dpp v25, v8 row_bcast:15 row_mask:0xf bank_mask:0xf
	v_cndmask_b32_e64 v25, v25, 0, s[10:11]
	v_add_u32_e32 v8, v8, v25
	s_nop 1
	v_mov_b32_dpp v25, v8 row_bcast:31 row_mask:0xf bank_mask:0xf
	v_cndmask_b32_e64 v25, 0, v25, s[0:1]
	v_add_u32_e32 v8, v8, v25
	s_and_saveexec_b64 s[12:13], vcc
; %bb.5:                                ;   in Loop: Header=BB145_2 Depth=1
	ds_write_b32 v3, v8
; %bb.6:                                ;   in Loop: Header=BB145_2 Depth=1
	s_or_b64 exec, exec, s[12:13]
	ds_bpermute_b32 v8, v21, v8
	s_waitcnt lgkmcnt(0)
	; wave barrier
	v_lshlrev_b32_e32 v4, 3, v4
	v_cndmask_b32_e64 v8, v8, 0, s[16:17]
	v_add_u32_e32 v9, v8, v9
	v_add_u32_e32 v10, v9, v10
	;; [unrolled: 1-line block ×3, first 2 shown]
	ds_write2_b32 v18, v8, v9 offset0:1 offset1:2
	ds_write2_b32 v18, v10, v7 offset0:3 offset1:4
	s_waitcnt lgkmcnt(0)
	; wave barrier
	ds_read_b32 v7, v24 offset:4
	s_waitcnt lgkmcnt(0)
	; wave barrier
	v_lshl_add_u32 v4, v7, 3, v4
	ds_write_b64 v4, v[5:6]
	s_waitcnt lgkmcnt(0)
	; wave barrier
	ds_read_b64 v[5:6], v19
	s_waitcnt lgkmcnt(0)
	; wave barrier
	ds_write_b64 v4, v[1:2]
	s_waitcnt lgkmcnt(0)
	v_lshrrev_b32_e32 v7, 8, v6
	v_and_b32_e32 v4, 0xff, v7
	v_lshl_add_u32 v24, v4, 2, v22
	v_and_b32_e32 v4, 1, v7
	v_add_co_u32_e64 v8, s[12:13], -1, v4
	v_addc_co_u32_e64 v9, s[12:13], 0, -1, s[12:13]
	v_cmp_ne_u32_e64 s[12:13], 0, v4
	v_xor_b32_e32 v4, s13, v9
	v_and_b32_e32 v9, exec_hi, v4
	v_lshlrev_b32_e32 v4, 30, v7
	v_xor_b32_e32 v8, s12, v8
	v_cmp_gt_i64_e64 s[12:13], 0, v[3:4]
	v_not_b32_e32 v4, v4
	v_ashrrev_i32_e32 v4, 31, v4
	v_and_b32_e32 v8, exec_lo, v8
	v_xor_b32_e32 v10, s13, v4
	v_xor_b32_e32 v4, s12, v4
	v_and_b32_e32 v8, v8, v4
	v_lshlrev_b32_e32 v4, 29, v7
	v_cmp_gt_i64_e64 s[12:13], 0, v[3:4]
	v_not_b32_e32 v4, v4
	v_ashrrev_i32_e32 v4, 31, v4
	v_and_b32_e32 v9, v9, v10
	v_xor_b32_e32 v10, s13, v4
	v_xor_b32_e32 v4, s12, v4
	v_and_b32_e32 v8, v8, v4
	v_lshlrev_b32_e32 v4, 28, v7
	v_cmp_gt_i64_e64 s[12:13], 0, v[3:4]
	v_not_b32_e32 v4, v4
	v_ashrrev_i32_e32 v4, 31, v4
	v_and_b32_e32 v9, v9, v10
	;; [unrolled: 8-line block ×5, first 2 shown]
	v_xor_b32_e32 v10, s13, v4
	v_xor_b32_e32 v4, s12, v4
	v_and_b32_e32 v9, v9, v10
	v_and_b32_e32 v10, v8, v4
	v_lshlrev_b32_e32 v4, 24, v7
	v_cmp_gt_i64_e64 s[12:13], 0, v[3:4]
	v_not_b32_e32 v4, v4
	v_ashrrev_i32_e32 v4, 31, v4
	v_xor_b32_e32 v7, s13, v4
	v_xor_b32_e32 v4, s12, v4
	; wave barrier
	ds_read_b64 v[1:2], v19
	v_and_b32_e32 v8, v9, v7
	v_and_b32_e32 v7, v10, v4
	v_mbcnt_lo_u32_b32 v4, v7, 0
	v_mbcnt_hi_u32_b32 v4, v8, v4
	v_cmp_ne_u64_e64 s[12:13], 0, v[7:8]
	v_cmp_eq_u32_e64 s[14:15], 0, v4
	s_and_b64 s[14:15], s[14:15], s[12:13]
	s_waitcnt lgkmcnt(0)
	; wave barrier
	ds_write2_b32 v18, v3, v3 offset0:1 offset1:2
	ds_write2_b32 v18, v3, v3 offset0:3 offset1:4
	s_waitcnt lgkmcnt(0)
	; wave barrier
	; wave barrier
	s_and_saveexec_b64 s[12:13], s[14:15]
; %bb.7:                                ;   in Loop: Header=BB145_2 Depth=1
	v_bcnt_u32_b32 v7, v7, 0
	v_bcnt_u32_b32 v7, v8, v7
	ds_write_b32 v24, v7 offset:4
; %bb.8:                                ;   in Loop: Header=BB145_2 Depth=1
	s_or_b64 exec, exec, s[12:13]
	; wave barrier
	s_waitcnt lgkmcnt(0)
	; wave barrier
	ds_read2_b32 v[9:10], v18 offset0:1 offset1:2
	ds_read2_b32 v[7:8], v18 offset0:3 offset1:4
	s_waitcnt lgkmcnt(1)
	v_add_u32_e32 v25, v10, v9
	s_waitcnt lgkmcnt(0)
	v_add3_u32 v8, v25, v7, v8
	s_nop 1
	v_mov_b32_dpp v25, v8 row_shr:1 row_mask:0xf bank_mask:0xf
	v_cndmask_b32_e64 v25, v25, 0, s[2:3]
	v_add_u32_e32 v8, v25, v8
	s_nop 1
	v_mov_b32_dpp v25, v8 row_shr:2 row_mask:0xf bank_mask:0xf
	v_cndmask_b32_e64 v25, 0, v25, s[4:5]
	v_add_u32_e32 v8, v8, v25
	;; [unrolled: 4-line block ×4, first 2 shown]
	s_nop 1
	v_mov_b32_dpp v25, v8 row_bcast:15 row_mask:0xf bank_mask:0xf
	v_cndmask_b32_e64 v25, v25, 0, s[10:11]
	v_add_u32_e32 v8, v8, v25
	s_nop 1
	v_mov_b32_dpp v25, v8 row_bcast:31 row_mask:0xf bank_mask:0xf
	v_cndmask_b32_e64 v25, 0, v25, s[0:1]
	v_add_u32_e32 v8, v8, v25
	s_and_saveexec_b64 s[12:13], vcc
; %bb.9:                                ;   in Loop: Header=BB145_2 Depth=1
	ds_write_b32 v3, v8
; %bb.10:                               ;   in Loop: Header=BB145_2 Depth=1
	s_or_b64 exec, exec, s[12:13]
	ds_bpermute_b32 v8, v21, v8
	s_waitcnt lgkmcnt(0)
	; wave barrier
	v_lshlrev_b32_e32 v4, 3, v4
	v_cndmask_b32_e64 v8, v8, 0, s[16:17]
	v_add_u32_e32 v9, v8, v9
	v_add_u32_e32 v10, v9, v10
	;; [unrolled: 1-line block ×3, first 2 shown]
	ds_write2_b32 v18, v8, v9 offset0:1 offset1:2
	ds_write2_b32 v18, v10, v7 offset0:3 offset1:4
	s_waitcnt lgkmcnt(0)
	; wave barrier
	ds_read_b32 v7, v24 offset:4
	s_waitcnt lgkmcnt(0)
	; wave barrier
	v_lshl_add_u32 v4, v7, 3, v4
	ds_write_b64 v4, v[5:6]
	s_waitcnt lgkmcnt(0)
	; wave barrier
	ds_read_b64 v[7:8], v19
	s_waitcnt lgkmcnt(0)
	; wave barrier
	ds_write_b64 v4, v[1:2]
	s_waitcnt lgkmcnt(0)
	v_and_b32_sdwa v1, v8, s23 dst_sel:DWORD dst_unused:UNUSED_PAD src0_sel:WORD_1 src1_sel:DWORD
	v_lshl_add_u32 v24, v1, 2, v22
	v_and_b32_sdwa v1, v8, v11 dst_sel:DWORD dst_unused:UNUSED_PAD src0_sel:WORD_1 src1_sel:DWORD
	v_add_co_u32_e64 v2, s[12:13], -1, v1
	v_addc_co_u32_e64 v4, s[12:13], 0, -1, s[12:13]
	v_cmp_ne_u32_e64 s[12:13], 0, v1
	v_xor_b32_e32 v1, s13, v4
	v_lshlrev_b32_sdwa v4, v12, v8 dst_sel:DWORD dst_unused:UNUSED_PAD src0_sel:DWORD src1_sel:WORD_1
	v_xor_b32_e32 v2, s12, v2
	v_cmp_gt_i64_e64 s[12:13], 0, v[3:4]
	v_not_b32_e32 v4, v4
	v_ashrrev_i32_e32 v4, 31, v4
	v_and_b32_e32 v2, exec_lo, v2
	v_xor_b32_e32 v9, s13, v4
	v_xor_b32_e32 v4, s12, v4
	v_and_b32_e32 v2, v2, v4
	v_lshlrev_b32_sdwa v4, v13, v8 dst_sel:DWORD dst_unused:UNUSED_PAD src0_sel:DWORD src1_sel:WORD_1
	v_cmp_gt_i64_e64 s[12:13], 0, v[3:4]
	v_not_b32_e32 v4, v4
	v_and_b32_e32 v1, exec_hi, v1
	v_ashrrev_i32_e32 v4, 31, v4
	v_and_b32_e32 v1, v1, v9
	v_xor_b32_e32 v9, s13, v4
	v_xor_b32_e32 v4, s12, v4
	v_and_b32_e32 v2, v2, v4
	v_lshlrev_b32_sdwa v4, v14, v8 dst_sel:DWORD dst_unused:UNUSED_PAD src0_sel:DWORD src1_sel:WORD_1
	v_cmp_gt_i64_e64 s[12:13], 0, v[3:4]
	v_not_b32_e32 v4, v4
	v_ashrrev_i32_e32 v4, 31, v4
	v_and_b32_e32 v1, v1, v9
	v_xor_b32_e32 v9, s13, v4
	v_xor_b32_e32 v4, s12, v4
	v_and_b32_e32 v2, v2, v4
	v_lshlrev_b32_sdwa v4, v15, v8 dst_sel:DWORD dst_unused:UNUSED_PAD src0_sel:DWORD src1_sel:WORD_1
	v_cmp_gt_i64_e64 s[12:13], 0, v[3:4]
	v_not_b32_e32 v4, v4
	;; [unrolled: 8-line block ×4, first 2 shown]
	v_ashrrev_i32_e32 v4, 31, v4
	v_and_b32_e32 v1, v1, v9
	v_xor_b32_e32 v9, s13, v4
	v_xor_b32_e32 v4, s12, v4
	v_and_b32_e32 v1, v1, v9
	v_and_b32_e32 v9, v2, v4
	v_lshlrev_b32_sdwa v4, v23, v8 dst_sel:DWORD dst_unused:UNUSED_PAD src0_sel:DWORD src1_sel:WORD_1
	v_cmp_gt_i64_e64 s[12:13], 0, v[3:4]
	v_not_b32_e32 v2, v4
	v_ashrrev_i32_e32 v2, 31, v2
	v_xor_b32_e32 v4, s13, v2
	v_xor_b32_e32 v10, s12, v2
	; wave barrier
	ds_read_b64 v[5:6], v19
	v_and_b32_e32 v2, v1, v4
	v_and_b32_e32 v1, v9, v10
	v_mbcnt_lo_u32_b32 v4, v1, 0
	v_mbcnt_hi_u32_b32 v4, v2, v4
	v_cmp_ne_u64_e64 s[12:13], 0, v[1:2]
	v_cmp_eq_u32_e64 s[14:15], 0, v4
	s_and_b64 s[14:15], s[14:15], s[12:13]
	s_waitcnt lgkmcnt(0)
	; wave barrier
	ds_write2_b32 v18, v3, v3 offset0:1 offset1:2
	ds_write2_b32 v18, v3, v3 offset0:3 offset1:4
	s_waitcnt lgkmcnt(0)
	; wave barrier
	; wave barrier
	s_and_saveexec_b64 s[12:13], s[14:15]
; %bb.11:                               ;   in Loop: Header=BB145_2 Depth=1
	v_bcnt_u32_b32 v1, v1, 0
	v_bcnt_u32_b32 v1, v2, v1
	ds_write_b32 v24, v1 offset:4
; %bb.12:                               ;   in Loop: Header=BB145_2 Depth=1
	s_or_b64 exec, exec, s[12:13]
	; wave barrier
	s_waitcnt lgkmcnt(0)
	; wave barrier
	ds_read2_b32 v[9:10], v18 offset0:1 offset1:2
	ds_read2_b32 v[1:2], v18 offset0:3 offset1:4
	s_waitcnt lgkmcnt(1)
	v_add_u32_e32 v25, v10, v9
	s_waitcnt lgkmcnt(0)
	v_add3_u32 v2, v25, v1, v2
	s_nop 1
	v_mov_b32_dpp v25, v2 row_shr:1 row_mask:0xf bank_mask:0xf
	v_cndmask_b32_e64 v25, v25, 0, s[2:3]
	v_add_u32_e32 v2, v25, v2
	s_nop 1
	v_mov_b32_dpp v25, v2 row_shr:2 row_mask:0xf bank_mask:0xf
	v_cndmask_b32_e64 v25, 0, v25, s[4:5]
	v_add_u32_e32 v2, v2, v25
	;; [unrolled: 4-line block ×4, first 2 shown]
	s_nop 1
	v_mov_b32_dpp v25, v2 row_bcast:15 row_mask:0xf bank_mask:0xf
	v_cndmask_b32_e64 v25, v25, 0, s[10:11]
	v_add_u32_e32 v2, v2, v25
	s_nop 1
	v_mov_b32_dpp v25, v2 row_bcast:31 row_mask:0xf bank_mask:0xf
	v_cndmask_b32_e64 v25, 0, v25, s[0:1]
	v_add_u32_e32 v2, v2, v25
	s_and_saveexec_b64 s[12:13], vcc
; %bb.13:                               ;   in Loop: Header=BB145_2 Depth=1
	ds_write_b32 v3, v2
; %bb.14:                               ;   in Loop: Header=BB145_2 Depth=1
	s_or_b64 exec, exec, s[12:13]
	ds_bpermute_b32 v2, v21, v2
	s_waitcnt lgkmcnt(0)
	; wave barrier
	v_cndmask_b32_e64 v2, v2, 0, s[16:17]
	v_add_u32_e32 v9, v2, v9
	v_add_u32_e32 v10, v9, v10
	;; [unrolled: 1-line block ×3, first 2 shown]
	ds_write2_b32 v18, v2, v9 offset0:1 offset1:2
	ds_write2_b32 v18, v10, v1 offset0:3 offset1:4
	s_waitcnt lgkmcnt(0)
	; wave barrier
	ds_read_b32 v1, v24 offset:4
	v_lshlrev_b32_e32 v2, 3, v4
	s_waitcnt lgkmcnt(0)
	; wave barrier
	v_lshl_add_u32 v4, v1, 3, v2
	ds_write_b64 v4, v[7:8]
	s_waitcnt lgkmcnt(0)
	; wave barrier
	ds_read_b64 v[1:2], v19
	s_waitcnt lgkmcnt(0)
	; wave barrier
	ds_write_b64 v4, v[5:6]
	s_waitcnt lgkmcnt(0)
	v_lshrrev_b32_e32 v7, 24, v2
	v_and_b32_e32 v4, 1, v7
	v_add_co_u32_e64 v8, s[12:13], -1, v4
	v_addc_co_u32_e64 v9, s[12:13], 0, -1, s[12:13]
	v_cmp_ne_u32_e64 s[12:13], 0, v4
	v_xor_b32_e32 v4, s13, v9
	v_and_b32_e32 v9, exec_hi, v4
	v_lshlrev_b32_e32 v4, 30, v7
	v_xor_b32_e32 v8, s12, v8
	v_cmp_gt_i64_e64 s[12:13], 0, v[3:4]
	v_not_b32_e32 v4, v4
	v_ashrrev_i32_e32 v4, 31, v4
	v_and_b32_e32 v8, exec_lo, v8
	v_xor_b32_e32 v10, s13, v4
	v_xor_b32_e32 v4, s12, v4
	v_and_b32_e32 v8, v8, v4
	v_lshlrev_b32_e32 v4, 29, v7
	v_cmp_gt_i64_e64 s[12:13], 0, v[3:4]
	v_not_b32_e32 v4, v4
	v_ashrrev_i32_e32 v4, 31, v4
	v_and_b32_e32 v9, v9, v10
	v_xor_b32_e32 v10, s13, v4
	v_xor_b32_e32 v4, s12, v4
	v_and_b32_e32 v8, v8, v4
	v_lshlrev_b32_e32 v4, 28, v7
	v_cmp_gt_i64_e64 s[12:13], 0, v[3:4]
	v_not_b32_e32 v4, v4
	v_ashrrev_i32_e32 v4, 31, v4
	v_and_b32_e32 v9, v9, v10
	;; [unrolled: 8-line block ×5, first 2 shown]
	v_xor_b32_e32 v10, s13, v4
	v_xor_b32_e32 v4, s12, v4
	v_and_b32_e32 v9, v9, v10
	v_and_b32_e32 v10, v8, v4
	v_lshlrev_b32_e32 v4, 24, v7
	v_cmp_gt_i64_e64 s[12:13], 0, v[3:4]
	v_not_b32_e32 v4, v4
	v_ashrrev_i32_e32 v4, 31, v4
	v_lshl_add_u32 v24, v7, 2, v22
	v_xor_b32_e32 v7, s13, v4
	v_xor_b32_e32 v4, s12, v4
	; wave barrier
	ds_read_b64 v[5:6], v19
	v_and_b32_e32 v8, v9, v7
	v_and_b32_e32 v7, v10, v4
	v_mbcnt_lo_u32_b32 v4, v7, 0
	v_mbcnt_hi_u32_b32 v4, v8, v4
	v_cmp_ne_u64_e64 s[12:13], 0, v[7:8]
	v_cmp_eq_u32_e64 s[14:15], 0, v4
	s_and_b64 s[14:15], s[14:15], s[12:13]
	s_waitcnt lgkmcnt(0)
	; wave barrier
	ds_write2_b32 v18, v3, v3 offset0:1 offset1:2
	ds_write2_b32 v18, v3, v3 offset0:3 offset1:4
	s_waitcnt lgkmcnt(0)
	; wave barrier
	; wave barrier
	s_and_saveexec_b64 s[12:13], s[14:15]
; %bb.15:                               ;   in Loop: Header=BB145_2 Depth=1
	v_bcnt_u32_b32 v7, v7, 0
	v_bcnt_u32_b32 v7, v8, v7
	ds_write_b32 v24, v7 offset:4
; %bb.16:                               ;   in Loop: Header=BB145_2 Depth=1
	s_or_b64 exec, exec, s[12:13]
	; wave barrier
	s_waitcnt lgkmcnt(0)
	; wave barrier
	ds_read2_b32 v[9:10], v18 offset0:1 offset1:2
	ds_read2_b32 v[7:8], v18 offset0:3 offset1:4
	s_waitcnt lgkmcnt(1)
	v_add_u32_e32 v25, v10, v9
	s_waitcnt lgkmcnt(0)
	v_add3_u32 v8, v25, v7, v8
	s_nop 1
	v_mov_b32_dpp v25, v8 row_shr:1 row_mask:0xf bank_mask:0xf
	v_cndmask_b32_e64 v25, v25, 0, s[2:3]
	v_add_u32_e32 v8, v25, v8
	s_nop 1
	v_mov_b32_dpp v25, v8 row_shr:2 row_mask:0xf bank_mask:0xf
	v_cndmask_b32_e64 v25, 0, v25, s[4:5]
	v_add_u32_e32 v8, v8, v25
	;; [unrolled: 4-line block ×4, first 2 shown]
	s_nop 1
	v_mov_b32_dpp v25, v8 row_bcast:15 row_mask:0xf bank_mask:0xf
	v_cndmask_b32_e64 v25, v25, 0, s[10:11]
	v_add_u32_e32 v8, v8, v25
	s_nop 1
	v_mov_b32_dpp v25, v8 row_bcast:31 row_mask:0xf bank_mask:0xf
	v_cndmask_b32_e64 v25, 0, v25, s[0:1]
	v_add_u32_e32 v8, v8, v25
	s_and_saveexec_b64 s[12:13], vcc
; %bb.17:                               ;   in Loop: Header=BB145_2 Depth=1
	ds_write_b32 v3, v8
; %bb.18:                               ;   in Loop: Header=BB145_2 Depth=1
	s_or_b64 exec, exec, s[12:13]
	ds_bpermute_b32 v8, v21, v8
	s_waitcnt lgkmcnt(0)
	; wave barrier
	v_lshlrev_b32_e32 v4, 3, v4
	v_cndmask_b32_e64 v8, v8, 0, s[16:17]
	v_add_u32_e32 v9, v8, v9
	v_add_u32_e32 v10, v9, v10
	;; [unrolled: 1-line block ×3, first 2 shown]
	ds_write2_b32 v18, v8, v9 offset0:1 offset1:2
	ds_write2_b32 v18, v10, v7 offset0:3 offset1:4
	s_waitcnt lgkmcnt(0)
	; wave barrier
	ds_read_b32 v7, v24 offset:4
	s_waitcnt lgkmcnt(0)
	; wave barrier
	v_lshl_add_u32 v4, v7, 3, v4
	ds_write_b64 v4, v[1:2]
	s_waitcnt lgkmcnt(0)
	; wave barrier
	ds_read_b64 v[1:2], v19
	s_waitcnt lgkmcnt(0)
	; wave barrier
	ds_write_b64 v4, v[5:6]
	s_waitcnt lgkmcnt(0)
	v_and_b32_e32 v4, 0xff, v1
	v_lshl_add_u32 v24, v4, 2, v22
	v_and_b32_e32 v4, 1, v1
	v_add_co_u32_e64 v7, s[12:13], -1, v4
	v_addc_co_u32_e64 v8, s[12:13], 0, -1, s[12:13]
	v_cmp_ne_u32_e64 s[12:13], 0, v4
	v_xor_b32_e32 v4, s13, v8
	v_and_b32_e32 v8, exec_hi, v4
	v_lshlrev_b32_e32 v4, 30, v1
	v_xor_b32_e32 v7, s12, v7
	v_cmp_gt_i64_e64 s[12:13], 0, v[3:4]
	v_not_b32_e32 v4, v4
	v_ashrrev_i32_e32 v4, 31, v4
	v_and_b32_e32 v7, exec_lo, v7
	v_xor_b32_e32 v9, s13, v4
	v_xor_b32_e32 v4, s12, v4
	v_and_b32_e32 v7, v7, v4
	v_lshlrev_b32_e32 v4, 29, v1
	v_cmp_gt_i64_e64 s[12:13], 0, v[3:4]
	v_not_b32_e32 v4, v4
	v_ashrrev_i32_e32 v4, 31, v4
	v_and_b32_e32 v8, v8, v9
	v_xor_b32_e32 v9, s13, v4
	v_xor_b32_e32 v4, s12, v4
	v_and_b32_e32 v7, v7, v4
	v_lshlrev_b32_e32 v4, 28, v1
	v_cmp_gt_i64_e64 s[12:13], 0, v[3:4]
	v_not_b32_e32 v4, v4
	v_ashrrev_i32_e32 v4, 31, v4
	v_and_b32_e32 v8, v8, v9
	;; [unrolled: 8-line block ×6, first 2 shown]
	v_xor_b32_e32 v9, s13, v4
	v_xor_b32_e32 v4, s12, v4
	; wave barrier
	ds_read_b64 v[5:6], v19
	v_and_b32_e32 v7, v7, v4
	v_and_b32_e32 v8, v8, v9
	v_mbcnt_lo_u32_b32 v4, v7, 0
	v_mbcnt_hi_u32_b32 v4, v8, v4
	v_cmp_ne_u64_e64 s[12:13], 0, v[7:8]
	v_cmp_eq_u32_e64 s[14:15], 0, v4
	s_and_b64 s[14:15], s[14:15], s[12:13]
	s_waitcnt lgkmcnt(0)
	; wave barrier
	ds_write2_b32 v18, v3, v3 offset0:1 offset1:2
	ds_write2_b32 v18, v3, v3 offset0:3 offset1:4
	s_waitcnt lgkmcnt(0)
	; wave barrier
	; wave barrier
	s_and_saveexec_b64 s[12:13], s[14:15]
; %bb.19:                               ;   in Loop: Header=BB145_2 Depth=1
	v_bcnt_u32_b32 v7, v7, 0
	v_bcnt_u32_b32 v7, v8, v7
	ds_write_b32 v24, v7 offset:4
; %bb.20:                               ;   in Loop: Header=BB145_2 Depth=1
	s_or_b64 exec, exec, s[12:13]
	; wave barrier
	s_waitcnt lgkmcnt(0)
	; wave barrier
	ds_read2_b32 v[9:10], v18 offset0:1 offset1:2
	ds_read2_b32 v[7:8], v18 offset0:3 offset1:4
	s_waitcnt lgkmcnt(1)
	v_add_u32_e32 v25, v10, v9
	s_waitcnt lgkmcnt(0)
	v_add3_u32 v8, v25, v7, v8
	s_nop 1
	v_mov_b32_dpp v25, v8 row_shr:1 row_mask:0xf bank_mask:0xf
	v_cndmask_b32_e64 v25, v25, 0, s[2:3]
	v_add_u32_e32 v8, v25, v8
	s_nop 1
	v_mov_b32_dpp v25, v8 row_shr:2 row_mask:0xf bank_mask:0xf
	v_cndmask_b32_e64 v25, 0, v25, s[4:5]
	v_add_u32_e32 v8, v8, v25
	s_nop 1
	v_mov_b32_dpp v25, v8 row_shr:4 row_mask:0xf bank_mask:0xf
	v_cndmask_b32_e64 v25, 0, v25, s[6:7]
	v_add_u32_e32 v8, v8, v25
	s_nop 1
	v_mov_b32_dpp v25, v8 row_shr:8 row_mask:0xf bank_mask:0xf
	v_cndmask_b32_e64 v25, 0, v25, s[8:9]
	v_add_u32_e32 v8, v8, v25
	s_nop 1
	v_mov_b32_dpp v25, v8 row_bcast:15 row_mask:0xf bank_mask:0xf
	v_cndmask_b32_e64 v25, v25, 0, s[10:11]
	v_add_u32_e32 v8, v8, v25
	s_nop 1
	v_mov_b32_dpp v25, v8 row_bcast:31 row_mask:0xf bank_mask:0xf
	v_cndmask_b32_e64 v25, 0, v25, s[0:1]
	v_add_u32_e32 v8, v8, v25
	s_and_saveexec_b64 s[12:13], vcc
; %bb.21:                               ;   in Loop: Header=BB145_2 Depth=1
	ds_write_b32 v3, v8
; %bb.22:                               ;   in Loop: Header=BB145_2 Depth=1
	s_or_b64 exec, exec, s[12:13]
	ds_bpermute_b32 v8, v21, v8
	s_waitcnt lgkmcnt(0)
	; wave barrier
	v_lshlrev_b32_e32 v4, 3, v4
	v_cndmask_b32_e64 v8, v8, 0, s[16:17]
	v_add_u32_e32 v9, v8, v9
	v_add_u32_e32 v10, v9, v10
	;; [unrolled: 1-line block ×3, first 2 shown]
	ds_write2_b32 v18, v8, v9 offset0:1 offset1:2
	ds_write2_b32 v18, v10, v7 offset0:3 offset1:4
	s_waitcnt lgkmcnt(0)
	; wave barrier
	ds_read_b32 v7, v24 offset:4
	s_waitcnt lgkmcnt(0)
	; wave barrier
	v_lshl_add_u32 v4, v7, 3, v4
	ds_write_b64 v4, v[1:2]
	s_waitcnt lgkmcnt(0)
	; wave barrier
	ds_read_b64 v[1:2], v19
	s_waitcnt lgkmcnt(0)
	; wave barrier
	ds_write_b64 v4, v[5:6]
	s_waitcnt lgkmcnt(0)
	v_lshrrev_b32_e32 v7, 8, v1
	v_and_b32_e32 v4, 0xff, v7
	v_lshl_add_u32 v24, v4, 2, v22
	v_and_b32_e32 v4, 1, v7
	v_add_co_u32_e64 v8, s[12:13], -1, v4
	v_addc_co_u32_e64 v9, s[12:13], 0, -1, s[12:13]
	v_cmp_ne_u32_e64 s[12:13], 0, v4
	v_xor_b32_e32 v4, s13, v9
	v_and_b32_e32 v9, exec_hi, v4
	v_lshlrev_b32_e32 v4, 30, v7
	v_xor_b32_e32 v8, s12, v8
	v_cmp_gt_i64_e64 s[12:13], 0, v[3:4]
	v_not_b32_e32 v4, v4
	v_ashrrev_i32_e32 v4, 31, v4
	v_and_b32_e32 v8, exec_lo, v8
	v_xor_b32_e32 v10, s13, v4
	v_xor_b32_e32 v4, s12, v4
	v_and_b32_e32 v8, v8, v4
	v_lshlrev_b32_e32 v4, 29, v7
	v_cmp_gt_i64_e64 s[12:13], 0, v[3:4]
	v_not_b32_e32 v4, v4
	v_ashrrev_i32_e32 v4, 31, v4
	v_and_b32_e32 v9, v9, v10
	v_xor_b32_e32 v10, s13, v4
	v_xor_b32_e32 v4, s12, v4
	v_and_b32_e32 v8, v8, v4
	v_lshlrev_b32_e32 v4, 28, v7
	v_cmp_gt_i64_e64 s[12:13], 0, v[3:4]
	v_not_b32_e32 v4, v4
	v_ashrrev_i32_e32 v4, 31, v4
	v_and_b32_e32 v9, v9, v10
	;; [unrolled: 8-line block ×5, first 2 shown]
	v_xor_b32_e32 v10, s13, v4
	v_xor_b32_e32 v4, s12, v4
	v_and_b32_e32 v9, v9, v10
	v_and_b32_e32 v10, v8, v4
	v_lshlrev_b32_e32 v4, 24, v7
	v_cmp_gt_i64_e64 s[12:13], 0, v[3:4]
	v_not_b32_e32 v4, v4
	v_ashrrev_i32_e32 v4, 31, v4
	v_xor_b32_e32 v7, s13, v4
	v_xor_b32_e32 v4, s12, v4
	; wave barrier
	ds_read_b64 v[5:6], v19
	v_and_b32_e32 v8, v9, v7
	v_and_b32_e32 v7, v10, v4
	v_mbcnt_lo_u32_b32 v4, v7, 0
	v_mbcnt_hi_u32_b32 v4, v8, v4
	v_cmp_ne_u64_e64 s[12:13], 0, v[7:8]
	v_cmp_eq_u32_e64 s[14:15], 0, v4
	s_and_b64 s[14:15], s[14:15], s[12:13]
	s_waitcnt lgkmcnt(0)
	; wave barrier
	ds_write2_b32 v18, v3, v3 offset0:1 offset1:2
	ds_write2_b32 v18, v3, v3 offset0:3 offset1:4
	s_waitcnt lgkmcnt(0)
	; wave barrier
	; wave barrier
	s_and_saveexec_b64 s[12:13], s[14:15]
; %bb.23:                               ;   in Loop: Header=BB145_2 Depth=1
	v_bcnt_u32_b32 v7, v7, 0
	v_bcnt_u32_b32 v7, v8, v7
	ds_write_b32 v24, v7 offset:4
; %bb.24:                               ;   in Loop: Header=BB145_2 Depth=1
	s_or_b64 exec, exec, s[12:13]
	; wave barrier
	s_waitcnt lgkmcnt(0)
	; wave barrier
	ds_read2_b32 v[9:10], v18 offset0:1 offset1:2
	ds_read2_b32 v[7:8], v18 offset0:3 offset1:4
	s_waitcnt lgkmcnt(1)
	v_add_u32_e32 v25, v10, v9
	s_waitcnt lgkmcnt(0)
	v_add3_u32 v8, v25, v7, v8
	s_nop 1
	v_mov_b32_dpp v25, v8 row_shr:1 row_mask:0xf bank_mask:0xf
	v_cndmask_b32_e64 v25, v25, 0, s[2:3]
	v_add_u32_e32 v8, v25, v8
	s_nop 1
	v_mov_b32_dpp v25, v8 row_shr:2 row_mask:0xf bank_mask:0xf
	v_cndmask_b32_e64 v25, 0, v25, s[4:5]
	v_add_u32_e32 v8, v8, v25
	;; [unrolled: 4-line block ×4, first 2 shown]
	s_nop 1
	v_mov_b32_dpp v25, v8 row_bcast:15 row_mask:0xf bank_mask:0xf
	v_cndmask_b32_e64 v25, v25, 0, s[10:11]
	v_add_u32_e32 v8, v8, v25
	s_nop 1
	v_mov_b32_dpp v25, v8 row_bcast:31 row_mask:0xf bank_mask:0xf
	v_cndmask_b32_e64 v25, 0, v25, s[0:1]
	v_add_u32_e32 v8, v8, v25
	s_and_saveexec_b64 s[12:13], vcc
; %bb.25:                               ;   in Loop: Header=BB145_2 Depth=1
	ds_write_b32 v3, v8
; %bb.26:                               ;   in Loop: Header=BB145_2 Depth=1
	s_or_b64 exec, exec, s[12:13]
	ds_bpermute_b32 v8, v21, v8
	s_waitcnt lgkmcnt(0)
	; wave barrier
	v_lshlrev_b32_e32 v4, 3, v4
	v_cndmask_b32_e64 v8, v8, 0, s[16:17]
	v_add_u32_e32 v9, v8, v9
	v_add_u32_e32 v10, v9, v10
	;; [unrolled: 1-line block ×3, first 2 shown]
	ds_write2_b32 v18, v8, v9 offset0:1 offset1:2
	ds_write2_b32 v18, v10, v7 offset0:3 offset1:4
	s_waitcnt lgkmcnt(0)
	; wave barrier
	ds_read_b32 v7, v24 offset:4
	s_waitcnt lgkmcnt(0)
	; wave barrier
	v_lshl_add_u32 v4, v7, 3, v4
	ds_write_b64 v4, v[1:2]
	s_waitcnt lgkmcnt(0)
	; wave barrier
	ds_read_b64 v[1:2], v19
	s_waitcnt lgkmcnt(0)
	; wave barrier
	ds_write_b64 v4, v[5:6]
	s_waitcnt lgkmcnt(0)
	v_and_b32_sdwa v4, v1, s23 dst_sel:DWORD dst_unused:UNUSED_PAD src0_sel:WORD_1 src1_sel:DWORD
	v_lshl_add_u32 v6, v4, 2, v22
	v_and_b32_sdwa v4, v1, v11 dst_sel:DWORD dst_unused:UNUSED_PAD src0_sel:WORD_1 src1_sel:DWORD
	v_add_co_u32_e64 v5, s[12:13], -1, v4
	v_addc_co_u32_e64 v9, s[12:13], 0, -1, s[12:13]
	v_cmp_ne_u32_e64 s[12:13], 0, v4
	v_xor_b32_e32 v4, s13, v9
	v_and_b32_e32 v9, exec_hi, v4
	v_lshlrev_b32_sdwa v4, v12, v1 dst_sel:DWORD dst_unused:UNUSED_PAD src0_sel:DWORD src1_sel:WORD_1
	v_xor_b32_e32 v5, s12, v5
	v_cmp_gt_i64_e64 s[12:13], 0, v[3:4]
	v_not_b32_e32 v4, v4
	v_ashrrev_i32_e32 v4, 31, v4
	v_and_b32_e32 v5, exec_lo, v5
	v_xor_b32_e32 v10, s13, v4
	v_xor_b32_e32 v4, s12, v4
	v_and_b32_e32 v5, v5, v4
	v_lshlrev_b32_sdwa v4, v13, v1 dst_sel:DWORD dst_unused:UNUSED_PAD src0_sel:DWORD src1_sel:WORD_1
	v_cmp_gt_i64_e64 s[12:13], 0, v[3:4]
	v_not_b32_e32 v4, v4
	v_ashrrev_i32_e32 v4, 31, v4
	v_and_b32_e32 v9, v9, v10
	v_xor_b32_e32 v10, s13, v4
	v_xor_b32_e32 v4, s12, v4
	v_and_b32_e32 v5, v5, v4
	v_lshlrev_b32_sdwa v4, v14, v1 dst_sel:DWORD dst_unused:UNUSED_PAD src0_sel:DWORD src1_sel:WORD_1
	v_cmp_gt_i64_e64 s[12:13], 0, v[3:4]
	v_not_b32_e32 v4, v4
	v_ashrrev_i32_e32 v4, 31, v4
	v_and_b32_e32 v9, v9, v10
	;; [unrolled: 8-line block ×5, first 2 shown]
	v_xor_b32_e32 v10, s13, v4
	v_xor_b32_e32 v4, s12, v4
	v_and_b32_e32 v9, v9, v10
	v_and_b32_e32 v10, v5, v4
	v_lshlrev_b32_sdwa v4, v23, v1 dst_sel:DWORD dst_unused:UNUSED_PAD src0_sel:DWORD src1_sel:WORD_1
	v_cmp_gt_i64_e64 s[12:13], 0, v[3:4]
	v_not_b32_e32 v4, v4
	v_ashrrev_i32_e32 v4, 31, v4
	v_xor_b32_e32 v5, s13, v4
	v_xor_b32_e32 v4, s12, v4
	; wave barrier
	ds_read_b64 v[7:8], v19
	v_and_b32_e32 v4, v10, v4
	v_and_b32_e32 v5, v9, v5
	v_mbcnt_lo_u32_b32 v9, v4, 0
	v_mbcnt_hi_u32_b32 v24, v5, v9
	v_cmp_ne_u64_e64 s[12:13], 0, v[4:5]
	v_cmp_eq_u32_e64 s[14:15], 0, v24
	s_and_b64 s[14:15], s[14:15], s[12:13]
	s_waitcnt lgkmcnt(0)
	; wave barrier
	ds_write2_b32 v18, v3, v3 offset0:1 offset1:2
	ds_write2_b32 v18, v3, v3 offset0:3 offset1:4
	s_waitcnt lgkmcnt(0)
	; wave barrier
	; wave barrier
	s_and_saveexec_b64 s[12:13], s[14:15]
; %bb.27:                               ;   in Loop: Header=BB145_2 Depth=1
	v_bcnt_u32_b32 v4, v4, 0
	v_bcnt_u32_b32 v4, v5, v4
	ds_write_b32 v6, v4 offset:4
; %bb.28:                               ;   in Loop: Header=BB145_2 Depth=1
	s_or_b64 exec, exec, s[12:13]
	; wave barrier
	s_waitcnt lgkmcnt(0)
	; wave barrier
	ds_read2_b32 v[9:10], v18 offset0:1 offset1:2
	ds_read2_b32 v[4:5], v18 offset0:3 offset1:4
	s_waitcnt lgkmcnt(1)
	v_add_u32_e32 v25, v10, v9
	s_waitcnt lgkmcnt(0)
	v_add3_u32 v5, v25, v4, v5
	s_nop 1
	v_mov_b32_dpp v25, v5 row_shr:1 row_mask:0xf bank_mask:0xf
	v_cndmask_b32_e64 v25, v25, 0, s[2:3]
	v_add_u32_e32 v5, v25, v5
	s_nop 1
	v_mov_b32_dpp v25, v5 row_shr:2 row_mask:0xf bank_mask:0xf
	v_cndmask_b32_e64 v25, 0, v25, s[4:5]
	v_add_u32_e32 v5, v5, v25
	s_nop 1
	v_mov_b32_dpp v25, v5 row_shr:4 row_mask:0xf bank_mask:0xf
	v_cndmask_b32_e64 v25, 0, v25, s[6:7]
	v_add_u32_e32 v5, v5, v25
	s_nop 1
	v_mov_b32_dpp v25, v5 row_shr:8 row_mask:0xf bank_mask:0xf
	v_cndmask_b32_e64 v25, 0, v25, s[8:9]
	v_add_u32_e32 v5, v5, v25
	s_nop 1
	v_mov_b32_dpp v25, v5 row_bcast:15 row_mask:0xf bank_mask:0xf
	v_cndmask_b32_e64 v25, v25, 0, s[10:11]
	v_add_u32_e32 v5, v5, v25
	s_nop 1
	v_mov_b32_dpp v25, v5 row_bcast:31 row_mask:0xf bank_mask:0xf
	v_cndmask_b32_e64 v25, 0, v25, s[0:1]
	v_add_u32_e32 v5, v5, v25
	s_and_saveexec_b64 s[12:13], vcc
; %bb.29:                               ;   in Loop: Header=BB145_2 Depth=1
	ds_write_b32 v3, v5
; %bb.30:                               ;   in Loop: Header=BB145_2 Depth=1
	s_or_b64 exec, exec, s[12:13]
	ds_bpermute_b32 v5, v21, v5
	s_waitcnt lgkmcnt(0)
	; wave barrier
	v_cndmask_b32_e64 v5, v5, 0, s[16:17]
	v_add_u32_e32 v9, v5, v9
	v_add_u32_e32 v10, v9, v10
	v_add_u32_e32 v4, v10, v4
	ds_write2_b32 v18, v5, v9 offset0:1 offset1:2
	ds_write2_b32 v18, v10, v4 offset0:3 offset1:4
	s_waitcnt lgkmcnt(0)
	; wave barrier
	ds_read_b32 v4, v6 offset:4
	v_lshlrev_b32_e32 v5, 3, v24
	s_waitcnt lgkmcnt(0)
	; wave barrier
	v_lshl_add_u32 v4, v4, 3, v5
	ds_write_b64 v4, v[1:2]
	s_waitcnt lgkmcnt(0)
	; wave barrier
	ds_read_b64 v[5:6], v19
	s_waitcnt lgkmcnt(0)
	; wave barrier
	ds_write_b64 v4, v[7:8]
	s_waitcnt lgkmcnt(0)
	v_lshrrev_b32_e32 v7, 24, v5
	v_and_b32_e32 v4, 1, v7
	v_add_co_u32_e64 v8, s[12:13], -1, v4
	v_addc_co_u32_e64 v9, s[12:13], 0, -1, s[12:13]
	v_cmp_ne_u32_e64 s[12:13], 0, v4
	v_xor_b32_e32 v4, s13, v9
	v_and_b32_e32 v9, exec_hi, v4
	v_lshlrev_b32_e32 v4, 30, v7
	v_xor_b32_e32 v8, s12, v8
	v_cmp_gt_i64_e64 s[12:13], 0, v[3:4]
	v_not_b32_e32 v4, v4
	v_ashrrev_i32_e32 v4, 31, v4
	v_and_b32_e32 v8, exec_lo, v8
	v_xor_b32_e32 v10, s13, v4
	v_xor_b32_e32 v4, s12, v4
	v_and_b32_e32 v8, v8, v4
	v_lshlrev_b32_e32 v4, 29, v7
	v_cmp_gt_i64_e64 s[12:13], 0, v[3:4]
	v_not_b32_e32 v4, v4
	v_ashrrev_i32_e32 v4, 31, v4
	v_and_b32_e32 v9, v9, v10
	v_xor_b32_e32 v10, s13, v4
	v_xor_b32_e32 v4, s12, v4
	v_and_b32_e32 v8, v8, v4
	v_lshlrev_b32_e32 v4, 28, v7
	v_cmp_gt_i64_e64 s[12:13], 0, v[3:4]
	v_not_b32_e32 v4, v4
	v_ashrrev_i32_e32 v4, 31, v4
	v_and_b32_e32 v9, v9, v10
	;; [unrolled: 8-line block ×5, first 2 shown]
	v_xor_b32_e32 v10, s13, v4
	v_xor_b32_e32 v4, s12, v4
	v_and_b32_e32 v9, v9, v10
	v_and_b32_e32 v10, v8, v4
	v_lshlrev_b32_e32 v4, 24, v7
	v_cmp_gt_i64_e64 s[12:13], 0, v[3:4]
	v_not_b32_e32 v4, v4
	v_ashrrev_i32_e32 v4, 31, v4
	v_lshl_add_u32 v24, v7, 2, v22
	v_xor_b32_e32 v7, s13, v4
	v_xor_b32_e32 v4, s12, v4
	; wave barrier
	ds_read_b64 v[1:2], v19
	v_and_b32_e32 v8, v9, v7
	v_and_b32_e32 v7, v10, v4
	v_mbcnt_lo_u32_b32 v4, v7, 0
	v_mbcnt_hi_u32_b32 v4, v8, v4
	v_cmp_ne_u64_e64 s[12:13], 0, v[7:8]
	v_cmp_eq_u32_e64 s[14:15], 0, v4
	s_and_b64 s[14:15], s[14:15], s[12:13]
	s_waitcnt lgkmcnt(0)
	; wave barrier
	ds_write2_b32 v18, v3, v3 offset0:1 offset1:2
	ds_write2_b32 v18, v3, v3 offset0:3 offset1:4
	s_waitcnt lgkmcnt(0)
	; wave barrier
	; wave barrier
	s_and_saveexec_b64 s[12:13], s[14:15]
; %bb.31:                               ;   in Loop: Header=BB145_2 Depth=1
	v_bcnt_u32_b32 v7, v7, 0
	v_bcnt_u32_b32 v7, v8, v7
	ds_write_b32 v24, v7 offset:4
; %bb.32:                               ;   in Loop: Header=BB145_2 Depth=1
	s_or_b64 exec, exec, s[12:13]
	; wave barrier
	s_waitcnt lgkmcnt(0)
	; wave barrier
	ds_read2_b32 v[9:10], v18 offset0:1 offset1:2
	ds_read2_b32 v[7:8], v18 offset0:3 offset1:4
	s_waitcnt lgkmcnt(1)
	v_add_u32_e32 v25, v10, v9
	s_waitcnt lgkmcnt(0)
	v_add3_u32 v8, v25, v7, v8
	s_nop 1
	v_mov_b32_dpp v25, v8 row_shr:1 row_mask:0xf bank_mask:0xf
	v_cndmask_b32_e64 v25, v25, 0, s[2:3]
	v_add_u32_e32 v8, v25, v8
	s_nop 1
	v_mov_b32_dpp v25, v8 row_shr:2 row_mask:0xf bank_mask:0xf
	v_cndmask_b32_e64 v25, 0, v25, s[4:5]
	v_add_u32_e32 v8, v8, v25
	s_nop 1
	v_mov_b32_dpp v25, v8 row_shr:4 row_mask:0xf bank_mask:0xf
	v_cndmask_b32_e64 v25, 0, v25, s[6:7]
	v_add_u32_e32 v8, v8, v25
	s_nop 1
	v_mov_b32_dpp v25, v8 row_shr:8 row_mask:0xf bank_mask:0xf
	v_cndmask_b32_e64 v25, 0, v25, s[8:9]
	v_add_u32_e32 v8, v8, v25
	s_nop 1
	v_mov_b32_dpp v25, v8 row_bcast:15 row_mask:0xf bank_mask:0xf
	v_cndmask_b32_e64 v25, v25, 0, s[10:11]
	v_add_u32_e32 v8, v8, v25
	s_nop 1
	v_mov_b32_dpp v25, v8 row_bcast:31 row_mask:0xf bank_mask:0xf
	v_cndmask_b32_e64 v25, 0, v25, s[0:1]
	v_add_u32_e32 v8, v8, v25
	s_and_saveexec_b64 s[12:13], vcc
	s_cbranch_execz .LBB145_1
; %bb.33:                               ;   in Loop: Header=BB145_2 Depth=1
	ds_write_b32 v3, v8
	s_branch .LBB145_1
.LBB145_34:
	s_brev_b32 s0, 1
	s_waitcnt lgkmcnt(0)
	v_add3_u32 v1, v1, v5, s0
	v_add3_u32 v2, v2, v6, s0
	s_add_u32 s0, s18, s20
	s_addc_u32 s1, s19, s21
	v_lshlrev_b32_e32 v0, 3, v0
	global_store_dwordx2 v0, v[1:2], s[0:1]
	s_endpgm
	.section	.rodata,"a",@progbits
	.p2align	6, 0x0
	.amdhsa_kernel _Z17sort_pairs_kernelI22helper_blocked_blockedN15benchmark_utils11custom_typeIiiEELj64ELj1ELj10EEvPKT0_PS4_
		.amdhsa_group_segment_fixed_size 1040
		.amdhsa_private_segment_fixed_size 0
		.amdhsa_kernarg_size 272
		.amdhsa_user_sgpr_count 6
		.amdhsa_user_sgpr_private_segment_buffer 1
		.amdhsa_user_sgpr_dispatch_ptr 0
		.amdhsa_user_sgpr_queue_ptr 0
		.amdhsa_user_sgpr_kernarg_segment_ptr 1
		.amdhsa_user_sgpr_dispatch_id 0
		.amdhsa_user_sgpr_flat_scratch_init 0
		.amdhsa_user_sgpr_private_segment_size 0
		.amdhsa_uses_dynamic_stack 0
		.amdhsa_system_sgpr_private_segment_wavefront_offset 0
		.amdhsa_system_sgpr_workgroup_id_x 1
		.amdhsa_system_sgpr_workgroup_id_y 0
		.amdhsa_system_sgpr_workgroup_id_z 0
		.amdhsa_system_sgpr_workgroup_info 0
		.amdhsa_system_vgpr_workitem_id 2
		.amdhsa_next_free_vgpr 26
		.amdhsa_next_free_sgpr 26
		.amdhsa_reserve_vcc 1
		.amdhsa_reserve_flat_scratch 0
		.amdhsa_float_round_mode_32 0
		.amdhsa_float_round_mode_16_64 0
		.amdhsa_float_denorm_mode_32 3
		.amdhsa_float_denorm_mode_16_64 3
		.amdhsa_dx10_clamp 1
		.amdhsa_ieee_mode 1
		.amdhsa_fp16_overflow 0
		.amdhsa_exception_fp_ieee_invalid_op 0
		.amdhsa_exception_fp_denorm_src 0
		.amdhsa_exception_fp_ieee_div_zero 0
		.amdhsa_exception_fp_ieee_overflow 0
		.amdhsa_exception_fp_ieee_underflow 0
		.amdhsa_exception_fp_ieee_inexact 0
		.amdhsa_exception_int_div_zero 0
	.end_amdhsa_kernel
	.section	.text._Z17sort_pairs_kernelI22helper_blocked_blockedN15benchmark_utils11custom_typeIiiEELj64ELj1ELj10EEvPKT0_PS4_,"axG",@progbits,_Z17sort_pairs_kernelI22helper_blocked_blockedN15benchmark_utils11custom_typeIiiEELj64ELj1ELj10EEvPKT0_PS4_,comdat
.Lfunc_end145:
	.size	_Z17sort_pairs_kernelI22helper_blocked_blockedN15benchmark_utils11custom_typeIiiEELj64ELj1ELj10EEvPKT0_PS4_, .Lfunc_end145-_Z17sort_pairs_kernelI22helper_blocked_blockedN15benchmark_utils11custom_typeIiiEELj64ELj1ELj10EEvPKT0_PS4_
                                        ; -- End function
	.set _Z17sort_pairs_kernelI22helper_blocked_blockedN15benchmark_utils11custom_typeIiiEELj64ELj1ELj10EEvPKT0_PS4_.num_vgpr, 26
	.set _Z17sort_pairs_kernelI22helper_blocked_blockedN15benchmark_utils11custom_typeIiiEELj64ELj1ELj10EEvPKT0_PS4_.num_agpr, 0
	.set _Z17sort_pairs_kernelI22helper_blocked_blockedN15benchmark_utils11custom_typeIiiEELj64ELj1ELj10EEvPKT0_PS4_.numbered_sgpr, 26
	.set _Z17sort_pairs_kernelI22helper_blocked_blockedN15benchmark_utils11custom_typeIiiEELj64ELj1ELj10EEvPKT0_PS4_.num_named_barrier, 0
	.set _Z17sort_pairs_kernelI22helper_blocked_blockedN15benchmark_utils11custom_typeIiiEELj64ELj1ELj10EEvPKT0_PS4_.private_seg_size, 0
	.set _Z17sort_pairs_kernelI22helper_blocked_blockedN15benchmark_utils11custom_typeIiiEELj64ELj1ELj10EEvPKT0_PS4_.uses_vcc, 1
	.set _Z17sort_pairs_kernelI22helper_blocked_blockedN15benchmark_utils11custom_typeIiiEELj64ELj1ELj10EEvPKT0_PS4_.uses_flat_scratch, 0
	.set _Z17sort_pairs_kernelI22helper_blocked_blockedN15benchmark_utils11custom_typeIiiEELj64ELj1ELj10EEvPKT0_PS4_.has_dyn_sized_stack, 0
	.set _Z17sort_pairs_kernelI22helper_blocked_blockedN15benchmark_utils11custom_typeIiiEELj64ELj1ELj10EEvPKT0_PS4_.has_recursion, 0
	.set _Z17sort_pairs_kernelI22helper_blocked_blockedN15benchmark_utils11custom_typeIiiEELj64ELj1ELj10EEvPKT0_PS4_.has_indirect_call, 0
	.section	.AMDGPU.csdata,"",@progbits
; Kernel info:
; codeLenInByte = 6224
; TotalNumSgprs: 30
; NumVgprs: 26
; ScratchSize: 0
; MemoryBound: 0
; FloatMode: 240
; IeeeMode: 1
; LDSByteSize: 1040 bytes/workgroup (compile time only)
; SGPRBlocks: 3
; VGPRBlocks: 6
; NumSGPRsForWavesPerEU: 30
; NumVGPRsForWavesPerEU: 26
; Occupancy: 9
; WaveLimiterHint : 0
; COMPUTE_PGM_RSRC2:SCRATCH_EN: 0
; COMPUTE_PGM_RSRC2:USER_SGPR: 6
; COMPUTE_PGM_RSRC2:TRAP_HANDLER: 0
; COMPUTE_PGM_RSRC2:TGID_X_EN: 1
; COMPUTE_PGM_RSRC2:TGID_Y_EN: 0
; COMPUTE_PGM_RSRC2:TGID_Z_EN: 0
; COMPUTE_PGM_RSRC2:TIDIG_COMP_CNT: 2
	.section	.text._Z16sort_keys_kernelI22helper_blocked_blockedN15benchmark_utils11custom_typeIiiEELj64ELj3ELj10EEvPKT0_PS4_,"axG",@progbits,_Z16sort_keys_kernelI22helper_blocked_blockedN15benchmark_utils11custom_typeIiiEELj64ELj3ELj10EEvPKT0_PS4_,comdat
	.protected	_Z16sort_keys_kernelI22helper_blocked_blockedN15benchmark_utils11custom_typeIiiEELj64ELj3ELj10EEvPKT0_PS4_ ; -- Begin function _Z16sort_keys_kernelI22helper_blocked_blockedN15benchmark_utils11custom_typeIiiEELj64ELj3ELj10EEvPKT0_PS4_
	.globl	_Z16sort_keys_kernelI22helper_blocked_blockedN15benchmark_utils11custom_typeIiiEELj64ELj3ELj10EEvPKT0_PS4_
	.p2align	8
	.type	_Z16sort_keys_kernelI22helper_blocked_blockedN15benchmark_utils11custom_typeIiiEELj64ELj3ELj10EEvPKT0_PS4_,@function
_Z16sort_keys_kernelI22helper_blocked_blockedN15benchmark_utils11custom_typeIiiEELj64ELj3ELj10EEvPKT0_PS4_: ; @_Z16sort_keys_kernelI22helper_blocked_blockedN15benchmark_utils11custom_typeIiiEELj64ELj3ELj10EEvPKT0_PS4_
; %bb.0:
	s_load_dwordx4 s[20:23], s[4:5], 0x0
	s_load_dword s2, s[4:5], 0x1c
	s_mul_i32 s24, s6, 0xc0
	s_mov_b32 s25, 0
	s_lshl_b64 s[26:27], s[24:25], 3
	s_waitcnt lgkmcnt(0)
	s_add_u32 s0, s20, s26
	s_addc_u32 s1, s21, s27
	v_lshlrev_b32_e32 v15, 3, v0
	global_load_dwordx2 v[3:4], v15, s[0:1]
	global_load_dwordx2 v[6:7], v15, s[0:1] offset:512
	global_load_dwordx2 v[8:9], v15, s[0:1] offset:1024
	v_mbcnt_lo_u32_b32 v10, -1, 0
	v_mbcnt_hi_u32_b32 v10, -1, v10
	s_lshr_b32 s0, s2, 16
	s_and_b32 s1, s2, 0xffff
	v_mad_u32_u24 v1, v2, s0, v1
	v_and_b32_e32 v2, 15, v10
	v_mad_u32_u24 v1, v1, s1, v0
	v_cmp_eq_u32_e64 s[0:1], 0, v2
	v_cmp_lt_u32_e64 s[2:3], 1, v2
	v_cmp_lt_u32_e64 s[4:5], 3, v2
	;; [unrolled: 1-line block ×3, first 2 shown]
	v_and_b32_e32 v2, 16, v10
	v_cmp_eq_u32_e64 s[8:9], 0, v2
	v_subrev_co_u32_e32 v2, vcc, 1, v10
	v_and_b32_e32 v11, 64, v10
	v_cmp_lt_i32_e64 s[14:15], v2, v11
	v_cndmask_b32_e64 v2, v2, v10, s[14:15]
	v_cmp_eq_u32_e64 s[14:15], 0, v0
	v_lshrrev_b32_e32 v1, 4, v1
	v_mov_b32_e32 v5, 0
	v_mul_u32_u24_e32 v16, 24, v10
	v_lshlrev_b32_e32 v17, 3, v10
	v_lshlrev_b32_e32 v18, 4, v0
	v_cmp_lt_u32_e64 s[10:11], 31, v10
	v_cmp_eq_u32_e64 s[12:13], 63, v0
	v_lshlrev_b32_e32 v19, 2, v2
	s_or_b64 s[20:21], s[14:15], vcc
	v_and_b32_e32 v20, 0xffffffc, v1
	s_branch .LBB146_2
.LBB146_1:                              ;   in Loop: Header=BB146_2 Depth=1
	v_add_u32_e32 v1, v18, v15
	; wave barrier
	ds_write_b64 v22, v[11:12]
	ds_write_b64 v21, v[9:10]
	;; [unrolled: 1-line block ×3, first 2 shown]
	s_waitcnt lgkmcnt(0)
	; wave barrier
	ds_read2_b64 v[6:9], v1 offset1:1
	ds_read_b64 v[1:2], v1 offset:16
	s_add_i32 s25, s25, 1
	s_cmp_eq_u32 s25, 10
	s_waitcnt lgkmcnt(1)
	v_xor_b32_e32 v3, 0x80000000, v6
	v_xor_b32_e32 v4, 0x80000000, v7
	;; [unrolled: 1-line block ×4, first 2 shown]
	s_waitcnt lgkmcnt(0)
	v_xor_b32_e32 v8, 0x80000000, v1
	v_xor_b32_e32 v9, 0x80000000, v2
	s_cbranch_scc1 .LBB146_14
.LBB146_2:                              ; =>This Loop Header: Depth=1
                                        ;     Child Loop BB146_4 Depth 2
	s_waitcnt vmcnt(2)
	v_xor_b32_e32 v2, 0x80000000, v4
	v_xor_b32_e32 v1, 0x80000000, v3
	s_waitcnt vmcnt(1)
	v_xor_b32_e32 v4, 0x80000000, v7
	v_xor_b32_e32 v3, 0x80000000, v6
	s_waitcnt vmcnt(0)
	v_xor_b32_e32 v7, 0x80000000, v9
	v_xor_b32_e32 v6, 0x80000000, v8
	ds_write2_b64 v16, v[1:2], v[3:4] offset1:1
	ds_write_b64 v16, v[6:7] offset:16
	; wave barrier
	ds_read2st64_b64 v[1:4], v17 offset1:1
	ds_read_b64 v[13:14], v17 offset:1024
	s_mov_b32 s24, 8
	s_mov_b32 s28, 32
	;; [unrolled: 1-line block ×3, first 2 shown]
	s_waitcnt lgkmcnt(0)
	; wave barrier
	; wave barrier
	;; [unrolled: 1-line block ×3, first 2 shown]
	s_branch .LBB146_4
.LBB146_3:                              ;   in Loop: Header=BB146_4 Depth=2
	s_andn2_b64 vcc, exec, s[14:15]
	s_cbranch_vccz .LBB146_1
.LBB146_4:                              ;   Parent Loop BB146_2 Depth=1
                                        ; =>  This Inner Loop Header: Depth=2
	s_min_i32 s16, s24, 32
	s_cmp_lt_u32 s29, 32
	s_cselect_b64 s[14:15], -1, 0
	s_cmp_gt_u32 s29, 31
	s_cselect_b64 vcc, -1, 0
	s_sub_i32 s16, s16, 32
	s_add_i32 s17, s16, s28
	s_lshl_b32 s17, -1, s17
	s_not_b32 s17, s17
	s_cmp_lg_u32 s16, s29
	s_cselect_b32 s31, s17, -1
	s_max_i32 s30, s28, 0
	s_max_i32 s16, s29, 32
	s_sub_i32 s33, s16, 32
	s_sub_i32 s16, s16, s30
	;; [unrolled: 1-line block ×3, first 2 shown]
	s_min_i32 s16, s16, 32
	s_sub_i32 s16, s16, s33
	s_lshl_b32 s17, -1, s16
	v_mov_b32_e32 v12, v2
	s_not_b32 s17, s17
	v_mov_b32_e32 v11, v1
	s_cmp_lg_u32 s16, 32
	s_cselect_b32 s34, s17, -1
	v_lshrrev_b32_e32 v2, s33, v11
	v_lshrrev_b32_e32 v1, s29, v12
	v_and_b32_e32 v2, s34, v2
	v_and_b32_e32 v1, s31, v1
	v_lshlrev_b32_e32 v2, s30, v2
	v_cndmask_b32_e64 v1, 0, v1, s[14:15]
	v_cndmask_b32_e32 v2, 0, v2, vcc
	v_or_b32_e32 v1, v1, v2
	v_mov_b32_e32 v10, v4
	v_and_b32_e32 v2, 1, v1
	v_mov_b32_e32 v9, v3
	v_add_co_u32_e64 v3, s[16:17], -1, v2
	v_addc_co_u32_e64 v4, s[16:17], 0, -1, s[16:17]
	v_cmp_ne_u32_e64 s[16:17], 0, v2
	v_lshlrev_b32_e32 v6, 30, v1
	v_xor_b32_e32 v2, s17, v4
	v_xor_b32_e32 v3, s16, v3
	v_cmp_gt_i64_e64 s[16:17], 0, v[5:6]
	v_not_b32_e32 v4, v6
	v_ashrrev_i32_e32 v4, 31, v4
	v_and_b32_e32 v2, exec_hi, v2
	v_xor_b32_e32 v6, s17, v4
	v_and_b32_e32 v3, exec_lo, v3
	v_xor_b32_e32 v4, s16, v4
	v_and_b32_e32 v2, v2, v6
	v_lshlrev_b32_e32 v6, 29, v1
	v_and_b32_e32 v3, v3, v4
	v_cmp_gt_i64_e64 s[16:17], 0, v[5:6]
	v_not_b32_e32 v4, v6
	v_ashrrev_i32_e32 v4, 31, v4
	v_xor_b32_e32 v6, s17, v4
	v_xor_b32_e32 v4, s16, v4
	v_and_b32_e32 v2, v2, v6
	v_lshlrev_b32_e32 v6, 28, v1
	v_and_b32_e32 v3, v3, v4
	v_cmp_gt_i64_e64 s[16:17], 0, v[5:6]
	v_not_b32_e32 v4, v6
	v_ashrrev_i32_e32 v4, 31, v4
	v_xor_b32_e32 v6, s17, v4
	v_xor_b32_e32 v4, s16, v4
	v_and_b32_e32 v2, v2, v6
	v_lshlrev_b32_e32 v6, 27, v1
	v_and_b32_e32 v3, v3, v4
	v_cmp_gt_i64_e64 s[16:17], 0, v[5:6]
	v_not_b32_e32 v4, v6
	v_ashrrev_i32_e32 v4, 31, v4
	v_xor_b32_e32 v6, s17, v4
	v_xor_b32_e32 v4, s16, v4
	v_and_b32_e32 v2, v2, v6
	v_lshlrev_b32_e32 v6, 26, v1
	v_and_b32_e32 v3, v3, v4
	v_cmp_gt_i64_e64 s[16:17], 0, v[5:6]
	v_not_b32_e32 v4, v6
	v_ashrrev_i32_e32 v4, 31, v4
	v_xor_b32_e32 v6, s17, v4
	v_xor_b32_e32 v4, s16, v4
	v_and_b32_e32 v2, v2, v6
	v_lshlrev_b32_e32 v6, 25, v1
	v_and_b32_e32 v3, v3, v4
	v_cmp_gt_i64_e64 s[16:17], 0, v[5:6]
	v_not_b32_e32 v4, v6
	v_ashrrev_i32_e32 v4, 31, v4
	v_xor_b32_e32 v6, s17, v4
	v_mov_b32_e32 v7, v13
	v_and_b32_e32 v2, v2, v6
	v_lshlrev_b32_e32 v6, 24, v1
	v_mov_b32_e32 v8, v14
	v_lshl_add_u32 v13, v1, 2, v20
	v_xor_b32_e32 v4, s16, v4
	v_cmp_gt_i64_e64 s[16:17], 0, v[5:6]
	v_not_b32_e32 v1, v6
	v_ashrrev_i32_e32 v1, 31, v1
	v_and_b32_e32 v3, v3, v4
	v_xor_b32_e32 v4, s17, v1
	v_xor_b32_e32 v1, s16, v1
	v_and_b32_e32 v1, v3, v1
	v_and_b32_e32 v2, v2, v4
	v_mbcnt_lo_u32_b32 v3, v1, 0
	v_mbcnt_hi_u32_b32 v14, v2, v3
	v_cmp_ne_u64_e64 s[16:17], 0, v[1:2]
	v_cmp_eq_u32_e64 s[18:19], 0, v14
	s_and_b64 s[18:19], s[18:19], s[16:17]
	ds_write2_b32 v18, v5, v5 offset0:1 offset1:2
	ds_write2_b32 v18, v5, v5 offset0:3 offset1:4
	s_waitcnt lgkmcnt(0)
	; wave barrier
	; wave barrier
	s_and_saveexec_b64 s[16:17], s[18:19]
; %bb.5:                                ;   in Loop: Header=BB146_4 Depth=2
	v_bcnt_u32_b32 v1, v1, 0
	v_bcnt_u32_b32 v1, v2, v1
	ds_write_b32 v13, v1 offset:4
; %bb.6:                                ;   in Loop: Header=BB146_4 Depth=2
	s_or_b64 exec, exec, s[16:17]
	v_lshrrev_b32_e32 v2, s33, v9
	v_lshrrev_b32_e32 v1, s29, v10
	v_and_b32_e32 v2, s34, v2
	v_and_b32_e32 v1, s31, v1
	v_lshlrev_b32_e32 v2, s30, v2
	v_cndmask_b32_e64 v1, 0, v1, s[14:15]
	v_cndmask_b32_e32 v2, 0, v2, vcc
	v_or_b32_e32 v1, v1, v2
	v_and_b32_e32 v2, 1, v1
	v_add_co_u32_e64 v3, s[16:17], -1, v2
	v_addc_co_u32_e64 v4, s[16:17], 0, -1, s[16:17]
	v_cmp_ne_u32_e64 s[16:17], 0, v2
	v_lshlrev_b32_e32 v6, 30, v1
	v_xor_b32_e32 v2, s17, v4
	v_xor_b32_e32 v3, s16, v3
	v_cmp_gt_i64_e64 s[16:17], 0, v[5:6]
	v_not_b32_e32 v4, v6
	v_ashrrev_i32_e32 v4, 31, v4
	v_and_b32_e32 v2, exec_hi, v2
	v_xor_b32_e32 v6, s17, v4
	v_and_b32_e32 v3, exec_lo, v3
	v_xor_b32_e32 v4, s16, v4
	v_and_b32_e32 v2, v2, v6
	v_lshlrev_b32_e32 v6, 29, v1
	v_and_b32_e32 v3, v3, v4
	v_cmp_gt_i64_e64 s[16:17], 0, v[5:6]
	v_not_b32_e32 v4, v6
	v_ashrrev_i32_e32 v4, 31, v4
	v_xor_b32_e32 v6, s17, v4
	v_xor_b32_e32 v4, s16, v4
	v_and_b32_e32 v2, v2, v6
	v_lshlrev_b32_e32 v6, 28, v1
	v_and_b32_e32 v3, v3, v4
	v_cmp_gt_i64_e64 s[16:17], 0, v[5:6]
	v_not_b32_e32 v4, v6
	v_ashrrev_i32_e32 v4, 31, v4
	v_xor_b32_e32 v6, s17, v4
	;; [unrolled: 8-line block ×5, first 2 shown]
	v_and_b32_e32 v2, v2, v6
	v_lshlrev_b32_e32 v6, 24, v1
	v_lshl_add_u32 v22, v1, 2, v20
	v_xor_b32_e32 v4, s16, v4
	v_cmp_gt_i64_e64 s[16:17], 0, v[5:6]
	v_not_b32_e32 v1, v6
	v_ashrrev_i32_e32 v1, 31, v1
	v_and_b32_e32 v3, v3, v4
	v_xor_b32_e32 v4, s17, v1
	v_xor_b32_e32 v1, s16, v1
	; wave barrier
	ds_read_b32 v21, v22 offset:4
	v_and_b32_e32 v1, v3, v1
	v_and_b32_e32 v2, v2, v4
	v_mbcnt_lo_u32_b32 v3, v1, 0
	v_mbcnt_hi_u32_b32 v23, v2, v3
	v_cmp_ne_u64_e64 s[16:17], 0, v[1:2]
	v_cmp_eq_u32_e64 s[18:19], 0, v23
	s_and_b64 s[18:19], s[18:19], s[16:17]
	; wave barrier
	s_and_saveexec_b64 s[16:17], s[18:19]
	s_cbranch_execz .LBB146_8
; %bb.7:                                ;   in Loop: Header=BB146_4 Depth=2
	v_bcnt_u32_b32 v1, v1, 0
	v_bcnt_u32_b32 v1, v2, v1
	s_waitcnt lgkmcnt(0)
	v_add_u32_e32 v1, v21, v1
	ds_write_b32 v22, v1 offset:4
.LBB146_8:                              ;   in Loop: Header=BB146_4 Depth=2
	s_or_b64 exec, exec, s[16:17]
	v_lshrrev_b32_e32 v2, s33, v7
	v_lshrrev_b32_e32 v1, s29, v8
	v_and_b32_e32 v2, s34, v2
	v_and_b32_e32 v1, s31, v1
	v_lshlrev_b32_e32 v2, s30, v2
	v_cndmask_b32_e64 v1, 0, v1, s[14:15]
	v_cndmask_b32_e32 v2, 0, v2, vcc
	v_or_b32_e32 v1, v1, v2
	v_and_b32_e32 v2, 1, v1
	v_add_co_u32_e32 v3, vcc, -1, v2
	v_addc_co_u32_e64 v4, s[14:15], 0, -1, vcc
	v_cmp_ne_u32_e32 vcc, 0, v2
	v_lshlrev_b32_e32 v6, 30, v1
	v_xor_b32_e32 v2, vcc_hi, v4
	v_xor_b32_e32 v3, vcc_lo, v3
	v_cmp_gt_i64_e32 vcc, 0, v[5:6]
	v_not_b32_e32 v4, v6
	v_ashrrev_i32_e32 v4, 31, v4
	v_and_b32_e32 v2, exec_hi, v2
	v_xor_b32_e32 v6, vcc_hi, v4
	v_and_b32_e32 v3, exec_lo, v3
	v_xor_b32_e32 v4, vcc_lo, v4
	v_and_b32_e32 v2, v2, v6
	v_lshlrev_b32_e32 v6, 29, v1
	v_and_b32_e32 v3, v3, v4
	v_cmp_gt_i64_e32 vcc, 0, v[5:6]
	v_not_b32_e32 v4, v6
	v_ashrrev_i32_e32 v4, 31, v4
	v_xor_b32_e32 v6, vcc_hi, v4
	v_xor_b32_e32 v4, vcc_lo, v4
	v_and_b32_e32 v2, v2, v6
	v_lshlrev_b32_e32 v6, 28, v1
	v_and_b32_e32 v3, v3, v4
	v_cmp_gt_i64_e32 vcc, 0, v[5:6]
	v_not_b32_e32 v4, v6
	v_ashrrev_i32_e32 v4, 31, v4
	v_xor_b32_e32 v6, vcc_hi, v4
	;; [unrolled: 8-line block ×5, first 2 shown]
	v_and_b32_e32 v2, v2, v6
	v_lshlrev_b32_e32 v6, 24, v1
	v_lshl_add_u32 v25, v1, 2, v20
	v_xor_b32_e32 v4, vcc_lo, v4
	v_cmp_gt_i64_e32 vcc, 0, v[5:6]
	v_not_b32_e32 v1, v6
	v_ashrrev_i32_e32 v1, 31, v1
	v_and_b32_e32 v3, v3, v4
	v_xor_b32_e32 v4, vcc_hi, v1
	v_xor_b32_e32 v1, vcc_lo, v1
	; wave barrier
	ds_read_b32 v24, v25 offset:4
	v_and_b32_e32 v1, v3, v1
	v_and_b32_e32 v2, v2, v4
	v_mbcnt_lo_u32_b32 v3, v1, 0
	v_mbcnt_hi_u32_b32 v6, v2, v3
	v_cmp_ne_u64_e32 vcc, 0, v[1:2]
	v_cmp_eq_u32_e64 s[14:15], 0, v6
	s_and_b64 s[16:17], s[14:15], vcc
	; wave barrier
	s_and_saveexec_b64 s[14:15], s[16:17]
	s_cbranch_execz .LBB146_10
; %bb.9:                                ;   in Loop: Header=BB146_4 Depth=2
	v_bcnt_u32_b32 v1, v1, 0
	v_bcnt_u32_b32 v1, v2, v1
	s_waitcnt lgkmcnt(0)
	v_add_u32_e32 v1, v24, v1
	ds_write_b32 v25, v1 offset:4
.LBB146_10:                             ;   in Loop: Header=BB146_4 Depth=2
	s_or_b64 exec, exec, s[14:15]
	; wave barrier
	s_waitcnt lgkmcnt(0)
	; wave barrier
	ds_read2_b32 v[3:4], v18 offset0:1 offset1:2
	ds_read2_b32 v[1:2], v18 offset0:3 offset1:4
	s_waitcnt lgkmcnt(1)
	v_add_u32_e32 v26, v4, v3
	s_waitcnt lgkmcnt(0)
	v_add3_u32 v2, v26, v1, v2
	s_nop 1
	v_mov_b32_dpp v26, v2 row_shr:1 row_mask:0xf bank_mask:0xf
	v_cndmask_b32_e64 v26, v26, 0, s[0:1]
	v_add_u32_e32 v2, v26, v2
	s_nop 1
	v_mov_b32_dpp v26, v2 row_shr:2 row_mask:0xf bank_mask:0xf
	v_cndmask_b32_e64 v26, 0, v26, s[2:3]
	v_add_u32_e32 v2, v2, v26
	;; [unrolled: 4-line block ×4, first 2 shown]
	s_nop 1
	v_mov_b32_dpp v26, v2 row_bcast:15 row_mask:0xf bank_mask:0xf
	v_cndmask_b32_e64 v26, v26, 0, s[8:9]
	v_add_u32_e32 v2, v2, v26
	s_nop 1
	v_mov_b32_dpp v26, v2 row_bcast:31 row_mask:0xf bank_mask:0xf
	v_cndmask_b32_e64 v26, 0, v26, s[10:11]
	v_add_u32_e32 v2, v2, v26
	s_and_saveexec_b64 s[14:15], s[12:13]
; %bb.11:                               ;   in Loop: Header=BB146_4 Depth=2
	ds_write_b32 v5, v2
; %bb.12:                               ;   in Loop: Header=BB146_4 Depth=2
	s_or_b64 exec, exec, s[14:15]
	ds_bpermute_b32 v2, v19, v2
	s_waitcnt lgkmcnt(0)
	; wave barrier
	s_cmp_gt_u32 s29, 55
	s_mov_b64 s[14:15], -1
	v_cndmask_b32_e64 v2, v2, 0, s[20:21]
	v_add_u32_e32 v3, v2, v3
	v_add_u32_e32 v4, v3, v4
	v_add_u32_e32 v1, v4, v1
	ds_write2_b32 v18, v2, v3 offset0:1 offset1:2
	ds_write2_b32 v18, v4, v1 offset0:3 offset1:4
	s_waitcnt lgkmcnt(0)
	; wave barrier
	ds_read_b32 v1, v13 offset:4
	ds_read_b32 v2, v22 offset:4
	;; [unrolled: 1-line block ×3, first 2 shown]
	v_lshlrev_b32_e32 v4, 3, v14
	s_waitcnt lgkmcnt(0)
	v_lshl_add_u32 v22, v1, 3, v4
	v_lshlrev_b32_e32 v1, 3, v23
	v_lshlrev_b32_e32 v4, 3, v21
	;; [unrolled: 1-line block ×3, first 2 shown]
	v_add3_u32 v21, v1, v4, v2
	v_lshlrev_b32_e32 v1, 3, v6
	v_lshlrev_b32_e32 v2, 3, v24
	;; [unrolled: 1-line block ×3, first 2 shown]
	v_add3_u32 v6, v1, v2, v3
                                        ; implicit-def: $vgpr1_vgpr2
                                        ; implicit-def: $vgpr13_vgpr14
	s_cbranch_scc1 .LBB146_3
; %bb.13:                               ;   in Loop: Header=BB146_4 Depth=2
	; wave barrier
	ds_write_b64 v22, v[11:12]
	ds_write_b64 v21, v[9:10]
	;; [unrolled: 1-line block ×3, first 2 shown]
	s_waitcnt lgkmcnt(0)
	; wave barrier
	ds_read2st64_b64 v[1:4], v17 offset1:1
	ds_read_b64 v[13:14], v17 offset:1024
	s_add_i32 s28, s28, -8
	s_add_i32 s24, s24, 8
	s_add_i32 s29, s29, 8
	s_mov_b64 s[14:15], 0
	s_waitcnt lgkmcnt(0)
	; wave barrier
	s_branch .LBB146_3
.LBB146_14:
	s_add_u32 s0, s22, s26
	s_addc_u32 s1, s23, s27
	v_lshlrev_b32_e32 v0, 3, v0
	global_store_dwordx2 v0, v[3:4], s[0:1]
	global_store_dwordx2 v0, v[6:7], s[0:1] offset:512
	global_store_dwordx2 v0, v[8:9], s[0:1] offset:1024
	s_endpgm
	.section	.rodata,"a",@progbits
	.p2align	6, 0x0
	.amdhsa_kernel _Z16sort_keys_kernelI22helper_blocked_blockedN15benchmark_utils11custom_typeIiiEELj64ELj3ELj10EEvPKT0_PS4_
		.amdhsa_group_segment_fixed_size 1536
		.amdhsa_private_segment_fixed_size 0
		.amdhsa_kernarg_size 272
		.amdhsa_user_sgpr_count 6
		.amdhsa_user_sgpr_private_segment_buffer 1
		.amdhsa_user_sgpr_dispatch_ptr 0
		.amdhsa_user_sgpr_queue_ptr 0
		.amdhsa_user_sgpr_kernarg_segment_ptr 1
		.amdhsa_user_sgpr_dispatch_id 0
		.amdhsa_user_sgpr_flat_scratch_init 0
		.amdhsa_user_sgpr_private_segment_size 0
		.amdhsa_uses_dynamic_stack 0
		.amdhsa_system_sgpr_private_segment_wavefront_offset 0
		.amdhsa_system_sgpr_workgroup_id_x 1
		.amdhsa_system_sgpr_workgroup_id_y 0
		.amdhsa_system_sgpr_workgroup_id_z 0
		.amdhsa_system_sgpr_workgroup_info 0
		.amdhsa_system_vgpr_workitem_id 2
		.amdhsa_next_free_vgpr 27
		.amdhsa_next_free_sgpr 35
		.amdhsa_reserve_vcc 1
		.amdhsa_reserve_flat_scratch 0
		.amdhsa_float_round_mode_32 0
		.amdhsa_float_round_mode_16_64 0
		.amdhsa_float_denorm_mode_32 3
		.amdhsa_float_denorm_mode_16_64 3
		.amdhsa_dx10_clamp 1
		.amdhsa_ieee_mode 1
		.amdhsa_fp16_overflow 0
		.amdhsa_exception_fp_ieee_invalid_op 0
		.amdhsa_exception_fp_denorm_src 0
		.amdhsa_exception_fp_ieee_div_zero 0
		.amdhsa_exception_fp_ieee_overflow 0
		.amdhsa_exception_fp_ieee_underflow 0
		.amdhsa_exception_fp_ieee_inexact 0
		.amdhsa_exception_int_div_zero 0
	.end_amdhsa_kernel
	.section	.text._Z16sort_keys_kernelI22helper_blocked_blockedN15benchmark_utils11custom_typeIiiEELj64ELj3ELj10EEvPKT0_PS4_,"axG",@progbits,_Z16sort_keys_kernelI22helper_blocked_blockedN15benchmark_utils11custom_typeIiiEELj64ELj3ELj10EEvPKT0_PS4_,comdat
.Lfunc_end146:
	.size	_Z16sort_keys_kernelI22helper_blocked_blockedN15benchmark_utils11custom_typeIiiEELj64ELj3ELj10EEvPKT0_PS4_, .Lfunc_end146-_Z16sort_keys_kernelI22helper_blocked_blockedN15benchmark_utils11custom_typeIiiEELj64ELj3ELj10EEvPKT0_PS4_
                                        ; -- End function
	.set _Z16sort_keys_kernelI22helper_blocked_blockedN15benchmark_utils11custom_typeIiiEELj64ELj3ELj10EEvPKT0_PS4_.num_vgpr, 27
	.set _Z16sort_keys_kernelI22helper_blocked_blockedN15benchmark_utils11custom_typeIiiEELj64ELj3ELj10EEvPKT0_PS4_.num_agpr, 0
	.set _Z16sort_keys_kernelI22helper_blocked_blockedN15benchmark_utils11custom_typeIiiEELj64ELj3ELj10EEvPKT0_PS4_.numbered_sgpr, 35
	.set _Z16sort_keys_kernelI22helper_blocked_blockedN15benchmark_utils11custom_typeIiiEELj64ELj3ELj10EEvPKT0_PS4_.num_named_barrier, 0
	.set _Z16sort_keys_kernelI22helper_blocked_blockedN15benchmark_utils11custom_typeIiiEELj64ELj3ELj10EEvPKT0_PS4_.private_seg_size, 0
	.set _Z16sort_keys_kernelI22helper_blocked_blockedN15benchmark_utils11custom_typeIiiEELj64ELj3ELj10EEvPKT0_PS4_.uses_vcc, 1
	.set _Z16sort_keys_kernelI22helper_blocked_blockedN15benchmark_utils11custom_typeIiiEELj64ELj3ELj10EEvPKT0_PS4_.uses_flat_scratch, 0
	.set _Z16sort_keys_kernelI22helper_blocked_blockedN15benchmark_utils11custom_typeIiiEELj64ELj3ELj10EEvPKT0_PS4_.has_dyn_sized_stack, 0
	.set _Z16sort_keys_kernelI22helper_blocked_blockedN15benchmark_utils11custom_typeIiiEELj64ELj3ELj10EEvPKT0_PS4_.has_recursion, 0
	.set _Z16sort_keys_kernelI22helper_blocked_blockedN15benchmark_utils11custom_typeIiiEELj64ELj3ELj10EEvPKT0_PS4_.has_indirect_call, 0
	.section	.AMDGPU.csdata,"",@progbits
; Kernel info:
; codeLenInByte = 2296
; TotalNumSgprs: 39
; NumVgprs: 27
; ScratchSize: 0
; MemoryBound: 0
; FloatMode: 240
; IeeeMode: 1
; LDSByteSize: 1536 bytes/workgroup (compile time only)
; SGPRBlocks: 4
; VGPRBlocks: 6
; NumSGPRsForWavesPerEU: 39
; NumVGPRsForWavesPerEU: 27
; Occupancy: 9
; WaveLimiterHint : 1
; COMPUTE_PGM_RSRC2:SCRATCH_EN: 0
; COMPUTE_PGM_RSRC2:USER_SGPR: 6
; COMPUTE_PGM_RSRC2:TRAP_HANDLER: 0
; COMPUTE_PGM_RSRC2:TGID_X_EN: 1
; COMPUTE_PGM_RSRC2:TGID_Y_EN: 0
; COMPUTE_PGM_RSRC2:TGID_Z_EN: 0
; COMPUTE_PGM_RSRC2:TIDIG_COMP_CNT: 2
	.section	.text._Z17sort_pairs_kernelI22helper_blocked_blockedN15benchmark_utils11custom_typeIiiEELj64ELj3ELj10EEvPKT0_PS4_,"axG",@progbits,_Z17sort_pairs_kernelI22helper_blocked_blockedN15benchmark_utils11custom_typeIiiEELj64ELj3ELj10EEvPKT0_PS4_,comdat
	.protected	_Z17sort_pairs_kernelI22helper_blocked_blockedN15benchmark_utils11custom_typeIiiEELj64ELj3ELj10EEvPKT0_PS4_ ; -- Begin function _Z17sort_pairs_kernelI22helper_blocked_blockedN15benchmark_utils11custom_typeIiiEELj64ELj3ELj10EEvPKT0_PS4_
	.globl	_Z17sort_pairs_kernelI22helper_blocked_blockedN15benchmark_utils11custom_typeIiiEELj64ELj3ELj10EEvPKT0_PS4_
	.p2align	8
	.type	_Z17sort_pairs_kernelI22helper_blocked_blockedN15benchmark_utils11custom_typeIiiEELj64ELj3ELj10EEvPKT0_PS4_,@function
_Z17sort_pairs_kernelI22helper_blocked_blockedN15benchmark_utils11custom_typeIiiEELj64ELj3ELj10EEvPKT0_PS4_: ; @_Z17sort_pairs_kernelI22helper_blocked_blockedN15benchmark_utils11custom_typeIiiEELj64ELj3ELj10EEvPKT0_PS4_
; %bb.0:
	s_load_dwordx4 s[20:23], s[4:5], 0x0
	s_load_dword s18, s[4:5], 0x1c
	s_mul_i32 s26, s6, 0xc0
	s_mov_b32 s27, 0
	s_lshl_b64 s[24:25], s[26:27], 3
	s_waitcnt lgkmcnt(0)
	s_add_u32 s0, s20, s24
	s_addc_u32 s1, s21, s25
	v_lshlrev_b32_e32 v27, 3, v0
	global_load_dwordx2 v[3:4], v27, s[0:1]
	global_load_dwordx2 v[10:11], v27, s[0:1] offset:512
	global_load_dwordx2 v[12:13], v27, s[0:1] offset:1024
	v_mbcnt_lo_u32_b32 v5, -1, 0
	v_mbcnt_hi_u32_b32 v5, -1, v5
	v_subrev_co_u32_e64 v8, s[14:15], 1, v5
	v_and_b32_e32 v14, 64, v5
	v_cmp_lt_i32_e64 s[16:17], v8, v14
	v_mul_u32_u24_e32 v28, 24, v5
	v_lshlrev_b32_e32 v29, 3, v5
	v_and_b32_e32 v6, 15, v5
	v_and_b32_e32 v7, 16, v5
	v_cmp_lt_u32_e64 s[2:3], 31, v5
	v_cndmask_b32_e64 v5, v8, v5, s[16:17]
	s_lshr_b32 s16, s18, 16
	s_and_b32 s17, s18, 0xffff
	v_mad_u32_u24 v1, v2, s16, v1
	v_mad_u32_u24 v1, v1, s17, v0
	v_cmp_eq_u32_e32 vcc, 0, v0
	v_lshrrev_b32_e32 v1, 4, v1
	v_mov_b32_e32 v9, 0
	v_cmp_eq_u32_e64 s[0:1], 63, v0
	v_cmp_eq_u32_e64 s[4:5], 0, v6
	v_cmp_lt_u32_e64 s[6:7], 1, v6
	v_cmp_lt_u32_e64 s[8:9], 3, v6
	;; [unrolled: 1-line block ×3, first 2 shown]
	v_cmp_eq_u32_e64 s[12:13], 0, v7
	v_lshlrev_b32_e32 v30, 2, v5
	s_or_b64 s[20:21], vcc, s[14:15]
	v_and_b32_e32 v31, 0xffffffc, v1
	v_lshlrev_b32_e32 v32, 4, v0
	s_waitcnt vmcnt(2)
	v_add_u32_e32 v6, 1, v4
	v_add_u32_e32 v5, 1, v3
	s_waitcnt vmcnt(1)
	v_add_u32_e32 v8, 1, v11
	v_add_u32_e32 v7, 1, v10
	;; [unrolled: 3-line block ×3, first 2 shown]
	s_branch .LBB147_2
.LBB147_1:                              ;   in Loop: Header=BB147_2 Depth=1
	v_add_u32_e32 v3, v32, v27
	; wave barrier
	ds_write_b64 v10, v[17:18]
	ds_write_b64 v33, v[15:16]
	;; [unrolled: 1-line block ×3, first 2 shown]
	s_waitcnt lgkmcnt(0)
	; wave barrier
	ds_read2_b64 v[21:24], v3 offset1:1
	ds_read_b64 v[1:2], v3 offset:16
	s_waitcnt lgkmcnt(0)
	; wave barrier
	ds_write_b64 v10, v[13:14]
	ds_write_b64 v33, v[11:12]
	;; [unrolled: 1-line block ×3, first 2 shown]
	s_waitcnt lgkmcnt(0)
	; wave barrier
	ds_read2_b64 v[5:8], v3 offset1:1
	ds_read_b64 v[14:15], v3 offset:16
	s_add_i32 s27, s27, 1
	v_xor_b32_e32 v3, 0x80000000, v21
	v_xor_b32_e32 v4, 0x80000000, v22
	v_xor_b32_e32 v10, 0x80000000, v23
	v_xor_b32_e32 v11, 0x80000000, v24
	v_xor_b32_e32 v12, 0x80000000, v1
	s_cmp_lg_u32 s27, 10
	v_xor_b32_e32 v13, 0x80000000, v2
	s_cbranch_scc0 .LBB147_14
.LBB147_2:                              ; =>This Loop Header: Depth=1
                                        ;     Child Loop BB147_4 Depth 2
	v_xor_b32_e32 v2, 0x80000000, v4
	v_xor_b32_e32 v1, 0x80000000, v3
	;; [unrolled: 1-line block ×6, first 2 shown]
	ds_write2_b64 v28, v[1:2], v[3:4] offset1:1
	ds_write_b64 v28, v[10:11] offset:16
	; wave barrier
	ds_read2st64_b64 v[1:4], v29 offset1:1
	ds_read_b64 v[23:24], v29 offset:1024
	; wave barrier
	s_waitcnt lgkmcnt(5)
	ds_write2_b64 v28, v[5:6], v[7:8] offset1:1
	s_waitcnt lgkmcnt(5)
	ds_write_b64 v28, v[14:15] offset:16
	; wave barrier
	ds_read2st64_b64 v[5:8], v29 offset1:1
	ds_read_b64 v[25:26], v29 offset:1024
	s_mov_b32 s26, 8
	s_mov_b32 s28, 32
	;; [unrolled: 1-line block ×3, first 2 shown]
	s_waitcnt lgkmcnt(0)
	; wave barrier
	s_branch .LBB147_4
.LBB147_3:                              ;   in Loop: Header=BB147_4 Depth=2
	s_andn2_b64 vcc, exec, s[14:15]
	s_cbranch_vccz .LBB147_1
.LBB147_4:                              ;   Parent Loop BB147_2 Depth=1
                                        ; =>  This Inner Loop Header: Depth=2
	s_min_i32 s16, s26, 32
	s_cmp_lt_u32 s29, 32
	s_cselect_b64 s[14:15], -1, 0
	s_cmp_gt_u32 s29, 31
	s_cselect_b64 vcc, -1, 0
	s_sub_i32 s16, s16, 32
	s_add_i32 s17, s16, s28
	s_lshl_b32 s17, -1, s17
	s_not_b32 s17, s17
	s_cmp_lg_u32 s16, s29
	s_cselect_b32 s31, s17, -1
	s_max_i32 s30, s28, 0
	s_max_i32 s16, s29, 32
	s_sub_i32 s33, s16, 32
	s_sub_i32 s16, s16, s30
	;; [unrolled: 1-line block ×3, first 2 shown]
	s_min_i32 s16, s16, 32
	s_sub_i32 s16, s16, s33
	s_lshl_b32 s17, -1, s16
	v_mov_b32_e32 v18, v2
	s_not_b32 s17, s17
	v_mov_b32_e32 v17, v1
	s_cmp_lg_u32 s16, 32
	s_cselect_b32 s34, s17, -1
	v_lshrrev_b32_e32 v2, s33, v17
	v_lshrrev_b32_e32 v1, s29, v18
	v_and_b32_e32 v2, s34, v2
	v_and_b32_e32 v1, s31, v1
	v_lshlrev_b32_e32 v2, s30, v2
	v_mov_b32_e32 v16, v4
	v_cndmask_b32_e64 v1, 0, v1, s[14:15]
	v_cndmask_b32_e32 v2, 0, v2, vcc
	v_mov_b32_e32 v15, v3
	v_or_b32_e32 v3, v1, v2
	v_and_b32_e32 v1, 1, v3
	v_add_co_u32_e64 v2, s[16:17], -1, v1
	v_addc_co_u32_e64 v4, s[16:17], 0, -1, s[16:17]
	v_cmp_ne_u32_e64 s[16:17], 0, v1
	v_lshlrev_b32_e32 v10, 30, v3
	v_xor_b32_e32 v1, s17, v4
	v_cmp_gt_i64_e64 s[18:19], 0, v[9:10]
	v_not_b32_e32 v4, v10
	v_mov_b32_e32 v14, v6
	v_ashrrev_i32_e32 v4, 31, v4
	v_xor_b32_e32 v2, s16, v2
	v_mov_b32_e32 v13, v5
	v_xor_b32_e32 v5, s19, v4
	v_and_b32_e32 v2, exec_lo, v2
	v_xor_b32_e32 v4, s18, v4
	v_lshlrev_b32_e32 v10, 29, v3
	v_and_b32_e32 v2, v2, v4
	v_cmp_gt_i64_e64 s[16:17], 0, v[9:10]
	v_not_b32_e32 v4, v10
	v_and_b32_e32 v1, exec_hi, v1
	v_ashrrev_i32_e32 v4, 31, v4
	v_and_b32_e32 v1, v1, v5
	v_xor_b32_e32 v5, s17, v4
	v_xor_b32_e32 v4, s16, v4
	v_lshlrev_b32_e32 v10, 28, v3
	v_and_b32_e32 v2, v2, v4
	v_cmp_gt_i64_e64 s[16:17], 0, v[9:10]
	v_not_b32_e32 v4, v10
	v_ashrrev_i32_e32 v4, 31, v4
	v_and_b32_e32 v1, v1, v5
	v_xor_b32_e32 v5, s17, v4
	v_xor_b32_e32 v4, s16, v4
	v_lshlrev_b32_e32 v10, 27, v3
	v_and_b32_e32 v2, v2, v4
	v_cmp_gt_i64_e64 s[16:17], 0, v[9:10]
	v_not_b32_e32 v4, v10
	;; [unrolled: 8-line block ×5, first 2 shown]
	v_ashrrev_i32_e32 v2, 31, v2
	v_and_b32_e32 v1, v1, v5
	v_xor_b32_e32 v5, s17, v2
	v_xor_b32_e32 v6, s16, v2
	v_and_b32_e32 v2, v1, v5
	v_and_b32_e32 v1, v4, v6
	v_lshl_add_u32 v5, v3, 2, v31
	v_mbcnt_lo_u32_b32 v3, v1, 0
	v_mbcnt_hi_u32_b32 v6, v2, v3
	v_cmp_ne_u64_e64 s[16:17], 0, v[1:2]
	v_mov_b32_e32 v12, v8
	v_mov_b32_e32 v19, v25
	v_mov_b32_e32 v21, v23
	v_cmp_eq_u32_e64 s[18:19], 0, v6
	v_mov_b32_e32 v11, v7
	v_mov_b32_e32 v20, v26
	;; [unrolled: 1-line block ×3, first 2 shown]
	s_and_b64 s[18:19], s[18:19], s[16:17]
	ds_write2_b32 v32, v9, v9 offset0:1 offset1:2
	ds_write2_b32 v32, v9, v9 offset0:3 offset1:4
	s_waitcnt lgkmcnt(0)
	; wave barrier
	; wave barrier
	s_and_saveexec_b64 s[16:17], s[18:19]
; %bb.5:                                ;   in Loop: Header=BB147_4 Depth=2
	v_bcnt_u32_b32 v1, v1, 0
	v_bcnt_u32_b32 v1, v2, v1
	ds_write_b32 v5, v1 offset:4
; %bb.6:                                ;   in Loop: Header=BB147_4 Depth=2
	s_or_b64 exec, exec, s[16:17]
	v_lshrrev_b32_e32 v2, s33, v15
	v_lshrrev_b32_e32 v1, s29, v16
	v_and_b32_e32 v2, s34, v2
	v_and_b32_e32 v1, s31, v1
	v_lshlrev_b32_e32 v2, s30, v2
	v_cndmask_b32_e64 v1, 0, v1, s[14:15]
	v_cndmask_b32_e32 v2, 0, v2, vcc
	v_or_b32_e32 v1, v1, v2
	v_and_b32_e32 v2, 1, v1
	v_add_co_u32_e64 v3, s[16:17], -1, v2
	v_addc_co_u32_e64 v4, s[16:17], 0, -1, s[16:17]
	v_cmp_ne_u32_e64 s[16:17], 0, v2
	v_lshlrev_b32_e32 v10, 30, v1
	v_xor_b32_e32 v2, s17, v4
	v_xor_b32_e32 v3, s16, v3
	v_cmp_gt_i64_e64 s[16:17], 0, v[9:10]
	v_not_b32_e32 v4, v10
	v_ashrrev_i32_e32 v4, 31, v4
	v_and_b32_e32 v2, exec_hi, v2
	v_xor_b32_e32 v10, s17, v4
	v_and_b32_e32 v3, exec_lo, v3
	v_xor_b32_e32 v4, s16, v4
	v_and_b32_e32 v2, v2, v10
	v_lshlrev_b32_e32 v10, 29, v1
	v_and_b32_e32 v3, v3, v4
	v_cmp_gt_i64_e64 s[16:17], 0, v[9:10]
	v_not_b32_e32 v4, v10
	v_ashrrev_i32_e32 v4, 31, v4
	v_xor_b32_e32 v10, s17, v4
	v_xor_b32_e32 v4, s16, v4
	v_and_b32_e32 v2, v2, v10
	v_lshlrev_b32_e32 v10, 28, v1
	v_and_b32_e32 v3, v3, v4
	v_cmp_gt_i64_e64 s[16:17], 0, v[9:10]
	v_not_b32_e32 v4, v10
	v_ashrrev_i32_e32 v4, 31, v4
	v_xor_b32_e32 v10, s17, v4
	;; [unrolled: 8-line block ×5, first 2 shown]
	v_and_b32_e32 v2, v2, v10
	v_lshlrev_b32_e32 v10, 24, v1
	v_lshl_add_u32 v8, v1, 2, v31
	v_xor_b32_e32 v4, s16, v4
	v_cmp_gt_i64_e64 s[16:17], 0, v[9:10]
	v_not_b32_e32 v1, v10
	v_ashrrev_i32_e32 v1, 31, v1
	v_and_b32_e32 v3, v3, v4
	v_xor_b32_e32 v4, s17, v1
	v_xor_b32_e32 v1, s16, v1
	; wave barrier
	ds_read_b32 v7, v8 offset:4
	v_and_b32_e32 v1, v3, v1
	v_and_b32_e32 v2, v2, v4
	v_mbcnt_lo_u32_b32 v3, v1, 0
	v_mbcnt_hi_u32_b32 v23, v2, v3
	v_cmp_ne_u64_e64 s[16:17], 0, v[1:2]
	v_cmp_eq_u32_e64 s[18:19], 0, v23
	s_and_b64 s[18:19], s[18:19], s[16:17]
	; wave barrier
	s_and_saveexec_b64 s[16:17], s[18:19]
	s_cbranch_execz .LBB147_8
; %bb.7:                                ;   in Loop: Header=BB147_4 Depth=2
	v_bcnt_u32_b32 v1, v1, 0
	v_bcnt_u32_b32 v1, v2, v1
	s_waitcnt lgkmcnt(0)
	v_add_u32_e32 v1, v7, v1
	ds_write_b32 v8, v1 offset:4
.LBB147_8:                              ;   in Loop: Header=BB147_4 Depth=2
	s_or_b64 exec, exec, s[16:17]
	v_lshrrev_b32_e32 v2, s33, v21
	v_lshrrev_b32_e32 v1, s29, v22
	v_and_b32_e32 v2, s34, v2
	v_and_b32_e32 v1, s31, v1
	v_lshlrev_b32_e32 v2, s30, v2
	v_cndmask_b32_e64 v1, 0, v1, s[14:15]
	v_cndmask_b32_e32 v2, 0, v2, vcc
	v_or_b32_e32 v1, v1, v2
	v_and_b32_e32 v2, 1, v1
	v_add_co_u32_e32 v3, vcc, -1, v2
	v_addc_co_u32_e64 v4, s[14:15], 0, -1, vcc
	v_cmp_ne_u32_e32 vcc, 0, v2
	v_lshlrev_b32_e32 v10, 30, v1
	v_xor_b32_e32 v2, vcc_hi, v4
	v_xor_b32_e32 v3, vcc_lo, v3
	v_cmp_gt_i64_e32 vcc, 0, v[9:10]
	v_not_b32_e32 v4, v10
	v_ashrrev_i32_e32 v4, 31, v4
	v_and_b32_e32 v2, exec_hi, v2
	v_xor_b32_e32 v10, vcc_hi, v4
	v_and_b32_e32 v3, exec_lo, v3
	v_xor_b32_e32 v4, vcc_lo, v4
	v_and_b32_e32 v2, v2, v10
	v_lshlrev_b32_e32 v10, 29, v1
	v_and_b32_e32 v3, v3, v4
	v_cmp_gt_i64_e32 vcc, 0, v[9:10]
	v_not_b32_e32 v4, v10
	v_ashrrev_i32_e32 v4, 31, v4
	v_xor_b32_e32 v10, vcc_hi, v4
	v_xor_b32_e32 v4, vcc_lo, v4
	v_and_b32_e32 v2, v2, v10
	v_lshlrev_b32_e32 v10, 28, v1
	v_and_b32_e32 v3, v3, v4
	v_cmp_gt_i64_e32 vcc, 0, v[9:10]
	v_not_b32_e32 v4, v10
	v_ashrrev_i32_e32 v4, 31, v4
	v_xor_b32_e32 v10, vcc_hi, v4
	;; [unrolled: 8-line block ×5, first 2 shown]
	v_and_b32_e32 v2, v2, v10
	v_lshlrev_b32_e32 v10, 24, v1
	v_lshl_add_u32 v25, v1, 2, v31
	v_xor_b32_e32 v4, vcc_lo, v4
	v_cmp_gt_i64_e32 vcc, 0, v[9:10]
	v_not_b32_e32 v1, v10
	v_ashrrev_i32_e32 v1, 31, v1
	v_and_b32_e32 v3, v3, v4
	v_xor_b32_e32 v4, vcc_hi, v1
	v_xor_b32_e32 v1, vcc_lo, v1
	; wave barrier
	ds_read_b32 v24, v25 offset:4
	v_and_b32_e32 v1, v3, v1
	v_and_b32_e32 v2, v2, v4
	v_mbcnt_lo_u32_b32 v3, v1, 0
	v_mbcnt_hi_u32_b32 v26, v2, v3
	v_cmp_ne_u64_e32 vcc, 0, v[1:2]
	v_cmp_eq_u32_e64 s[14:15], 0, v26
	s_and_b64 s[16:17], s[14:15], vcc
	; wave barrier
	s_and_saveexec_b64 s[14:15], s[16:17]
	s_cbranch_execz .LBB147_10
; %bb.9:                                ;   in Loop: Header=BB147_4 Depth=2
	v_bcnt_u32_b32 v1, v1, 0
	v_bcnt_u32_b32 v1, v2, v1
	s_waitcnt lgkmcnt(0)
	v_add_u32_e32 v1, v24, v1
	ds_write_b32 v25, v1 offset:4
.LBB147_10:                             ;   in Loop: Header=BB147_4 Depth=2
	s_or_b64 exec, exec, s[14:15]
	; wave barrier
	s_waitcnt lgkmcnt(0)
	; wave barrier
	ds_read2_b32 v[3:4], v32 offset0:1 offset1:2
	ds_read2_b32 v[1:2], v32 offset0:3 offset1:4
	s_waitcnt lgkmcnt(1)
	v_add_u32_e32 v10, v4, v3
	s_waitcnt lgkmcnt(0)
	v_add3_u32 v2, v10, v1, v2
	s_nop 1
	v_mov_b32_dpp v10, v2 row_shr:1 row_mask:0xf bank_mask:0xf
	v_cndmask_b32_e64 v10, v10, 0, s[4:5]
	v_add_u32_e32 v2, v10, v2
	s_nop 1
	v_mov_b32_dpp v10, v2 row_shr:2 row_mask:0xf bank_mask:0xf
	v_cndmask_b32_e64 v10, 0, v10, s[6:7]
	v_add_u32_e32 v2, v2, v10
	;; [unrolled: 4-line block ×4, first 2 shown]
	s_nop 1
	v_mov_b32_dpp v10, v2 row_bcast:15 row_mask:0xf bank_mask:0xf
	v_cndmask_b32_e64 v10, v10, 0, s[12:13]
	v_add_u32_e32 v2, v2, v10
	s_nop 1
	v_mov_b32_dpp v10, v2 row_bcast:31 row_mask:0xf bank_mask:0xf
	v_cndmask_b32_e64 v10, 0, v10, s[2:3]
	v_add_u32_e32 v2, v2, v10
	s_and_saveexec_b64 s[14:15], s[0:1]
; %bb.11:                               ;   in Loop: Header=BB147_4 Depth=2
	ds_write_b32 v9, v2
; %bb.12:                               ;   in Loop: Header=BB147_4 Depth=2
	s_or_b64 exec, exec, s[14:15]
	ds_bpermute_b32 v2, v30, v2
	s_waitcnt lgkmcnt(0)
	; wave barrier
	s_cmp_gt_u32 s29, 55
	s_mov_b64 s[14:15], -1
	v_cndmask_b32_e64 v2, v2, 0, s[20:21]
	v_add_u32_e32 v3, v2, v3
	v_add_u32_e32 v4, v3, v4
	;; [unrolled: 1-line block ×3, first 2 shown]
	ds_write2_b32 v32, v2, v3 offset0:1 offset1:2
	ds_write2_b32 v32, v4, v1 offset0:3 offset1:4
	s_waitcnt lgkmcnt(0)
	; wave barrier
	ds_read_b32 v1, v5 offset:4
	ds_read_b32 v2, v8 offset:4
	;; [unrolled: 1-line block ×3, first 2 shown]
	v_lshlrev_b32_e32 v4, 3, v6
	s_waitcnt lgkmcnt(0)
	v_lshl_add_u32 v10, v1, 3, v4
	v_lshlrev_b32_e32 v1, 3, v23
	v_lshlrev_b32_e32 v4, 3, v7
	;; [unrolled: 1-line block ×3, first 2 shown]
	v_add3_u32 v33, v1, v4, v2
	v_lshlrev_b32_e32 v1, 3, v26
	v_lshlrev_b32_e32 v2, 3, v24
	;; [unrolled: 1-line block ×3, first 2 shown]
	v_add3_u32 v34, v1, v2, v3
                                        ; implicit-def: $vgpr5_vgpr6
                                        ; implicit-def: $vgpr25_vgpr26
                                        ; implicit-def: $vgpr1_vgpr2
                                        ; implicit-def: $vgpr23_vgpr24
	s_cbranch_scc1 .LBB147_3
; %bb.13:                               ;   in Loop: Header=BB147_4 Depth=2
	; wave barrier
	ds_write_b64 v10, v[17:18]
	ds_write_b64 v33, v[15:16]
	;; [unrolled: 1-line block ×3, first 2 shown]
	s_waitcnt lgkmcnt(0)
	; wave barrier
	ds_read2st64_b64 v[1:4], v29 offset1:1
	ds_read_b64 v[23:24], v29 offset:1024
	s_waitcnt lgkmcnt(0)
	; wave barrier
	ds_write_b64 v10, v[13:14]
	ds_write_b64 v33, v[11:12]
	;; [unrolled: 1-line block ×3, first 2 shown]
	s_waitcnt lgkmcnt(0)
	; wave barrier
	ds_read2st64_b64 v[5:8], v29 offset1:1
	ds_read_b64 v[25:26], v29 offset:1024
	s_add_i32 s28, s28, -8
	s_add_i32 s26, s26, 8
	s_add_i32 s29, s29, 8
	s_mov_b64 s[14:15], 0
	s_waitcnt lgkmcnt(0)
	; wave barrier
	s_branch .LBB147_3
.LBB147_14:
	s_add_u32 s0, s22, s24
	s_waitcnt lgkmcnt(1)
	v_add_u32_e32 v1, v3, v5
	v_add_u32_e32 v2, v4, v6
	s_addc_u32 s1, s23, s25
	v_lshlrev_b32_e32 v0, 3, v0
	v_add_u32_e32 v3, v10, v7
	v_add_u32_e32 v4, v11, v8
	s_waitcnt lgkmcnt(0)
	v_add_u32_e32 v5, v12, v14
	v_add_u32_e32 v6, v13, v15
	global_store_dwordx2 v0, v[1:2], s[0:1]
	global_store_dwordx2 v0, v[3:4], s[0:1] offset:512
	global_store_dwordx2 v0, v[5:6], s[0:1] offset:1024
	s_endpgm
	.section	.rodata,"a",@progbits
	.p2align	6, 0x0
	.amdhsa_kernel _Z17sort_pairs_kernelI22helper_blocked_blockedN15benchmark_utils11custom_typeIiiEELj64ELj3ELj10EEvPKT0_PS4_
		.amdhsa_group_segment_fixed_size 1536
		.amdhsa_private_segment_fixed_size 0
		.amdhsa_kernarg_size 272
		.amdhsa_user_sgpr_count 6
		.amdhsa_user_sgpr_private_segment_buffer 1
		.amdhsa_user_sgpr_dispatch_ptr 0
		.amdhsa_user_sgpr_queue_ptr 0
		.amdhsa_user_sgpr_kernarg_segment_ptr 1
		.amdhsa_user_sgpr_dispatch_id 0
		.amdhsa_user_sgpr_flat_scratch_init 0
		.amdhsa_user_sgpr_private_segment_size 0
		.amdhsa_uses_dynamic_stack 0
		.amdhsa_system_sgpr_private_segment_wavefront_offset 0
		.amdhsa_system_sgpr_workgroup_id_x 1
		.amdhsa_system_sgpr_workgroup_id_y 0
		.amdhsa_system_sgpr_workgroup_id_z 0
		.amdhsa_system_sgpr_workgroup_info 0
		.amdhsa_system_vgpr_workitem_id 2
		.amdhsa_next_free_vgpr 35
		.amdhsa_next_free_sgpr 35
		.amdhsa_reserve_vcc 1
		.amdhsa_reserve_flat_scratch 0
		.amdhsa_float_round_mode_32 0
		.amdhsa_float_round_mode_16_64 0
		.amdhsa_float_denorm_mode_32 3
		.amdhsa_float_denorm_mode_16_64 3
		.amdhsa_dx10_clamp 1
		.amdhsa_ieee_mode 1
		.amdhsa_fp16_overflow 0
		.amdhsa_exception_fp_ieee_invalid_op 0
		.amdhsa_exception_fp_denorm_src 0
		.amdhsa_exception_fp_ieee_div_zero 0
		.amdhsa_exception_fp_ieee_overflow 0
		.amdhsa_exception_fp_ieee_underflow 0
		.amdhsa_exception_fp_ieee_inexact 0
		.amdhsa_exception_int_div_zero 0
	.end_amdhsa_kernel
	.section	.text._Z17sort_pairs_kernelI22helper_blocked_blockedN15benchmark_utils11custom_typeIiiEELj64ELj3ELj10EEvPKT0_PS4_,"axG",@progbits,_Z17sort_pairs_kernelI22helper_blocked_blockedN15benchmark_utils11custom_typeIiiEELj64ELj3ELj10EEvPKT0_PS4_,comdat
.Lfunc_end147:
	.size	_Z17sort_pairs_kernelI22helper_blocked_blockedN15benchmark_utils11custom_typeIiiEELj64ELj3ELj10EEvPKT0_PS4_, .Lfunc_end147-_Z17sort_pairs_kernelI22helper_blocked_blockedN15benchmark_utils11custom_typeIiiEELj64ELj3ELj10EEvPKT0_PS4_
                                        ; -- End function
	.set _Z17sort_pairs_kernelI22helper_blocked_blockedN15benchmark_utils11custom_typeIiiEELj64ELj3ELj10EEvPKT0_PS4_.num_vgpr, 35
	.set _Z17sort_pairs_kernelI22helper_blocked_blockedN15benchmark_utils11custom_typeIiiEELj64ELj3ELj10EEvPKT0_PS4_.num_agpr, 0
	.set _Z17sort_pairs_kernelI22helper_blocked_blockedN15benchmark_utils11custom_typeIiiEELj64ELj3ELj10EEvPKT0_PS4_.numbered_sgpr, 35
	.set _Z17sort_pairs_kernelI22helper_blocked_blockedN15benchmark_utils11custom_typeIiiEELj64ELj3ELj10EEvPKT0_PS4_.num_named_barrier, 0
	.set _Z17sort_pairs_kernelI22helper_blocked_blockedN15benchmark_utils11custom_typeIiiEELj64ELj3ELj10EEvPKT0_PS4_.private_seg_size, 0
	.set _Z17sort_pairs_kernelI22helper_blocked_blockedN15benchmark_utils11custom_typeIiiEELj64ELj3ELj10EEvPKT0_PS4_.uses_vcc, 1
	.set _Z17sort_pairs_kernelI22helper_blocked_blockedN15benchmark_utils11custom_typeIiiEELj64ELj3ELj10EEvPKT0_PS4_.uses_flat_scratch, 0
	.set _Z17sort_pairs_kernelI22helper_blocked_blockedN15benchmark_utils11custom_typeIiiEELj64ELj3ELj10EEvPKT0_PS4_.has_dyn_sized_stack, 0
	.set _Z17sort_pairs_kernelI22helper_blocked_blockedN15benchmark_utils11custom_typeIiiEELj64ELj3ELj10EEvPKT0_PS4_.has_recursion, 0
	.set _Z17sort_pairs_kernelI22helper_blocked_blockedN15benchmark_utils11custom_typeIiiEELj64ELj3ELj10EEvPKT0_PS4_.has_indirect_call, 0
	.section	.AMDGPU.csdata,"",@progbits
; Kernel info:
; codeLenInByte = 2504
; TotalNumSgprs: 39
; NumVgprs: 35
; ScratchSize: 0
; MemoryBound: 0
; FloatMode: 240
; IeeeMode: 1
; LDSByteSize: 1536 bytes/workgroup (compile time only)
; SGPRBlocks: 4
; VGPRBlocks: 8
; NumSGPRsForWavesPerEU: 39
; NumVGPRsForWavesPerEU: 35
; Occupancy: 7
; WaveLimiterHint : 1
; COMPUTE_PGM_RSRC2:SCRATCH_EN: 0
; COMPUTE_PGM_RSRC2:USER_SGPR: 6
; COMPUTE_PGM_RSRC2:TRAP_HANDLER: 0
; COMPUTE_PGM_RSRC2:TGID_X_EN: 1
; COMPUTE_PGM_RSRC2:TGID_Y_EN: 0
; COMPUTE_PGM_RSRC2:TGID_Z_EN: 0
; COMPUTE_PGM_RSRC2:TIDIG_COMP_CNT: 2
	.section	.text._Z16sort_keys_kernelI22helper_blocked_blockedN15benchmark_utils11custom_typeIiiEELj64ELj4ELj10EEvPKT0_PS4_,"axG",@progbits,_Z16sort_keys_kernelI22helper_blocked_blockedN15benchmark_utils11custom_typeIiiEELj64ELj4ELj10EEvPKT0_PS4_,comdat
	.protected	_Z16sort_keys_kernelI22helper_blocked_blockedN15benchmark_utils11custom_typeIiiEELj64ELj4ELj10EEvPKT0_PS4_ ; -- Begin function _Z16sort_keys_kernelI22helper_blocked_blockedN15benchmark_utils11custom_typeIiiEELj64ELj4ELj10EEvPKT0_PS4_
	.globl	_Z16sort_keys_kernelI22helper_blocked_blockedN15benchmark_utils11custom_typeIiiEELj64ELj4ELj10EEvPKT0_PS4_
	.p2align	8
	.type	_Z16sort_keys_kernelI22helper_blocked_blockedN15benchmark_utils11custom_typeIiiEELj64ELj4ELj10EEvPKT0_PS4_,@function
_Z16sort_keys_kernelI22helper_blocked_blockedN15benchmark_utils11custom_typeIiiEELj64ELj4ELj10EEvPKT0_PS4_: ; @_Z16sort_keys_kernelI22helper_blocked_blockedN15benchmark_utils11custom_typeIiiEELj64ELj4ELj10EEvPKT0_PS4_
; %bb.0:
	s_load_dwordx4 s[28:31], s[4:5], 0x0
	s_load_dword s8, s[4:5], 0x1c
	s_lshl_b32 s34, s6, 8
	s_mov_b32 s35, 0
	s_lshl_b64 s[36:37], s[34:35], 3
	s_waitcnt lgkmcnt(0)
	s_add_u32 s0, s28, s36
	s_addc_u32 s1, s29, s37
	v_lshlrev_b32_e32 v9, 3, v0
	global_load_dwordx2 v[3:4], v9, s[0:1]
	global_load_dwordx2 v[10:11], v9, s[0:1] offset:512
	global_load_dwordx2 v[5:6], v9, s[0:1] offset:1024
	;; [unrolled: 1-line block ×3, first 2 shown]
	v_mbcnt_lo_u32_b32 v12, -1, 0
	v_mbcnt_hi_u32_b32 v12, -1, v12
	s_lshr_b32 s9, s8, 16
	s_and_b32 s8, s8, 0xffff
	v_mad_u32_u24 v1, v2, s9, v1
	v_and_b32_e32 v2, 15, v12
	v_mad_u32_u24 v1, v1, s8, v0
	v_cmp_eq_u32_e64 s[8:9], 0, v2
	v_cmp_lt_u32_e64 s[10:11], 1, v2
	v_cmp_lt_u32_e64 s[12:13], 3, v2
	;; [unrolled: 1-line block ×3, first 2 shown]
	v_and_b32_e32 v2, 16, v12
	v_lshrrev_b32_e32 v13, 2, v12
	v_and_b32_e32 v15, 64, v12
	v_cmp_eq_u32_e64 s[16:17], 0, v2
	v_subrev_co_u32_e32 v2, vcc, 1, v12
	v_or_b32_e32 v16, v13, v15
	v_add_u32_e32 v13, 48, v13
	v_cmp_lt_i32_e64 s[22:23], v2, v15
	v_and_b32_e32 v14, 3, v12
	v_lshlrev_b32_e32 v19, 2, v16
	v_and_or_b32 v13, v13, 63, v15
	v_lshlrev_b32_e32 v23, 4, v0
	v_cndmask_b32_e64 v2, v2, v12, s[22:23]
	v_cmp_eq_u32_e64 s[22:23], 0, v0
	v_lshrrev_b32_e32 v1, 4, v1
	v_mov_b32_e32 v9, 0
	v_cmp_eq_u32_e64 s[0:1], 0, v14
	v_cmp_eq_u32_e64 s[2:3], 1, v14
	;; [unrolled: 1-line block ×4, first 2 shown]
	v_add_u32_e32 v20, 64, v19
	v_or_b32_e32 v21, 0x80, v19
	v_lshlrev_b32_e32 v22, 2, v13
	v_cmp_lt_u32_e64 s[18:19], 31, v12
	v_cmp_eq_u32_e64 s[20:21], 63, v0
	v_lshlrev_b32_e32 v24, 2, v2
	s_or_b64 s[28:29], s[22:23], vcc
	v_lshlrev_b32_e32 v25, 3, v12
	v_and_b32_e32 v26, 0xffffffc, v1
	v_add_u32_e32 v27, v23, v23
	s_branch .LBB148_2
.LBB148_1:                              ;   in Loop: Header=BB148_2 Depth=1
	; wave barrier
	ds_write_b64 v30, v[17:18]
	ds_write_b64 v28, v[15:16]
	;; [unrolled: 1-line block ×4, first 2 shown]
	s_waitcnt lgkmcnt(0)
	; wave barrier
	ds_read2_b64 v[3:6], v27 offset1:1
	ds_read2_b64 v[12:15], v27 offset0:2 offset1:3
	s_add_i32 s35, s35, 1
	s_cmp_eq_u32 s35, 10
	s_waitcnt lgkmcnt(1)
	v_xor_b32_e32 v3, 0x80000000, v3
	v_xor_b32_e32 v4, 0x80000000, v4
	;; [unrolled: 1-line block ×4, first 2 shown]
	s_waitcnt lgkmcnt(0)
	v_xor_b32_e32 v5, 0x80000000, v12
	v_xor_b32_e32 v6, 0x80000000, v13
	;; [unrolled: 1-line block ×4, first 2 shown]
	s_cbranch_scc1 .LBB148_16
.LBB148_2:                              ; =>This Loop Header: Depth=1
                                        ;     Child Loop BB148_4 Depth 2
	s_waitcnt vmcnt(3)
	v_xor_b32_e32 v13, 0x80000000, v4
	s_waitcnt vmcnt(2)
	v_xor_b32_e32 v11, 0x80000000, v11
	ds_bpermute_b32 v1, v19, v13
	v_xor_b32_e32 v12, 0x80000000, v3
	s_waitcnt vmcnt(1)
	v_xor_b32_e32 v15, 0x80000000, v6
	ds_bpermute_b32 v3, v19, v11
	v_xor_b32_e32 v14, 0x80000000, v5
	ds_bpermute_b32 v5, v19, v15
	;; [unrolled: 2-line block ×3, first 2 shown]
	s_waitcnt lgkmcnt(3)
	v_cndmask_b32_e64 v1, 0, v1, s[0:1]
	ds_bpermute_b32 v4, v19, v10
	s_waitcnt vmcnt(0)
	v_xor_b32_e32 v7, 0x80000000, v7
	v_xor_b32_e32 v8, 0x80000000, v8
	ds_bpermute_b32 v6, v19, v14
	s_waitcnt lgkmcnt(4)
	v_cndmask_b32_e64 v1, v1, v3, s[2:3]
	ds_bpermute_b32 v3, v19, v8
	s_waitcnt lgkmcnt(4)
	v_cndmask_b32_e64 v1, v1, v5, s[4:5]
	;; [unrolled: 3-line block ×3, first 2 shown]
	s_waitcnt lgkmcnt(3)
	v_cndmask_b32_e64 v2, v2, v4, s[2:3]
	s_waitcnt lgkmcnt(2)
	v_cndmask_b32_e64 v4, v2, v6, s[4:5]
	ds_bpermute_b32 v6, v20, v12
	s_waitcnt lgkmcnt(2)
	v_cndmask_b32_e64 v2, v1, v3, s[6:7]
	ds_bpermute_b32 v3, v20, v13
	;; [unrolled: 3-line block ×3, first 2 shown]
	ds_bpermute_b32 v16, v20, v11
	s_waitcnt lgkmcnt(3)
	v_cndmask_b32_e64 v5, 0, v6, s[0:1]
	s_waitcnt lgkmcnt(2)
	v_cndmask_b32_e64 v3, 0, v3, s[0:1]
	ds_bpermute_b32 v6, v20, v15
	s_waitcnt lgkmcnt(2)
	v_cndmask_b32_e64 v4, v5, v4, s[2:3]
	ds_bpermute_b32 v5, v20, v14
	;; [unrolled: 3-line block ×3, first 2 shown]
	ds_bpermute_b32 v17, v20, v7
	s_waitcnt lgkmcnt(3)
	v_cndmask_b32_e64 v3, v3, v6, s[4:5]
	ds_bpermute_b32 v6, v21, v13
	s_waitcnt lgkmcnt(3)
	v_cndmask_b32_e64 v5, v4, v5, s[4:5]
	;; [unrolled: 3-line block ×3, first 2 shown]
	s_waitcnt lgkmcnt(2)
	v_cndmask_b32_e64 v3, v5, v17, s[6:7]
	ds_bpermute_b32 v5, v21, v12
	ds_bpermute_b32 v16, v21, v11
	;; [unrolled: 1-line block ×5, first 2 shown]
	s_waitcnt lgkmcnt(5)
	v_cndmask_b32_e64 v13, 0, v13, s[0:1]
	ds_bpermute_b32 v10, v22, v10
	v_cndmask_b32_e64 v6, 0, v6, s[0:1]
	ds_bpermute_b32 v18, v21, v15
	s_waitcnt lgkmcnt(6)
	v_cndmask_b32_e64 v5, 0, v5, s[0:1]
	ds_bpermute_b32 v28, v21, v14
	s_waitcnt lgkmcnt(5)
	v_cndmask_b32_e64 v11, v13, v11, s[2:3]
	ds_bpermute_b32 v13, v22, v15
	ds_bpermute_b32 v14, v22, v14
	v_cndmask_b32_e64 v6, v6, v16, s[2:3]
	s_waitcnt lgkmcnt(6)
	v_cndmask_b32_e64 v5, v5, v17, s[2:3]
	ds_bpermute_b32 v16, v21, v8
	ds_bpermute_b32 v17, v21, v7
	;; [unrolled: 1-line block ×4, first 2 shown]
	s_waitcnt lgkmcnt(9)
	v_cndmask_b32_e64 v12, 0, v12, s[0:1]
	s_waitcnt lgkmcnt(8)
	v_cndmask_b32_e64 v10, v12, v10, s[2:3]
	;; [unrolled: 2-line block ×10, first 2 shown]
	s_mov_b32 s33, 8
	s_mov_b32 s34, 32
	s_mov_b32 s38, 0
	; wave barrier
	s_branch .LBB148_4
.LBB148_3:                              ;   in Loop: Header=BB148_4 Depth=2
	s_andn2_b64 vcc, exec, s[22:23]
	s_cbranch_vccz .LBB148_1
.LBB148_4:                              ;   Parent Loop BB148_2 Depth=1
                                        ; =>  This Inner Loop Header: Depth=2
	s_min_i32 s24, s33, 32
	s_cmp_lt_u32 s38, 32
	s_cselect_b64 s[22:23], -1, 0
	s_cmp_gt_u32 s38, 31
	s_cselect_b64 vcc, -1, 0
	s_sub_i32 s24, s24, 32
	s_add_i32 s25, s24, s34
	s_lshl_b32 s25, -1, s25
	s_not_b32 s25, s25
	s_cmp_lg_u32 s24, s38
	s_cselect_b32 s40, s25, -1
	s_max_i32 s39, s34, 0
	s_max_i32 s24, s38, 32
	s_sub_i32 s41, s24, 32
	s_sub_i32 s24, s24, s39
	;; [unrolled: 1-line block ×3, first 2 shown]
	s_min_i32 s24, s24, 32
	s_sub_i32 s24, s24, s41
	s_lshl_b32 s25, -1, s24
	v_mov_b32_e32 v18, v2
	s_not_b32 s25, s25
	v_mov_b32_e32 v17, v1
	s_cmp_lg_u32 s24, 32
	s_cselect_b32 s42, s25, -1
	v_lshrrev_b32_e32 v2, s41, v17
	v_lshrrev_b32_e32 v1, s38, v18
	v_and_b32_e32 v2, s42, v2
	v_and_b32_e32 v1, s40, v1
	v_lshlrev_b32_e32 v2, s39, v2
	v_cndmask_b32_e64 v1, 0, v1, s[22:23]
	v_cndmask_b32_e32 v2, 0, v2, vcc
	v_or_b32_e32 v1, v1, v2
	v_mov_b32_e32 v16, v4
	v_and_b32_e32 v2, 1, v1
	v_mov_b32_e32 v15, v3
	v_add_co_u32_e64 v3, s[24:25], -1, v2
	v_addc_co_u32_e64 v4, s[24:25], 0, -1, s[24:25]
	v_cmp_ne_u32_e64 s[24:25], 0, v2
	v_lshlrev_b32_e32 v10, 30, v1
	v_xor_b32_e32 v2, s25, v4
	v_xor_b32_e32 v3, s24, v3
	v_cmp_gt_i64_e64 s[24:25], 0, v[9:10]
	v_not_b32_e32 v4, v10
	v_mov_b32_e32 v14, v6
	v_ashrrev_i32_e32 v4, 31, v4
	v_mov_b32_e32 v13, v5
	v_and_b32_e32 v3, exec_lo, v3
	v_xor_b32_e32 v6, s25, v4
	v_xor_b32_e32 v4, s24, v4
	v_lshlrev_b32_e32 v10, 29, v1
	v_and_b32_e32 v3, v3, v4
	v_cmp_gt_i64_e64 s[24:25], 0, v[9:10]
	v_not_b32_e32 v4, v10
	v_and_b32_e32 v2, exec_hi, v2
	v_ashrrev_i32_e32 v4, 31, v4
	v_and_b32_e32 v2, v2, v6
	v_xor_b32_e32 v6, s25, v4
	v_xor_b32_e32 v4, s24, v4
	v_lshlrev_b32_e32 v10, 28, v1
	v_and_b32_e32 v3, v3, v4
	v_cmp_gt_i64_e64 s[24:25], 0, v[9:10]
	v_not_b32_e32 v4, v10
	v_ashrrev_i32_e32 v4, 31, v4
	v_and_b32_e32 v2, v2, v6
	v_xor_b32_e32 v6, s25, v4
	v_xor_b32_e32 v4, s24, v4
	v_lshlrev_b32_e32 v10, 27, v1
	v_and_b32_e32 v3, v3, v4
	v_cmp_gt_i64_e64 s[24:25], 0, v[9:10]
	v_not_b32_e32 v4, v10
	;; [unrolled: 8-line block ×4, first 2 shown]
	v_ashrrev_i32_e32 v4, 31, v4
	v_lshlrev_b32_e32 v10, 24, v1
	v_lshl_add_u32 v5, v1, 2, v26
	v_and_b32_e32 v2, v2, v6
	v_xor_b32_e32 v6, s25, v4
	v_xor_b32_e32 v4, s24, v4
	v_cmp_gt_i64_e64 s[24:25], 0, v[9:10]
	v_not_b32_e32 v1, v10
	v_ashrrev_i32_e32 v1, 31, v1
	v_and_b32_e32 v3, v3, v4
	v_xor_b32_e32 v4, s25, v1
	v_xor_b32_e32 v1, s24, v1
	v_and_b32_e32 v2, v2, v6
	v_and_b32_e32 v1, v3, v1
	;; [unrolled: 1-line block ×3, first 2 shown]
	v_mbcnt_lo_u32_b32 v3, v1, 0
	v_mbcnt_hi_u32_b32 v6, v2, v3
	v_cmp_ne_u64_e64 s[24:25], 0, v[1:2]
	v_mov_b32_e32 v12, v8
	v_cmp_eq_u32_e64 s[26:27], 0, v6
	v_mov_b32_e32 v11, v7
	s_and_b64 s[26:27], s[26:27], s[24:25]
	ds_write2_b32 v23, v9, v9 offset0:1 offset1:2
	ds_write2_b32 v23, v9, v9 offset0:3 offset1:4
	s_waitcnt lgkmcnt(0)
	; wave barrier
	; wave barrier
	s_and_saveexec_b64 s[24:25], s[26:27]
; %bb.5:                                ;   in Loop: Header=BB148_4 Depth=2
	v_bcnt_u32_b32 v1, v1, 0
	v_bcnt_u32_b32 v1, v2, v1
	ds_write_b32 v5, v1 offset:4
; %bb.6:                                ;   in Loop: Header=BB148_4 Depth=2
	s_or_b64 exec, exec, s[24:25]
	v_lshrrev_b32_e32 v2, s41, v15
	v_lshrrev_b32_e32 v1, s38, v16
	v_and_b32_e32 v2, s42, v2
	v_and_b32_e32 v1, s40, v1
	v_lshlrev_b32_e32 v2, s39, v2
	v_cndmask_b32_e64 v1, 0, v1, s[22:23]
	v_cndmask_b32_e32 v2, 0, v2, vcc
	v_or_b32_e32 v1, v1, v2
	v_and_b32_e32 v2, 1, v1
	v_add_co_u32_e64 v3, s[24:25], -1, v2
	v_addc_co_u32_e64 v4, s[24:25], 0, -1, s[24:25]
	v_cmp_ne_u32_e64 s[24:25], 0, v2
	v_lshlrev_b32_e32 v10, 30, v1
	v_xor_b32_e32 v2, s25, v4
	v_xor_b32_e32 v3, s24, v3
	v_cmp_gt_i64_e64 s[24:25], 0, v[9:10]
	v_not_b32_e32 v4, v10
	v_ashrrev_i32_e32 v4, 31, v4
	v_and_b32_e32 v2, exec_hi, v2
	v_xor_b32_e32 v10, s25, v4
	v_and_b32_e32 v3, exec_lo, v3
	v_xor_b32_e32 v4, s24, v4
	v_and_b32_e32 v2, v2, v10
	v_lshlrev_b32_e32 v10, 29, v1
	v_and_b32_e32 v3, v3, v4
	v_cmp_gt_i64_e64 s[24:25], 0, v[9:10]
	v_not_b32_e32 v4, v10
	v_ashrrev_i32_e32 v4, 31, v4
	v_xor_b32_e32 v10, s25, v4
	v_xor_b32_e32 v4, s24, v4
	v_and_b32_e32 v2, v2, v10
	v_lshlrev_b32_e32 v10, 28, v1
	v_and_b32_e32 v3, v3, v4
	v_cmp_gt_i64_e64 s[24:25], 0, v[9:10]
	v_not_b32_e32 v4, v10
	v_ashrrev_i32_e32 v4, 31, v4
	v_xor_b32_e32 v10, s25, v4
	;; [unrolled: 8-line block ×5, first 2 shown]
	v_and_b32_e32 v2, v2, v10
	v_lshlrev_b32_e32 v10, 24, v1
	v_lshl_add_u32 v8, v1, 2, v26
	v_xor_b32_e32 v4, s24, v4
	v_cmp_gt_i64_e64 s[24:25], 0, v[9:10]
	v_not_b32_e32 v1, v10
	v_ashrrev_i32_e32 v1, 31, v1
	v_and_b32_e32 v3, v3, v4
	v_xor_b32_e32 v4, s25, v1
	v_xor_b32_e32 v1, s24, v1
	; wave barrier
	ds_read_b32 v7, v8 offset:4
	v_and_b32_e32 v1, v3, v1
	v_and_b32_e32 v2, v2, v4
	v_mbcnt_lo_u32_b32 v3, v1, 0
	v_mbcnt_hi_u32_b32 v28, v2, v3
	v_cmp_ne_u64_e64 s[24:25], 0, v[1:2]
	v_cmp_eq_u32_e64 s[26:27], 0, v28
	s_and_b64 s[26:27], s[26:27], s[24:25]
	; wave barrier
	s_and_saveexec_b64 s[24:25], s[26:27]
	s_cbranch_execz .LBB148_8
; %bb.7:                                ;   in Loop: Header=BB148_4 Depth=2
	v_bcnt_u32_b32 v1, v1, 0
	v_bcnt_u32_b32 v1, v2, v1
	s_waitcnt lgkmcnt(0)
	v_add_u32_e32 v1, v7, v1
	ds_write_b32 v8, v1 offset:4
.LBB148_8:                              ;   in Loop: Header=BB148_4 Depth=2
	s_or_b64 exec, exec, s[24:25]
	v_lshrrev_b32_e32 v2, s41, v13
	v_lshrrev_b32_e32 v1, s38, v14
	v_and_b32_e32 v2, s42, v2
	v_and_b32_e32 v1, s40, v1
	v_lshlrev_b32_e32 v2, s39, v2
	v_cndmask_b32_e64 v1, 0, v1, s[22:23]
	v_cndmask_b32_e32 v2, 0, v2, vcc
	v_or_b32_e32 v1, v1, v2
	v_and_b32_e32 v2, 1, v1
	v_add_co_u32_e64 v3, s[24:25], -1, v2
	v_addc_co_u32_e64 v4, s[24:25], 0, -1, s[24:25]
	v_cmp_ne_u32_e64 s[24:25], 0, v2
	v_lshlrev_b32_e32 v10, 30, v1
	v_xor_b32_e32 v2, s25, v4
	v_xor_b32_e32 v3, s24, v3
	v_cmp_gt_i64_e64 s[24:25], 0, v[9:10]
	v_not_b32_e32 v4, v10
	v_ashrrev_i32_e32 v4, 31, v4
	v_and_b32_e32 v2, exec_hi, v2
	v_xor_b32_e32 v10, s25, v4
	v_and_b32_e32 v3, exec_lo, v3
	v_xor_b32_e32 v4, s24, v4
	v_and_b32_e32 v2, v2, v10
	v_lshlrev_b32_e32 v10, 29, v1
	v_and_b32_e32 v3, v3, v4
	v_cmp_gt_i64_e64 s[24:25], 0, v[9:10]
	v_not_b32_e32 v4, v10
	v_ashrrev_i32_e32 v4, 31, v4
	v_xor_b32_e32 v10, s25, v4
	v_xor_b32_e32 v4, s24, v4
	v_and_b32_e32 v2, v2, v10
	v_lshlrev_b32_e32 v10, 28, v1
	v_and_b32_e32 v3, v3, v4
	v_cmp_gt_i64_e64 s[24:25], 0, v[9:10]
	v_not_b32_e32 v4, v10
	v_ashrrev_i32_e32 v4, 31, v4
	v_xor_b32_e32 v10, s25, v4
	;; [unrolled: 8-line block ×5, first 2 shown]
	v_and_b32_e32 v2, v2, v10
	v_lshlrev_b32_e32 v10, 24, v1
	v_lshl_add_u32 v30, v1, 2, v26
	v_xor_b32_e32 v4, s24, v4
	v_cmp_gt_i64_e64 s[24:25], 0, v[9:10]
	v_not_b32_e32 v1, v10
	v_ashrrev_i32_e32 v1, 31, v1
	v_and_b32_e32 v3, v3, v4
	v_xor_b32_e32 v4, s25, v1
	v_xor_b32_e32 v1, s24, v1
	; wave barrier
	ds_read_b32 v29, v30 offset:4
	v_and_b32_e32 v1, v3, v1
	v_and_b32_e32 v2, v2, v4
	v_mbcnt_lo_u32_b32 v3, v1, 0
	v_mbcnt_hi_u32_b32 v31, v2, v3
	v_cmp_ne_u64_e64 s[24:25], 0, v[1:2]
	v_cmp_eq_u32_e64 s[26:27], 0, v31
	s_and_b64 s[26:27], s[26:27], s[24:25]
	; wave barrier
	s_and_saveexec_b64 s[24:25], s[26:27]
	s_cbranch_execz .LBB148_10
; %bb.9:                                ;   in Loop: Header=BB148_4 Depth=2
	v_bcnt_u32_b32 v1, v1, 0
	v_bcnt_u32_b32 v1, v2, v1
	s_waitcnt lgkmcnt(0)
	v_add_u32_e32 v1, v29, v1
	ds_write_b32 v30, v1 offset:4
.LBB148_10:                             ;   in Loop: Header=BB148_4 Depth=2
	s_or_b64 exec, exec, s[24:25]
	v_lshrrev_b32_e32 v2, s41, v11
	v_lshrrev_b32_e32 v1, s38, v12
	v_and_b32_e32 v2, s42, v2
	v_and_b32_e32 v1, s40, v1
	v_lshlrev_b32_e32 v2, s39, v2
	v_cndmask_b32_e64 v1, 0, v1, s[22:23]
	v_cndmask_b32_e32 v2, 0, v2, vcc
	v_or_b32_e32 v1, v1, v2
	v_and_b32_e32 v2, 1, v1
	v_add_co_u32_e32 v3, vcc, -1, v2
	v_addc_co_u32_e64 v4, s[22:23], 0, -1, vcc
	v_cmp_ne_u32_e32 vcc, 0, v2
	v_lshlrev_b32_e32 v10, 30, v1
	v_xor_b32_e32 v2, vcc_hi, v4
	v_xor_b32_e32 v3, vcc_lo, v3
	v_cmp_gt_i64_e32 vcc, 0, v[9:10]
	v_not_b32_e32 v4, v10
	v_ashrrev_i32_e32 v4, 31, v4
	v_and_b32_e32 v2, exec_hi, v2
	v_xor_b32_e32 v10, vcc_hi, v4
	v_and_b32_e32 v3, exec_lo, v3
	v_xor_b32_e32 v4, vcc_lo, v4
	v_and_b32_e32 v2, v2, v10
	v_lshlrev_b32_e32 v10, 29, v1
	v_and_b32_e32 v3, v3, v4
	v_cmp_gt_i64_e32 vcc, 0, v[9:10]
	v_not_b32_e32 v4, v10
	v_ashrrev_i32_e32 v4, 31, v4
	v_xor_b32_e32 v10, vcc_hi, v4
	v_xor_b32_e32 v4, vcc_lo, v4
	v_and_b32_e32 v2, v2, v10
	v_lshlrev_b32_e32 v10, 28, v1
	v_and_b32_e32 v3, v3, v4
	v_cmp_gt_i64_e32 vcc, 0, v[9:10]
	v_not_b32_e32 v4, v10
	v_ashrrev_i32_e32 v4, 31, v4
	v_xor_b32_e32 v10, vcc_hi, v4
	;; [unrolled: 8-line block ×5, first 2 shown]
	v_and_b32_e32 v2, v2, v10
	v_lshlrev_b32_e32 v10, 24, v1
	v_lshl_add_u32 v33, v1, 2, v26
	v_xor_b32_e32 v4, vcc_lo, v4
	v_cmp_gt_i64_e32 vcc, 0, v[9:10]
	v_not_b32_e32 v1, v10
	v_ashrrev_i32_e32 v1, 31, v1
	v_and_b32_e32 v3, v3, v4
	v_xor_b32_e32 v4, vcc_hi, v1
	v_xor_b32_e32 v1, vcc_lo, v1
	; wave barrier
	ds_read_b32 v32, v33 offset:4
	v_and_b32_e32 v1, v3, v1
	v_and_b32_e32 v2, v2, v4
	v_mbcnt_lo_u32_b32 v3, v1, 0
	v_mbcnt_hi_u32_b32 v10, v2, v3
	v_cmp_ne_u64_e32 vcc, 0, v[1:2]
	v_cmp_eq_u32_e64 s[22:23], 0, v10
	s_and_b64 s[24:25], s[22:23], vcc
	; wave barrier
	s_and_saveexec_b64 s[22:23], s[24:25]
	s_cbranch_execz .LBB148_12
; %bb.11:                               ;   in Loop: Header=BB148_4 Depth=2
	v_bcnt_u32_b32 v1, v1, 0
	v_bcnt_u32_b32 v1, v2, v1
	s_waitcnt lgkmcnt(0)
	v_add_u32_e32 v1, v32, v1
	ds_write_b32 v33, v1 offset:4
.LBB148_12:                             ;   in Loop: Header=BB148_4 Depth=2
	s_or_b64 exec, exec, s[22:23]
	; wave barrier
	s_waitcnt lgkmcnt(0)
	; wave barrier
	ds_read2_b32 v[3:4], v23 offset0:1 offset1:2
	ds_read2_b32 v[1:2], v23 offset0:3 offset1:4
	s_waitcnt lgkmcnt(1)
	v_add_u32_e32 v34, v4, v3
	s_waitcnt lgkmcnt(0)
	v_add3_u32 v2, v34, v1, v2
	s_nop 1
	v_mov_b32_dpp v34, v2 row_shr:1 row_mask:0xf bank_mask:0xf
	v_cndmask_b32_e64 v34, v34, 0, s[8:9]
	v_add_u32_e32 v2, v34, v2
	s_nop 1
	v_mov_b32_dpp v34, v2 row_shr:2 row_mask:0xf bank_mask:0xf
	v_cndmask_b32_e64 v34, 0, v34, s[10:11]
	v_add_u32_e32 v2, v2, v34
	;; [unrolled: 4-line block ×4, first 2 shown]
	s_nop 1
	v_mov_b32_dpp v34, v2 row_bcast:15 row_mask:0xf bank_mask:0xf
	v_cndmask_b32_e64 v34, v34, 0, s[16:17]
	v_add_u32_e32 v2, v2, v34
	s_nop 1
	v_mov_b32_dpp v34, v2 row_bcast:31 row_mask:0xf bank_mask:0xf
	v_cndmask_b32_e64 v34, 0, v34, s[18:19]
	v_add_u32_e32 v2, v2, v34
	s_and_saveexec_b64 s[22:23], s[20:21]
; %bb.13:                               ;   in Loop: Header=BB148_4 Depth=2
	ds_write_b32 v9, v2
; %bb.14:                               ;   in Loop: Header=BB148_4 Depth=2
	s_or_b64 exec, exec, s[22:23]
	ds_bpermute_b32 v2, v24, v2
	s_waitcnt lgkmcnt(0)
	; wave barrier
	s_cmp_gt_u32 s38, 55
	s_mov_b64 s[22:23], -1
	v_cndmask_b32_e64 v2, v2, 0, s[28:29]
	v_add_u32_e32 v3, v2, v3
	v_add_u32_e32 v4, v3, v4
	;; [unrolled: 1-line block ×3, first 2 shown]
	ds_write2_b32 v23, v2, v3 offset0:1 offset1:2
	ds_write2_b32 v23, v4, v1 offset0:3 offset1:4
	s_waitcnt lgkmcnt(0)
	; wave barrier
	ds_read_b32 v1, v5 offset:4
	ds_read_b32 v2, v8 offset:4
	;; [unrolled: 1-line block ×4, first 2 shown]
	v_lshlrev_b32_e32 v5, 3, v6
	s_waitcnt lgkmcnt(3)
	v_lshl_add_u32 v30, v1, 3, v5
	v_lshlrev_b32_e32 v1, 3, v28
	v_lshlrev_b32_e32 v5, 3, v7
	s_waitcnt lgkmcnt(2)
	v_lshlrev_b32_e32 v2, 3, v2
	v_add3_u32 v28, v1, v5, v2
	v_lshlrev_b32_e32 v1, 3, v31
	v_lshlrev_b32_e32 v2, 3, v29
	s_waitcnt lgkmcnt(1)
	v_lshlrev_b32_e32 v3, 3, v3
	v_add3_u32 v29, v1, v2, v3
	;; [unrolled: 5-line block ×3, first 2 shown]
                                        ; implicit-def: $vgpr1_vgpr2
                                        ; implicit-def: $vgpr5_vgpr6
	s_cbranch_scc1 .LBB148_3
; %bb.15:                               ;   in Loop: Header=BB148_4 Depth=2
	; wave barrier
	ds_write_b64 v30, v[17:18]
	ds_write_b64 v28, v[15:16]
	;; [unrolled: 1-line block ×4, first 2 shown]
	s_waitcnt lgkmcnt(0)
	; wave barrier
	ds_read2st64_b64 v[1:4], v25 offset1:1
	ds_read2st64_b64 v[5:8], v25 offset0:2 offset1:3
	s_add_i32 s34, s34, -8
	s_add_i32 s33, s33, 8
	s_add_i32 s38, s38, 8
	s_mov_b64 s[22:23], 0
	s_waitcnt lgkmcnt(0)
	; wave barrier
	s_branch .LBB148_3
.LBB148_16:
	s_add_u32 s0, s30, s36
	s_addc_u32 s1, s31, s37
	v_lshlrev_b32_e32 v0, 3, v0
	global_store_dwordx2 v0, v[3:4], s[0:1]
	global_store_dwordx2 v0, v[10:11], s[0:1] offset:512
	global_store_dwordx2 v0, v[5:6], s[0:1] offset:1024
	;; [unrolled: 1-line block ×3, first 2 shown]
	s_endpgm
	.section	.rodata,"a",@progbits
	.p2align	6, 0x0
	.amdhsa_kernel _Z16sort_keys_kernelI22helper_blocked_blockedN15benchmark_utils11custom_typeIiiEELj64ELj4ELj10EEvPKT0_PS4_
		.amdhsa_group_segment_fixed_size 2048
		.amdhsa_private_segment_fixed_size 0
		.amdhsa_kernarg_size 272
		.amdhsa_user_sgpr_count 6
		.amdhsa_user_sgpr_private_segment_buffer 1
		.amdhsa_user_sgpr_dispatch_ptr 0
		.amdhsa_user_sgpr_queue_ptr 0
		.amdhsa_user_sgpr_kernarg_segment_ptr 1
		.amdhsa_user_sgpr_dispatch_id 0
		.amdhsa_user_sgpr_flat_scratch_init 0
		.amdhsa_user_sgpr_private_segment_size 0
		.amdhsa_uses_dynamic_stack 0
		.amdhsa_system_sgpr_private_segment_wavefront_offset 0
		.amdhsa_system_sgpr_workgroup_id_x 1
		.amdhsa_system_sgpr_workgroup_id_y 0
		.amdhsa_system_sgpr_workgroup_id_z 0
		.amdhsa_system_sgpr_workgroup_info 0
		.amdhsa_system_vgpr_workitem_id 2
		.amdhsa_next_free_vgpr 35
		.amdhsa_next_free_sgpr 61
		.amdhsa_reserve_vcc 1
		.amdhsa_reserve_flat_scratch 0
		.amdhsa_float_round_mode_32 0
		.amdhsa_float_round_mode_16_64 0
		.amdhsa_float_denorm_mode_32 3
		.amdhsa_float_denorm_mode_16_64 3
		.amdhsa_dx10_clamp 1
		.amdhsa_ieee_mode 1
		.amdhsa_fp16_overflow 0
		.amdhsa_exception_fp_ieee_invalid_op 0
		.amdhsa_exception_fp_denorm_src 0
		.amdhsa_exception_fp_ieee_div_zero 0
		.amdhsa_exception_fp_ieee_overflow 0
		.amdhsa_exception_fp_ieee_underflow 0
		.amdhsa_exception_fp_ieee_inexact 0
		.amdhsa_exception_int_div_zero 0
	.end_amdhsa_kernel
	.section	.text._Z16sort_keys_kernelI22helper_blocked_blockedN15benchmark_utils11custom_typeIiiEELj64ELj4ELj10EEvPKT0_PS4_,"axG",@progbits,_Z16sort_keys_kernelI22helper_blocked_blockedN15benchmark_utils11custom_typeIiiEELj64ELj4ELj10EEvPKT0_PS4_,comdat
.Lfunc_end148:
	.size	_Z16sort_keys_kernelI22helper_blocked_blockedN15benchmark_utils11custom_typeIiiEELj64ELj4ELj10EEvPKT0_PS4_, .Lfunc_end148-_Z16sort_keys_kernelI22helper_blocked_blockedN15benchmark_utils11custom_typeIiiEELj64ELj4ELj10EEvPKT0_PS4_
                                        ; -- End function
	.set _Z16sort_keys_kernelI22helper_blocked_blockedN15benchmark_utils11custom_typeIiiEELj64ELj4ELj10EEvPKT0_PS4_.num_vgpr, 35
	.set _Z16sort_keys_kernelI22helper_blocked_blockedN15benchmark_utils11custom_typeIiiEELj64ELj4ELj10EEvPKT0_PS4_.num_agpr, 0
	.set _Z16sort_keys_kernelI22helper_blocked_blockedN15benchmark_utils11custom_typeIiiEELj64ELj4ELj10EEvPKT0_PS4_.numbered_sgpr, 43
	.set _Z16sort_keys_kernelI22helper_blocked_blockedN15benchmark_utils11custom_typeIiiEELj64ELj4ELj10EEvPKT0_PS4_.num_named_barrier, 0
	.set _Z16sort_keys_kernelI22helper_blocked_blockedN15benchmark_utils11custom_typeIiiEELj64ELj4ELj10EEvPKT0_PS4_.private_seg_size, 0
	.set _Z16sort_keys_kernelI22helper_blocked_blockedN15benchmark_utils11custom_typeIiiEELj64ELj4ELj10EEvPKT0_PS4_.uses_vcc, 1
	.set _Z16sort_keys_kernelI22helper_blocked_blockedN15benchmark_utils11custom_typeIiiEELj64ELj4ELj10EEvPKT0_PS4_.uses_flat_scratch, 0
	.set _Z16sort_keys_kernelI22helper_blocked_blockedN15benchmark_utils11custom_typeIiiEELj64ELj4ELj10EEvPKT0_PS4_.has_dyn_sized_stack, 0
	.set _Z16sort_keys_kernelI22helper_blocked_blockedN15benchmark_utils11custom_typeIiiEELj64ELj4ELj10EEvPKT0_PS4_.has_recursion, 0
	.set _Z16sort_keys_kernelI22helper_blocked_blockedN15benchmark_utils11custom_typeIiiEELj64ELj4ELj10EEvPKT0_PS4_.has_indirect_call, 0
	.section	.AMDGPU.csdata,"",@progbits
; Kernel info:
; codeLenInByte = 3504
; TotalNumSgprs: 47
; NumVgprs: 35
; ScratchSize: 0
; MemoryBound: 0
; FloatMode: 240
; IeeeMode: 1
; LDSByteSize: 2048 bytes/workgroup (compile time only)
; SGPRBlocks: 8
; VGPRBlocks: 8
; NumSGPRsForWavesPerEU: 65
; NumVGPRsForWavesPerEU: 35
; Occupancy: 7
; WaveLimiterHint : 1
; COMPUTE_PGM_RSRC2:SCRATCH_EN: 0
; COMPUTE_PGM_RSRC2:USER_SGPR: 6
; COMPUTE_PGM_RSRC2:TRAP_HANDLER: 0
; COMPUTE_PGM_RSRC2:TGID_X_EN: 1
; COMPUTE_PGM_RSRC2:TGID_Y_EN: 0
; COMPUTE_PGM_RSRC2:TGID_Z_EN: 0
; COMPUTE_PGM_RSRC2:TIDIG_COMP_CNT: 2
	.section	.text._Z17sort_pairs_kernelI22helper_blocked_blockedN15benchmark_utils11custom_typeIiiEELj64ELj4ELj10EEvPKT0_PS4_,"axG",@progbits,_Z17sort_pairs_kernelI22helper_blocked_blockedN15benchmark_utils11custom_typeIiiEELj64ELj4ELj10EEvPKT0_PS4_,comdat
	.protected	_Z17sort_pairs_kernelI22helper_blocked_blockedN15benchmark_utils11custom_typeIiiEELj64ELj4ELj10EEvPKT0_PS4_ ; -- Begin function _Z17sort_pairs_kernelI22helper_blocked_blockedN15benchmark_utils11custom_typeIiiEELj64ELj4ELj10EEvPKT0_PS4_
	.globl	_Z17sort_pairs_kernelI22helper_blocked_blockedN15benchmark_utils11custom_typeIiiEELj64ELj4ELj10EEvPKT0_PS4_
	.p2align	8
	.type	_Z17sort_pairs_kernelI22helper_blocked_blockedN15benchmark_utils11custom_typeIiiEELj64ELj4ELj10EEvPKT0_PS4_,@function
_Z17sort_pairs_kernelI22helper_blocked_blockedN15benchmark_utils11custom_typeIiiEELj64ELj4ELj10EEvPKT0_PS4_: ; @_Z17sort_pairs_kernelI22helper_blocked_blockedN15benchmark_utils11custom_typeIiiEELj64ELj4ELj10EEvPKT0_PS4_
; %bb.0:
	s_load_dwordx4 s[28:31], s[4:5], 0x0
	s_load_dword s26, s[4:5], 0x1c
	s_lshl_b32 s36, s6, 8
	s_mov_b32 s37, 0
	s_lshl_b64 s[34:35], s[36:37], 3
	s_waitcnt lgkmcnt(0)
	s_add_u32 s0, s28, s34
	s_addc_u32 s1, s29, s35
	v_lshlrev_b32_e32 v3, 3, v0
	global_load_dwordx2 v[9:10], v3, s[0:1]
	global_load_dwordx2 v[13:14], v3, s[0:1] offset:512
	global_load_dwordx2 v[11:12], v3, s[0:1] offset:1024
	;; [unrolled: 1-line block ×3, first 2 shown]
	v_mbcnt_lo_u32_b32 v3, -1, 0
	v_mbcnt_hi_u32_b32 v3, -1, v3
	v_and_b32_e32 v6, 64, v3
	v_subrev_co_u32_e64 v18, s[22:23], 1, v3
	v_cmp_lt_i32_e64 s[24:25], v18, v6
	v_lshrrev_b32_e32 v4, 2, v3
	v_and_b32_e32 v5, 3, v3
	v_and_b32_e32 v7, 15, v3
	;; [unrolled: 1-line block ×3, first 2 shown]
	v_cmp_lt_u32_e64 s[2:3], 31, v3
	v_lshlrev_b32_e32 v36, 3, v3
	v_cndmask_b32_e64 v3, v18, v3, s[24:25]
	s_lshr_b32 s24, s26, 16
	s_and_b32 s25, s26, 0xffff
	v_mad_u32_u24 v1, v2, s24, v1
	v_or_b32_e32 v19, v4, v6
	v_add_u32_e32 v4, 48, v4
	v_mad_u32_u24 v1, v1, s25, v0
	v_lshlrev_b32_e32 v35, 4, v0
	v_cmp_eq_u32_e32 vcc, 0, v0
	v_lshlrev_b32_e32 v37, 2, v19
	v_and_or_b32 v4, v4, 63, v6
	v_lshrrev_b32_e32 v1, 4, v1
	v_mov_b32_e32 v17, 0
	v_cmp_eq_u32_e64 s[0:1], 63, v0
	v_cmp_eq_u32_e64 s[4:5], 0, v5
	v_cmp_eq_u32_e64 s[6:7], 1, v5
	v_cmp_eq_u32_e64 s[8:9], 2, v5
	v_cmp_eq_u32_e64 s[10:11], 3, v5
	v_cmp_eq_u32_e64 s[12:13], 0, v7
	v_cmp_lt_u32_e64 s[14:15], 1, v7
	v_cmp_lt_u32_e64 s[16:17], 3, v7
	v_cmp_lt_u32_e64 s[18:19], 7, v7
	v_cmp_eq_u32_e64 s[20:21], 0, v8
	v_lshlrev_b32_e32 v38, 2, v3
	v_add_u32_e32 v39, 64, v37
	v_or_b32_e32 v40, 0x80, v37
	v_lshlrev_b32_e32 v41, 2, v4
	s_or_b64 s[28:29], vcc, s[22:23]
	v_and_b32_e32 v42, 0xffffffc, v1
	v_add_u32_e32 v43, v35, v35
	s_waitcnt vmcnt(3)
	v_add_u32_e32 v6, 1, v10
	v_add_u32_e32 v5, 1, v9
	s_waitcnt vmcnt(2)
	v_add_u32_e32 v8, 1, v14
	;; [unrolled: 3-line block ×4, first 2 shown]
	v_add_u32_e32 v3, 1, v15
	s_branch .LBB149_2
.LBB149_1:                              ;   in Loop: Header=BB149_2 Depth=1
	; wave barrier
	ds_write_b64 v18, v[33:34]
	ds_write_b64 v44, v[31:32]
	ds_write_b64 v45, v[29:30]
	ds_write_b64 v46, v[27:28]
	s_waitcnt lgkmcnt(0)
	; wave barrier
	ds_read2_b64 v[9:12], v43 offset1:1
	ds_read2_b64 v[27:30], v43 offset0:2 offset1:3
	s_waitcnt lgkmcnt(0)
	; wave barrier
	ds_write_b64 v18, v[25:26]
	ds_write_b64 v44, v[23:24]
	;; [unrolled: 1-line block ×4, first 2 shown]
	s_waitcnt lgkmcnt(0)
	; wave barrier
	ds_read2_b64 v[5:8], v43 offset1:1
	ds_read2_b64 v[1:4], v43 offset0:2 offset1:3
	s_add_i32 s37, s37, 1
	v_xor_b32_e32 v9, 0x80000000, v9
	v_xor_b32_e32 v10, 0x80000000, v10
	;; [unrolled: 1-line block ×7, first 2 shown]
	s_cmp_lg_u32 s37, 10
	v_xor_b32_e32 v16, 0x80000000, v30
	s_cbranch_scc0 .LBB149_16
.LBB149_2:                              ; =>This Loop Header: Depth=1
                                        ;     Child Loop BB149_4 Depth 2
	s_waitcnt lgkmcnt(1)
	ds_bpermute_b32 v18, v37, v5
	ds_bpermute_b32 v22, v39, v5
	;; [unrolled: 1-line block ×4, first 2 shown]
	v_xor_b32_e32 v5, 0x80000000, v10
	ds_bpermute_b32 v19, v37, v6
	ds_bpermute_b32 v23, v39, v6
	;; [unrolled: 1-line block ×4, first 2 shown]
	s_waitcnt lgkmcnt(8)
	ds_bpermute_b32 v34, v37, v1
	ds_bpermute_b32 v47, v39, v1
	;; [unrolled: 1-line block ×4, first 2 shown]
	v_xor_b32_e32 v6, 0x80000000, v14
	ds_bpermute_b32 v1, v37, v5
	ds_bpermute_b32 v44, v37, v2
	;; [unrolled: 1-line block ×10, first 2 shown]
	v_xor_b32_e32 v7, 0x80000000, v9
	ds_bpermute_b32 v21, v37, v8
	ds_bpermute_b32 v25, v39, v8
	;; [unrolled: 1-line block ×8, first 2 shown]
	v_xor_b32_e32 v8, 0x80000000, v13
	s_waitcnt lgkmcnt(14)
	v_cndmask_b32_e64 v1, 0, v1, s[4:5]
	ds_bpermute_b32 v3, v37, v7
	v_xor_b32_e32 v9, 0x80000000, v11
	v_xor_b32_e32 v10, 0x80000000, v12
	s_waitcnt lgkmcnt(13)
	v_cndmask_b32_e64 v1, v1, v2, s[6:7]
	ds_bpermute_b32 v2, v37, v8
	ds_bpermute_b32 v46, v37, v4
	;; [unrolled: 1-line block ×5, first 2 shown]
	v_xor_b32_e32 v12, 0x80000000, v16
	ds_bpermute_b32 v4, v37, v10
	ds_bpermute_b32 v13, v37, v9
	;; [unrolled: 1-line block ×3, first 2 shown]
	s_waitcnt lgkmcnt(8)
	v_cndmask_b32_e64 v3, 0, v3, s[4:5]
	v_xor_b32_e32 v11, 0x80000000, v15
	s_waitcnt lgkmcnt(7)
	v_cndmask_b32_e64 v2, v3, v2, s[6:7]
	s_waitcnt lgkmcnt(2)
	v_cndmask_b32_e64 v1, v1, v4, s[8:9]
	;; [unrolled: 2-line block ×3, first 2 shown]
	ds_bpermute_b32 v4, v37, v11
	ds_bpermute_b32 v13, v39, v5
	s_waitcnt lgkmcnt(2)
	v_cndmask_b32_e64 v2, v1, v14, s[10:11]
	ds_bpermute_b32 v14, v39, v6
	ds_bpermute_b32 v15, v39, v10
	;; [unrolled: 1-line block ×3, first 2 shown]
	s_waitcnt lgkmcnt(4)
	v_cndmask_b32_e64 v1, v3, v4, s[10:11]
	s_waitcnt lgkmcnt(3)
	v_cndmask_b32_e64 v3, 0, v13, s[4:5]
	;; [unrolled: 2-line block ×5, first 2 shown]
	ds_bpermute_b32 v3, v39, v7
	ds_bpermute_b32 v13, v39, v8
	;; [unrolled: 1-line block ×5, first 2 shown]
	s_waitcnt lgkmcnt(4)
	v_cndmask_b32_e64 v3, 0, v3, s[4:5]
	s_waitcnt lgkmcnt(3)
	v_cndmask_b32_e64 v3, v3, v13, s[6:7]
	s_waitcnt lgkmcnt(2)
	v_cndmask_b32_e64 v3, v3, v14, s[8:9]
	s_waitcnt lgkmcnt(1)
	v_cndmask_b32_e64 v3, v3, v15, s[10:11]
	ds_bpermute_b32 v14, v40, v6
	ds_bpermute_b32 v15, v40, v7
	s_waitcnt lgkmcnt(2)
	v_cndmask_b32_e64 v13, 0, v16, s[4:5]
	ds_bpermute_b32 v16, v40, v8
	ds_bpermute_b32 v59, v40, v10
	;; [unrolled: 1-line block ×3, first 2 shown]
	s_waitcnt lgkmcnt(4)
	v_cndmask_b32_e64 v13, v13, v14, s[6:7]
	s_waitcnt lgkmcnt(3)
	v_cndmask_b32_e64 v14, 0, v15, s[4:5]
	;; [unrolled: 2-line block ×4, first 2 shown]
	ds_bpermute_b32 v15, v40, v12
	ds_bpermute_b32 v59, v41, v5
	s_waitcnt lgkmcnt(2)
	v_cndmask_b32_e64 v14, v14, v60, s[8:9]
	ds_bpermute_b32 v60, v41, v6
	ds_bpermute_b32 v10, v41, v10
	s_waitcnt lgkmcnt(3)
	v_cndmask_b32_e64 v6, v13, v15, s[10:11]
	s_waitcnt lgkmcnt(2)
	v_cndmask_b32_e64 v13, 0, v59, s[4:5]
	ds_bpermute_b32 v7, v41, v7
	s_waitcnt lgkmcnt(2)
	v_cndmask_b32_e64 v13, v13, v60, s[6:7]
	s_waitcnt lgkmcnt(1)
	v_cndmask_b32_e64 v10, v13, v10, s[8:9]
	ds_bpermute_b32 v13, v41, v8
	ds_bpermute_b32 v12, v41, v12
	;; [unrolled: 1-line block ×5, first 2 shown]
	s_waitcnt lgkmcnt(5)
	v_cndmask_b32_e64 v7, 0, v7, s[4:5]
	s_waitcnt lgkmcnt(4)
	v_cndmask_b32_e64 v7, v7, v13, s[6:7]
	;; [unrolled: 2-line block ×4, first 2 shown]
	v_cndmask_b32_e64 v9, 0, v19, s[4:5]
	v_cndmask_b32_e64 v10, 0, v18, s[4:5]
	;; [unrolled: 1-line block ×4, first 2 shown]
	s_waitcnt lgkmcnt(0)
	v_cndmask_b32_e64 v7, v7, v11, s[10:11]
	v_cndmask_b32_e64 v9, v9, v44, s[8:9]
	v_cndmask_b32_e64 v11, v10, v34, s[8:9]
	v_cndmask_b32_e64 v5, v14, v16, s[10:11]
	v_cndmask_b32_e64 v10, v9, v46, s[10:11]
	v_cndmask_b32_e64 v9, v11, v45, s[10:11]
	v_cndmask_b32_e64 v11, 0, v23, s[4:5]
	v_cndmask_b32_e64 v13, 0, v27, s[4:5]
	v_cndmask_b32_e64 v14, 0, v26, s[4:5]
	v_cndmask_b32_e64 v11, v11, v25, s[6:7]
	v_cndmask_b32_e64 v13, v13, v29, s[6:7]
	v_cndmask_b32_e64 v14, v14, v28, s[6:7]
	v_cndmask_b32_e64 v11, v11, v48, s[8:9]
	v_cndmask_b32_e64 v13, v13, v52, s[8:9]
	v_cndmask_b32_e64 v15, v14, v51, s[8:9]
	v_cndmask_b32_e64 v12, v11, v50, s[10:11]
	v_cndmask_b32_e64 v11, 0, v22, s[4:5]
	v_cndmask_b32_e64 v14, v13, v54, s[10:11]
	v_cndmask_b32_e64 v13, v15, v53, s[10:11]
	v_cndmask_b32_e64 v15, 0, v31, s[4:5]
	v_cndmask_b32_e64 v16, 0, v30, s[4:5]
	v_cndmask_b32_e64 v11, v11, v24, s[6:7]
	v_cndmask_b32_e64 v15, v15, v33, s[6:7]
	v_cndmask_b32_e64 v16, v16, v32, s[6:7]
	v_cndmask_b32_e64 v11, v11, v47, s[8:9]
	v_cndmask_b32_e64 v15, v15, v56, s[8:9]
	v_cndmask_b32_e64 v18, v16, v55, s[8:9]
	v_cndmask_b32_e64 v11, v11, v49, s[10:11]
	v_cndmask_b32_e64 v16, v15, v58, s[10:11]
	v_cndmask_b32_e64 v15, v18, v57, s[10:11]
	s_mov_b32 s33, 8
	s_mov_b32 s36, 32
	s_mov_b32 s38, 0
	; wave barrier
	s_branch .LBB149_4
.LBB149_3:                              ;   in Loop: Header=BB149_4 Depth=2
	s_andn2_b64 vcc, exec, s[22:23]
	s_cbranch_vccz .LBB149_1
.LBB149_4:                              ;   Parent Loop BB149_2 Depth=1
                                        ; =>  This Inner Loop Header: Depth=2
	s_min_i32 s24, s33, 32
	s_cmp_lt_u32 s38, 32
	s_cselect_b64 s[22:23], -1, 0
	s_cmp_gt_u32 s38, 31
	s_cselect_b64 vcc, -1, 0
	s_sub_i32 s24, s24, 32
	s_add_i32 s25, s24, s36
	s_lshl_b32 s25, -1, s25
	s_not_b32 s25, s25
	s_cmp_lg_u32 s24, s38
	s_cselect_b32 s40, s25, -1
	s_max_i32 s39, s36, 0
	s_max_i32 s24, s38, 32
	s_sub_i32 s41, s24, 32
	s_sub_i32 s24, s24, s39
	;; [unrolled: 1-line block ×3, first 2 shown]
	s_min_i32 s24, s24, 32
	s_sub_i32 s24, s24, s41
	s_lshl_b32 s25, -1, s24
	v_mov_b32_e32 v34, v2
	s_not_b32 s25, s25
	v_mov_b32_e32 v33, v1
	s_cmp_lg_u32 s24, 32
	s_cselect_b32 s42, s25, -1
	v_lshrrev_b32_e32 v2, s41, v33
	v_lshrrev_b32_e32 v1, s38, v34
	v_and_b32_e32 v2, s42, v2
	v_and_b32_e32 v1, s40, v1
	v_lshlrev_b32_e32 v2, s39, v2
	v_cndmask_b32_e64 v1, 0, v1, s[22:23]
	v_cndmask_b32_e32 v2, 0, v2, vcc
	v_or_b32_e32 v1, v1, v2
	v_mov_b32_e32 v32, v4
	v_and_b32_e32 v2, 1, v1
	v_mov_b32_e32 v31, v3
	v_add_co_u32_e64 v3, s[24:25], -1, v2
	v_addc_co_u32_e64 v4, s[24:25], 0, -1, s[24:25]
	v_cmp_ne_u32_e64 s[24:25], 0, v2
	v_lshlrev_b32_e32 v18, 30, v1
	v_xor_b32_e32 v2, s25, v4
	v_xor_b32_e32 v3, s24, v3
	v_cmp_gt_i64_e64 s[24:25], 0, v[17:18]
	v_not_b32_e32 v4, v18
	v_mov_b32_e32 v30, v6
	v_ashrrev_i32_e32 v4, 31, v4
	v_mov_b32_e32 v29, v5
	v_and_b32_e32 v3, exec_lo, v3
	v_xor_b32_e32 v6, s25, v4
	v_xor_b32_e32 v4, s24, v4
	v_lshlrev_b32_e32 v18, 29, v1
	v_and_b32_e32 v3, v3, v4
	v_cmp_gt_i64_e64 s[24:25], 0, v[17:18]
	v_not_b32_e32 v4, v18
	v_and_b32_e32 v2, exec_hi, v2
	v_ashrrev_i32_e32 v4, 31, v4
	v_and_b32_e32 v2, v2, v6
	v_xor_b32_e32 v6, s25, v4
	v_xor_b32_e32 v4, s24, v4
	v_lshlrev_b32_e32 v18, 28, v1
	v_and_b32_e32 v3, v3, v4
	v_cmp_gt_i64_e64 s[24:25], 0, v[17:18]
	v_not_b32_e32 v4, v18
	v_ashrrev_i32_e32 v4, 31, v4
	v_and_b32_e32 v2, v2, v6
	v_xor_b32_e32 v6, s25, v4
	v_xor_b32_e32 v4, s24, v4
	v_lshlrev_b32_e32 v18, 27, v1
	v_and_b32_e32 v3, v3, v4
	v_cmp_gt_i64_e64 s[24:25], 0, v[17:18]
	v_not_b32_e32 v4, v18
	;; [unrolled: 8-line block ×4, first 2 shown]
	v_ashrrev_i32_e32 v4, 31, v4
	v_lshlrev_b32_e32 v18, 24, v1
	v_lshl_add_u32 v5, v1, 2, v42
	v_and_b32_e32 v2, v2, v6
	v_xor_b32_e32 v6, s25, v4
	v_xor_b32_e32 v4, s24, v4
	v_cmp_gt_i64_e64 s[24:25], 0, v[17:18]
	v_not_b32_e32 v1, v18
	v_ashrrev_i32_e32 v1, 31, v1
	v_and_b32_e32 v3, v3, v4
	v_xor_b32_e32 v4, s25, v1
	v_xor_b32_e32 v1, s24, v1
	v_and_b32_e32 v2, v2, v6
	v_and_b32_e32 v1, v3, v1
	;; [unrolled: 1-line block ×3, first 2 shown]
	v_mbcnt_lo_u32_b32 v3, v1, 0
	v_mbcnt_hi_u32_b32 v6, v2, v3
	v_cmp_ne_u64_e64 s[24:25], 0, v[1:2]
	v_mov_b32_e32 v26, v10
	v_mov_b32_e32 v24, v12
	;; [unrolled: 1-line block ×5, first 2 shown]
	v_cmp_eq_u32_e64 s[26:27], 0, v6
	v_mov_b32_e32 v25, v9
	v_mov_b32_e32 v23, v11
	;; [unrolled: 1-line block ×5, first 2 shown]
	s_and_b64 s[26:27], s[26:27], s[24:25]
	ds_write2_b32 v35, v17, v17 offset0:1 offset1:2
	ds_write2_b32 v35, v17, v17 offset0:3 offset1:4
	s_waitcnt lgkmcnt(0)
	; wave barrier
	; wave barrier
	s_and_saveexec_b64 s[24:25], s[26:27]
; %bb.5:                                ;   in Loop: Header=BB149_4 Depth=2
	v_bcnt_u32_b32 v1, v1, 0
	v_bcnt_u32_b32 v1, v2, v1
	ds_write_b32 v5, v1 offset:4
; %bb.6:                                ;   in Loop: Header=BB149_4 Depth=2
	s_or_b64 exec, exec, s[24:25]
	v_lshrrev_b32_e32 v2, s41, v31
	v_lshrrev_b32_e32 v1, s38, v32
	v_and_b32_e32 v2, s42, v2
	v_and_b32_e32 v1, s40, v1
	v_lshlrev_b32_e32 v2, s39, v2
	v_cndmask_b32_e64 v1, 0, v1, s[22:23]
	v_cndmask_b32_e32 v2, 0, v2, vcc
	v_or_b32_e32 v1, v1, v2
	v_and_b32_e32 v2, 1, v1
	v_add_co_u32_e64 v3, s[24:25], -1, v2
	v_addc_co_u32_e64 v4, s[24:25], 0, -1, s[24:25]
	v_cmp_ne_u32_e64 s[24:25], 0, v2
	v_lshlrev_b32_e32 v18, 30, v1
	v_xor_b32_e32 v2, s25, v4
	v_xor_b32_e32 v3, s24, v3
	v_cmp_gt_i64_e64 s[24:25], 0, v[17:18]
	v_not_b32_e32 v4, v18
	v_ashrrev_i32_e32 v4, 31, v4
	v_and_b32_e32 v3, exec_lo, v3
	v_xor_b32_e32 v9, s25, v4
	v_xor_b32_e32 v4, s24, v4
	v_lshlrev_b32_e32 v18, 29, v1
	v_and_b32_e32 v3, v3, v4
	v_cmp_gt_i64_e64 s[24:25], 0, v[17:18]
	v_not_b32_e32 v4, v18
	v_and_b32_e32 v2, exec_hi, v2
	v_ashrrev_i32_e32 v4, 31, v4
	v_and_b32_e32 v2, v2, v9
	v_xor_b32_e32 v9, s25, v4
	v_xor_b32_e32 v4, s24, v4
	v_lshlrev_b32_e32 v18, 28, v1
	v_and_b32_e32 v3, v3, v4
	v_cmp_gt_i64_e64 s[24:25], 0, v[17:18]
	v_not_b32_e32 v4, v18
	v_ashrrev_i32_e32 v4, 31, v4
	v_and_b32_e32 v2, v2, v9
	v_xor_b32_e32 v9, s25, v4
	v_xor_b32_e32 v4, s24, v4
	v_lshlrev_b32_e32 v18, 27, v1
	v_and_b32_e32 v3, v3, v4
	v_cmp_gt_i64_e64 s[24:25], 0, v[17:18]
	v_not_b32_e32 v4, v18
	;; [unrolled: 8-line block ×4, first 2 shown]
	v_ashrrev_i32_e32 v4, 31, v4
	v_lshlrev_b32_e32 v18, 24, v1
	v_lshl_add_u32 v8, v1, 2, v42
	v_and_b32_e32 v2, v2, v9
	v_xor_b32_e32 v9, s25, v4
	v_xor_b32_e32 v4, s24, v4
	v_cmp_gt_i64_e64 s[24:25], 0, v[17:18]
	v_not_b32_e32 v1, v18
	v_ashrrev_i32_e32 v1, 31, v1
	v_and_b32_e32 v3, v3, v4
	v_xor_b32_e32 v4, s25, v1
	v_xor_b32_e32 v1, s24, v1
	; wave barrier
	ds_read_b32 v7, v8 offset:4
	v_and_b32_e32 v2, v2, v9
	v_and_b32_e32 v1, v3, v1
	;; [unrolled: 1-line block ×3, first 2 shown]
	v_mbcnt_lo_u32_b32 v3, v1, 0
	v_mbcnt_hi_u32_b32 v9, v2, v3
	v_cmp_ne_u64_e64 s[24:25], 0, v[1:2]
	v_cmp_eq_u32_e64 s[26:27], 0, v9
	s_and_b64 s[26:27], s[26:27], s[24:25]
	; wave barrier
	s_and_saveexec_b64 s[24:25], s[26:27]
	s_cbranch_execz .LBB149_8
; %bb.7:                                ;   in Loop: Header=BB149_4 Depth=2
	v_bcnt_u32_b32 v1, v1, 0
	v_bcnt_u32_b32 v1, v2, v1
	s_waitcnt lgkmcnt(0)
	v_add_u32_e32 v1, v7, v1
	ds_write_b32 v8, v1 offset:4
.LBB149_8:                              ;   in Loop: Header=BB149_4 Depth=2
	s_or_b64 exec, exec, s[24:25]
	v_lshrrev_b32_e32 v2, s41, v29
	v_lshrrev_b32_e32 v1, s38, v30
	v_and_b32_e32 v2, s42, v2
	v_and_b32_e32 v1, s40, v1
	v_lshlrev_b32_e32 v2, s39, v2
	v_cndmask_b32_e64 v1, 0, v1, s[22:23]
	v_cndmask_b32_e32 v2, 0, v2, vcc
	v_or_b32_e32 v1, v1, v2
	v_and_b32_e32 v2, 1, v1
	v_add_co_u32_e64 v3, s[24:25], -1, v2
	v_addc_co_u32_e64 v4, s[24:25], 0, -1, s[24:25]
	v_cmp_ne_u32_e64 s[24:25], 0, v2
	v_lshlrev_b32_e32 v18, 30, v1
	v_xor_b32_e32 v2, s25, v4
	v_xor_b32_e32 v3, s24, v3
	v_cmp_gt_i64_e64 s[24:25], 0, v[17:18]
	v_not_b32_e32 v4, v18
	v_ashrrev_i32_e32 v4, 31, v4
	v_and_b32_e32 v3, exec_lo, v3
	v_xor_b32_e32 v12, s25, v4
	v_xor_b32_e32 v4, s24, v4
	v_lshlrev_b32_e32 v18, 29, v1
	v_and_b32_e32 v3, v3, v4
	v_cmp_gt_i64_e64 s[24:25], 0, v[17:18]
	v_not_b32_e32 v4, v18
	v_and_b32_e32 v2, exec_hi, v2
	v_ashrrev_i32_e32 v4, 31, v4
	v_and_b32_e32 v2, v2, v12
	v_xor_b32_e32 v12, s25, v4
	v_xor_b32_e32 v4, s24, v4
	v_lshlrev_b32_e32 v18, 28, v1
	v_and_b32_e32 v3, v3, v4
	v_cmp_gt_i64_e64 s[24:25], 0, v[17:18]
	v_not_b32_e32 v4, v18
	v_ashrrev_i32_e32 v4, 31, v4
	v_and_b32_e32 v2, v2, v12
	v_xor_b32_e32 v12, s25, v4
	v_xor_b32_e32 v4, s24, v4
	v_lshlrev_b32_e32 v18, 27, v1
	v_and_b32_e32 v3, v3, v4
	v_cmp_gt_i64_e64 s[24:25], 0, v[17:18]
	v_not_b32_e32 v4, v18
	;; [unrolled: 8-line block ×4, first 2 shown]
	v_ashrrev_i32_e32 v4, 31, v4
	v_lshlrev_b32_e32 v18, 24, v1
	v_lshl_add_u32 v11, v1, 2, v42
	v_and_b32_e32 v2, v2, v12
	v_xor_b32_e32 v12, s25, v4
	v_xor_b32_e32 v4, s24, v4
	v_cmp_gt_i64_e64 s[24:25], 0, v[17:18]
	v_not_b32_e32 v1, v18
	v_ashrrev_i32_e32 v1, 31, v1
	v_and_b32_e32 v3, v3, v4
	v_xor_b32_e32 v4, s25, v1
	v_xor_b32_e32 v1, s24, v1
	; wave barrier
	ds_read_b32 v10, v11 offset:4
	v_and_b32_e32 v2, v2, v12
	v_and_b32_e32 v1, v3, v1
	;; [unrolled: 1-line block ×3, first 2 shown]
	v_mbcnt_lo_u32_b32 v3, v1, 0
	v_mbcnt_hi_u32_b32 v12, v2, v3
	v_cmp_ne_u64_e64 s[24:25], 0, v[1:2]
	v_cmp_eq_u32_e64 s[26:27], 0, v12
	s_and_b64 s[26:27], s[26:27], s[24:25]
	; wave barrier
	s_and_saveexec_b64 s[24:25], s[26:27]
	s_cbranch_execz .LBB149_10
; %bb.9:                                ;   in Loop: Header=BB149_4 Depth=2
	v_bcnt_u32_b32 v1, v1, 0
	v_bcnt_u32_b32 v1, v2, v1
	s_waitcnt lgkmcnt(0)
	v_add_u32_e32 v1, v10, v1
	ds_write_b32 v11, v1 offset:4
.LBB149_10:                             ;   in Loop: Header=BB149_4 Depth=2
	s_or_b64 exec, exec, s[24:25]
	v_lshrrev_b32_e32 v2, s41, v27
	v_lshrrev_b32_e32 v1, s38, v28
	v_and_b32_e32 v2, s42, v2
	v_and_b32_e32 v1, s40, v1
	v_lshlrev_b32_e32 v2, s39, v2
	v_cndmask_b32_e64 v1, 0, v1, s[22:23]
	v_cndmask_b32_e32 v2, 0, v2, vcc
	v_or_b32_e32 v1, v1, v2
	v_and_b32_e32 v2, 1, v1
	v_add_co_u32_e32 v3, vcc, -1, v2
	v_addc_co_u32_e64 v4, s[22:23], 0, -1, vcc
	v_cmp_ne_u32_e32 vcc, 0, v2
	v_lshlrev_b32_e32 v18, 30, v1
	v_xor_b32_e32 v2, vcc_hi, v4
	v_xor_b32_e32 v3, vcc_lo, v3
	v_cmp_gt_i64_e32 vcc, 0, v[17:18]
	v_not_b32_e32 v4, v18
	v_ashrrev_i32_e32 v4, 31, v4
	v_and_b32_e32 v3, exec_lo, v3
	v_xor_b32_e32 v15, vcc_hi, v4
	v_xor_b32_e32 v4, vcc_lo, v4
	v_lshlrev_b32_e32 v18, 29, v1
	v_and_b32_e32 v3, v3, v4
	v_cmp_gt_i64_e32 vcc, 0, v[17:18]
	v_not_b32_e32 v4, v18
	v_and_b32_e32 v2, exec_hi, v2
	v_ashrrev_i32_e32 v4, 31, v4
	v_and_b32_e32 v2, v2, v15
	v_xor_b32_e32 v15, vcc_hi, v4
	v_xor_b32_e32 v4, vcc_lo, v4
	v_lshlrev_b32_e32 v18, 28, v1
	v_and_b32_e32 v3, v3, v4
	v_cmp_gt_i64_e32 vcc, 0, v[17:18]
	v_not_b32_e32 v4, v18
	v_ashrrev_i32_e32 v4, 31, v4
	v_and_b32_e32 v2, v2, v15
	v_xor_b32_e32 v15, vcc_hi, v4
	v_xor_b32_e32 v4, vcc_lo, v4
	v_lshlrev_b32_e32 v18, 27, v1
	v_and_b32_e32 v3, v3, v4
	v_cmp_gt_i64_e32 vcc, 0, v[17:18]
	v_not_b32_e32 v4, v18
	;; [unrolled: 8-line block ×4, first 2 shown]
	v_ashrrev_i32_e32 v4, 31, v4
	v_lshlrev_b32_e32 v18, 24, v1
	v_lshl_add_u32 v14, v1, 2, v42
	v_and_b32_e32 v2, v2, v15
	v_xor_b32_e32 v15, vcc_hi, v4
	v_xor_b32_e32 v4, vcc_lo, v4
	v_cmp_gt_i64_e32 vcc, 0, v[17:18]
	v_not_b32_e32 v1, v18
	v_ashrrev_i32_e32 v1, 31, v1
	v_and_b32_e32 v3, v3, v4
	v_xor_b32_e32 v4, vcc_hi, v1
	v_xor_b32_e32 v1, vcc_lo, v1
	; wave barrier
	ds_read_b32 v13, v14 offset:4
	v_and_b32_e32 v2, v2, v15
	v_and_b32_e32 v1, v3, v1
	;; [unrolled: 1-line block ×3, first 2 shown]
	v_mbcnt_lo_u32_b32 v3, v1, 0
	v_mbcnt_hi_u32_b32 v15, v2, v3
	v_cmp_ne_u64_e32 vcc, 0, v[1:2]
	v_cmp_eq_u32_e64 s[22:23], 0, v15
	s_and_b64 s[24:25], s[22:23], vcc
	; wave barrier
	s_and_saveexec_b64 s[22:23], s[24:25]
	s_cbranch_execz .LBB149_12
; %bb.11:                               ;   in Loop: Header=BB149_4 Depth=2
	v_bcnt_u32_b32 v1, v1, 0
	v_bcnt_u32_b32 v1, v2, v1
	s_waitcnt lgkmcnt(0)
	v_add_u32_e32 v1, v13, v1
	ds_write_b32 v14, v1 offset:4
.LBB149_12:                             ;   in Loop: Header=BB149_4 Depth=2
	s_or_b64 exec, exec, s[22:23]
	; wave barrier
	s_waitcnt lgkmcnt(0)
	; wave barrier
	ds_read2_b32 v[3:4], v35 offset0:1 offset1:2
	ds_read2_b32 v[1:2], v35 offset0:3 offset1:4
	s_waitcnt lgkmcnt(1)
	v_add_u32_e32 v16, v4, v3
	s_waitcnt lgkmcnt(0)
	v_add3_u32 v2, v16, v1, v2
	s_nop 1
	v_mov_b32_dpp v16, v2 row_shr:1 row_mask:0xf bank_mask:0xf
	v_cndmask_b32_e64 v16, v16, 0, s[12:13]
	v_add_u32_e32 v2, v16, v2
	s_nop 1
	v_mov_b32_dpp v16, v2 row_shr:2 row_mask:0xf bank_mask:0xf
	v_cndmask_b32_e64 v16, 0, v16, s[14:15]
	v_add_u32_e32 v2, v2, v16
	;; [unrolled: 4-line block ×4, first 2 shown]
	s_nop 1
	v_mov_b32_dpp v16, v2 row_bcast:15 row_mask:0xf bank_mask:0xf
	v_cndmask_b32_e64 v16, v16, 0, s[20:21]
	v_add_u32_e32 v2, v2, v16
	s_nop 1
	v_mov_b32_dpp v16, v2 row_bcast:31 row_mask:0xf bank_mask:0xf
	v_cndmask_b32_e64 v16, 0, v16, s[2:3]
	v_add_u32_e32 v2, v2, v16
	s_and_saveexec_b64 s[22:23], s[0:1]
; %bb.13:                               ;   in Loop: Header=BB149_4 Depth=2
	ds_write_b32 v17, v2
; %bb.14:                               ;   in Loop: Header=BB149_4 Depth=2
	s_or_b64 exec, exec, s[22:23]
	ds_bpermute_b32 v2, v38, v2
	s_waitcnt lgkmcnt(0)
	; wave barrier
	s_cmp_gt_u32 s38, 55
	s_mov_b64 s[22:23], -1
	v_cndmask_b32_e64 v2, v2, 0, s[28:29]
	v_add_u32_e32 v3, v2, v3
	v_add_u32_e32 v4, v3, v4
	;; [unrolled: 1-line block ×3, first 2 shown]
	ds_write2_b32 v35, v2, v3 offset0:1 offset1:2
	ds_write2_b32 v35, v4, v1 offset0:3 offset1:4
	s_waitcnt lgkmcnt(0)
	; wave barrier
	ds_read_b32 v1, v5 offset:4
	ds_read_b32 v2, v8 offset:4
	;; [unrolled: 1-line block ×4, first 2 shown]
	v_lshlrev_b32_e32 v5, 3, v6
	s_waitcnt lgkmcnt(3)
	v_lshl_add_u32 v18, v1, 3, v5
	v_lshlrev_b32_e32 v1, 3, v9
	v_lshlrev_b32_e32 v5, 3, v7
	s_waitcnt lgkmcnt(2)
	v_lshlrev_b32_e32 v2, 3, v2
	v_add3_u32 v44, v1, v5, v2
	v_lshlrev_b32_e32 v1, 3, v12
	v_lshlrev_b32_e32 v2, 3, v10
	s_waitcnt lgkmcnt(1)
	v_lshlrev_b32_e32 v3, 3, v3
	v_add3_u32 v45, v1, v2, v3
	;; [unrolled: 5-line block ×3, first 2 shown]
                                        ; implicit-def: $vgpr9_vgpr10
                                        ; implicit-def: $vgpr13_vgpr14
                                        ; implicit-def: $vgpr1_vgpr2
                                        ; implicit-def: $vgpr5_vgpr6
	s_cbranch_scc1 .LBB149_3
; %bb.15:                               ;   in Loop: Header=BB149_4 Depth=2
	; wave barrier
	ds_write_b64 v18, v[33:34]
	ds_write_b64 v44, v[31:32]
	;; [unrolled: 1-line block ×4, first 2 shown]
	s_waitcnt lgkmcnt(0)
	; wave barrier
	ds_read2st64_b64 v[1:4], v36 offset1:1
	ds_read2st64_b64 v[5:8], v36 offset0:2 offset1:3
	s_waitcnt lgkmcnt(0)
	; wave barrier
	ds_write_b64 v18, v[25:26]
	ds_write_b64 v44, v[23:24]
	;; [unrolled: 1-line block ×4, first 2 shown]
	s_waitcnt lgkmcnt(0)
	; wave barrier
	ds_read2st64_b64 v[9:12], v36 offset1:1
	ds_read2st64_b64 v[13:16], v36 offset0:2 offset1:3
	s_add_i32 s36, s36, -8
	s_add_i32 s33, s33, 8
	s_add_i32 s38, s38, 8
	s_mov_b64 s[22:23], 0
	s_waitcnt lgkmcnt(0)
	; wave barrier
	s_branch .LBB149_3
.LBB149_16:
	s_add_u32 s0, s30, s34
	s_waitcnt lgkmcnt(1)
	v_add_u32_e32 v5, v9, v5
	v_add_u32_e32 v6, v10, v6
	s_addc_u32 s1, s31, s35
	v_lshlrev_b32_e32 v0, 3, v0
	v_add_u32_e32 v7, v13, v7
	v_add_u32_e32 v8, v14, v8
	s_waitcnt lgkmcnt(0)
	v_add_u32_e32 v1, v11, v1
	v_add_u32_e32 v2, v12, v2
	;; [unrolled: 1-line block ×4, first 2 shown]
	global_store_dwordx2 v0, v[5:6], s[0:1]
	global_store_dwordx2 v0, v[7:8], s[0:1] offset:512
	global_store_dwordx2 v0, v[1:2], s[0:1] offset:1024
	;; [unrolled: 1-line block ×3, first 2 shown]
	s_endpgm
	.section	.rodata,"a",@progbits
	.p2align	6, 0x0
	.amdhsa_kernel _Z17sort_pairs_kernelI22helper_blocked_blockedN15benchmark_utils11custom_typeIiiEELj64ELj4ELj10EEvPKT0_PS4_
		.amdhsa_group_segment_fixed_size 2048
		.amdhsa_private_segment_fixed_size 0
		.amdhsa_kernarg_size 272
		.amdhsa_user_sgpr_count 6
		.amdhsa_user_sgpr_private_segment_buffer 1
		.amdhsa_user_sgpr_dispatch_ptr 0
		.amdhsa_user_sgpr_queue_ptr 0
		.amdhsa_user_sgpr_kernarg_segment_ptr 1
		.amdhsa_user_sgpr_dispatch_id 0
		.amdhsa_user_sgpr_flat_scratch_init 0
		.amdhsa_user_sgpr_private_segment_size 0
		.amdhsa_uses_dynamic_stack 0
		.amdhsa_system_sgpr_private_segment_wavefront_offset 0
		.amdhsa_system_sgpr_workgroup_id_x 1
		.amdhsa_system_sgpr_workgroup_id_y 0
		.amdhsa_system_sgpr_workgroup_id_z 0
		.amdhsa_system_sgpr_workgroup_info 0
		.amdhsa_system_vgpr_workitem_id 2
		.amdhsa_next_free_vgpr 61
		.amdhsa_next_free_sgpr 61
		.amdhsa_reserve_vcc 1
		.amdhsa_reserve_flat_scratch 0
		.amdhsa_float_round_mode_32 0
		.amdhsa_float_round_mode_16_64 0
		.amdhsa_float_denorm_mode_32 3
		.amdhsa_float_denorm_mode_16_64 3
		.amdhsa_dx10_clamp 1
		.amdhsa_ieee_mode 1
		.amdhsa_fp16_overflow 0
		.amdhsa_exception_fp_ieee_invalid_op 0
		.amdhsa_exception_fp_denorm_src 0
		.amdhsa_exception_fp_ieee_div_zero 0
		.amdhsa_exception_fp_ieee_overflow 0
		.amdhsa_exception_fp_ieee_underflow 0
		.amdhsa_exception_fp_ieee_inexact 0
		.amdhsa_exception_int_div_zero 0
	.end_amdhsa_kernel
	.section	.text._Z17sort_pairs_kernelI22helper_blocked_blockedN15benchmark_utils11custom_typeIiiEELj64ELj4ELj10EEvPKT0_PS4_,"axG",@progbits,_Z17sort_pairs_kernelI22helper_blocked_blockedN15benchmark_utils11custom_typeIiiEELj64ELj4ELj10EEvPKT0_PS4_,comdat
.Lfunc_end149:
	.size	_Z17sort_pairs_kernelI22helper_blocked_blockedN15benchmark_utils11custom_typeIiiEELj64ELj4ELj10EEvPKT0_PS4_, .Lfunc_end149-_Z17sort_pairs_kernelI22helper_blocked_blockedN15benchmark_utils11custom_typeIiiEELj64ELj4ELj10EEvPKT0_PS4_
                                        ; -- End function
	.set _Z17sort_pairs_kernelI22helper_blocked_blockedN15benchmark_utils11custom_typeIiiEELj64ELj4ELj10EEvPKT0_PS4_.num_vgpr, 61
	.set _Z17sort_pairs_kernelI22helper_blocked_blockedN15benchmark_utils11custom_typeIiiEELj64ELj4ELj10EEvPKT0_PS4_.num_agpr, 0
	.set _Z17sort_pairs_kernelI22helper_blocked_blockedN15benchmark_utils11custom_typeIiiEELj64ELj4ELj10EEvPKT0_PS4_.numbered_sgpr, 43
	.set _Z17sort_pairs_kernelI22helper_blocked_blockedN15benchmark_utils11custom_typeIiiEELj64ELj4ELj10EEvPKT0_PS4_.num_named_barrier, 0
	.set _Z17sort_pairs_kernelI22helper_blocked_blockedN15benchmark_utils11custom_typeIiiEELj64ELj4ELj10EEvPKT0_PS4_.private_seg_size, 0
	.set _Z17sort_pairs_kernelI22helper_blocked_blockedN15benchmark_utils11custom_typeIiiEELj64ELj4ELj10EEvPKT0_PS4_.uses_vcc, 1
	.set _Z17sort_pairs_kernelI22helper_blocked_blockedN15benchmark_utils11custom_typeIiiEELj64ELj4ELj10EEvPKT0_PS4_.uses_flat_scratch, 0
	.set _Z17sort_pairs_kernelI22helper_blocked_blockedN15benchmark_utils11custom_typeIiiEELj64ELj4ELj10EEvPKT0_PS4_.has_dyn_sized_stack, 0
	.set _Z17sort_pairs_kernelI22helper_blocked_blockedN15benchmark_utils11custom_typeIiiEELj64ELj4ELj10EEvPKT0_PS4_.has_recursion, 0
	.set _Z17sort_pairs_kernelI22helper_blocked_blockedN15benchmark_utils11custom_typeIiiEELj64ELj4ELj10EEvPKT0_PS4_.has_indirect_call, 0
	.section	.AMDGPU.csdata,"",@progbits
; Kernel info:
; codeLenInByte = 4236
; TotalNumSgprs: 47
; NumVgprs: 61
; ScratchSize: 0
; MemoryBound: 0
; FloatMode: 240
; IeeeMode: 1
; LDSByteSize: 2048 bytes/workgroup (compile time only)
; SGPRBlocks: 8
; VGPRBlocks: 15
; NumSGPRsForWavesPerEU: 65
; NumVGPRsForWavesPerEU: 61
; Occupancy: 4
; WaveLimiterHint : 1
; COMPUTE_PGM_RSRC2:SCRATCH_EN: 0
; COMPUTE_PGM_RSRC2:USER_SGPR: 6
; COMPUTE_PGM_RSRC2:TRAP_HANDLER: 0
; COMPUTE_PGM_RSRC2:TGID_X_EN: 1
; COMPUTE_PGM_RSRC2:TGID_Y_EN: 0
; COMPUTE_PGM_RSRC2:TGID_Z_EN: 0
; COMPUTE_PGM_RSRC2:TIDIG_COMP_CNT: 2
	.section	.text._Z16sort_keys_kernelI22helper_blocked_blockedN15benchmark_utils11custom_typeIiiEELj64ELj8ELj10EEvPKT0_PS4_,"axG",@progbits,_Z16sort_keys_kernelI22helper_blocked_blockedN15benchmark_utils11custom_typeIiiEELj64ELj8ELj10EEvPKT0_PS4_,comdat
	.protected	_Z16sort_keys_kernelI22helper_blocked_blockedN15benchmark_utils11custom_typeIiiEELj64ELj8ELj10EEvPKT0_PS4_ ; -- Begin function _Z16sort_keys_kernelI22helper_blocked_blockedN15benchmark_utils11custom_typeIiiEELj64ELj8ELj10EEvPKT0_PS4_
	.globl	_Z16sort_keys_kernelI22helper_blocked_blockedN15benchmark_utils11custom_typeIiiEELj64ELj8ELj10EEvPKT0_PS4_
	.p2align	8
	.type	_Z16sort_keys_kernelI22helper_blocked_blockedN15benchmark_utils11custom_typeIiiEELj64ELj8ELj10EEvPKT0_PS4_,@function
_Z16sort_keys_kernelI22helper_blocked_blockedN15benchmark_utils11custom_typeIiiEELj64ELj8ELj10EEvPKT0_PS4_: ; @_Z16sort_keys_kernelI22helper_blocked_blockedN15benchmark_utils11custom_typeIiiEELj64ELj8ELj10EEvPKT0_PS4_
; %bb.0:
	s_load_dwordx4 s[20:23], s[4:5], 0x0
	s_load_dword s2, s[4:5], 0x1c
	s_lshl_b32 s24, s6, 9
	s_mov_b32 s25, 0
	s_lshl_b64 s[26:27], s[24:25], 3
	s_waitcnt lgkmcnt(0)
	s_add_u32 s0, s20, s26
	s_addc_u32 s1, s21, s27
	v_lshlrev_b32_e32 v17, 3, v0
	global_load_dwordx2 v[3:4], v17, s[0:1]
	global_load_dwordx2 v[5:6], v17, s[0:1] offset:512
	global_load_dwordx2 v[7:8], v17, s[0:1] offset:1024
	;; [unrolled: 1-line block ×7, first 2 shown]
	v_mbcnt_lo_u32_b32 v20, -1, 0
	v_mbcnt_hi_u32_b32 v20, -1, v20
	s_lshr_b32 s0, s2, 16
	s_and_b32 s1, s2, 0xffff
	v_mad_u32_u24 v1, v2, s0, v1
	v_and_b32_e32 v2, 15, v20
	v_mad_u32_u24 v1, v1, s1, v0
	v_cmp_eq_u32_e64 s[0:1], 0, v2
	v_cmp_lt_u32_e64 s[2:3], 1, v2
	v_cmp_lt_u32_e64 s[4:5], 3, v2
	v_cmp_lt_u32_e64 s[6:7], 7, v2
	v_and_b32_e32 v2, 16, v20
	v_cmp_eq_u32_e64 s[8:9], 0, v2
	v_subrev_co_u32_e32 v2, vcc, 1, v20
	v_and_b32_e32 v21, 64, v20
	v_cmp_lt_i32_e64 s[14:15], v2, v21
	v_lshrrev_b32_e32 v1, 4, v1
	v_lshlrev_b32_e32 v37, 4, v0
	v_cndmask_b32_e64 v2, v2, v20, s[14:15]
	v_cmp_eq_u32_e64 s[14:15], 0, v0
	v_and_b32_e32 v39, 0xffffffc, v1
	v_mul_u32_u24_e32 v1, 48, v0
	v_mov_b32_e32 v17, 0
	v_lshlrev_b32_e32 v35, 6, v20
	v_lshlrev_b32_e32 v36, 3, v20
	v_cmp_lt_u32_e64 s[10:11], 31, v20
	v_cmp_eq_u32_e64 s[12:13], 63, v0
	v_lshlrev_b32_e32 v38, 2, v2
	s_or_b64 s[20:21], s[14:15], vcc
	v_add_u32_e32 v40, v37, v1
	s_branch .LBB150_2
.LBB150_1:                              ;   in Loop: Header=BB150_2 Depth=1
	; wave barrier
	ds_write_b64 v18, v[33:34]
	ds_write_b64 v41, v[31:32]
	;; [unrolled: 1-line block ×8, first 2 shown]
	s_waitcnt lgkmcnt(0)
	; wave barrier
	ds_read2_b64 v[3:6], v40 offset1:1
	ds_read2_b64 v[7:10], v40 offset0:2 offset1:3
	ds_read2_b64 v[11:14], v40 offset0:4 offset1:5
	;; [unrolled: 1-line block ×3, first 2 shown]
	s_add_i32 s25, s25, 1
	s_waitcnt lgkmcnt(3)
	v_xor_b32_e32 v3, 0x80000000, v3
	v_xor_b32_e32 v4, 0x80000000, v4
	v_xor_b32_e32 v5, 0x80000000, v5
	v_xor_b32_e32 v6, 0x80000000, v6
	s_waitcnt lgkmcnt(2)
	v_xor_b32_e32 v7, 0x80000000, v7
	v_xor_b32_e32 v8, 0x80000000, v8
	v_xor_b32_e32 v9, 0x80000000, v9
	v_xor_b32_e32 v10, 0x80000000, v10
	;; [unrolled: 5-line block ×3, first 2 shown]
	s_waitcnt lgkmcnt(0)
	v_xor_b32_e32 v15, 0x80000000, v18
	v_xor_b32_e32 v16, 0x80000000, v19
	;; [unrolled: 1-line block ×3, first 2 shown]
	s_cmp_eq_u32 s25, 10
	v_xor_b32_e32 v19, 0x80000000, v21
	s_cbranch_scc1 .LBB150_24
.LBB150_2:                              ; =>This Loop Header: Depth=1
                                        ;     Child Loop BB150_4 Depth 2
	s_waitcnt vmcnt(7)
	v_xor_b32_e32 v2, 0x80000000, v4
	v_xor_b32_e32 v1, 0x80000000, v3
	s_waitcnt vmcnt(6)
	v_xor_b32_e32 v4, 0x80000000, v6
	v_xor_b32_e32 v3, 0x80000000, v5
	;; [unrolled: 3-line block ×8, first 2 shown]
	ds_write2_b64 v35, v[1:2], v[3:4] offset1:1
	ds_write2_b64 v35, v[5:6], v[7:8] offset0:2 offset1:3
	ds_write2_b64 v35, v[9:10], v[11:12] offset0:4 offset1:5
	;; [unrolled: 1-line block ×3, first 2 shown]
	; wave barrier
	ds_read2st64_b64 v[1:4], v36 offset1:1
	ds_read2st64_b64 v[5:8], v36 offset0:2 offset1:3
	ds_read2st64_b64 v[9:12], v36 offset0:4 offset1:5
	ds_read2st64_b64 v[13:16], v36 offset0:6 offset1:7
	s_mov_b32 s24, 8
	s_mov_b32 s28, 32
	;; [unrolled: 1-line block ×3, first 2 shown]
	s_waitcnt lgkmcnt(0)
	; wave barrier
	; wave barrier
	;; [unrolled: 1-line block ×3, first 2 shown]
	s_branch .LBB150_4
.LBB150_3:                              ;   in Loop: Header=BB150_4 Depth=2
	s_andn2_b64 vcc, exec, s[14:15]
	s_cbranch_vccz .LBB150_1
.LBB150_4:                              ;   Parent Loop BB150_2 Depth=1
                                        ; =>  This Inner Loop Header: Depth=2
	s_min_i32 s16, s24, 32
	s_cmp_lt_u32 s29, 32
	s_cselect_b64 s[14:15], -1, 0
	s_cmp_gt_u32 s29, 31
	s_cselect_b64 vcc, -1, 0
	s_sub_i32 s16, s16, 32
	s_add_i32 s17, s16, s28
	s_lshl_b32 s17, -1, s17
	s_not_b32 s17, s17
	s_cmp_lg_u32 s16, s29
	s_cselect_b32 s31, s17, -1
	s_max_i32 s30, s28, 0
	s_max_i32 s16, s29, 32
	s_sub_i32 s33, s16, 32
	s_sub_i32 s16, s16, s30
	;; [unrolled: 1-line block ×3, first 2 shown]
	s_min_i32 s16, s16, 32
	s_sub_i32 s16, s16, s33
	s_lshl_b32 s17, -1, s16
	v_mov_b32_e32 v34, v2
	s_not_b32 s17, s17
	v_mov_b32_e32 v33, v1
	s_cmp_lg_u32 s16, 32
	s_cselect_b32 s34, s17, -1
	v_lshrrev_b32_e32 v2, s33, v33
	v_lshrrev_b32_e32 v1, s29, v34
	v_and_b32_e32 v2, s34, v2
	v_and_b32_e32 v1, s31, v1
	v_lshlrev_b32_e32 v2, s30, v2
	v_cndmask_b32_e64 v1, 0, v1, s[14:15]
	v_cndmask_b32_e32 v2, 0, v2, vcc
	v_or_b32_e32 v1, v1, v2
	v_mov_b32_e32 v32, v4
	v_and_b32_e32 v2, 1, v1
	v_mov_b32_e32 v31, v3
	v_add_co_u32_e64 v3, s[16:17], -1, v2
	v_addc_co_u32_e64 v4, s[16:17], 0, -1, s[16:17]
	v_cmp_ne_u32_e64 s[16:17], 0, v2
	v_lshlrev_b32_e32 v18, 30, v1
	v_xor_b32_e32 v2, s17, v4
	v_xor_b32_e32 v3, s16, v3
	v_cmp_gt_i64_e64 s[16:17], 0, v[17:18]
	v_not_b32_e32 v4, v18
	v_mov_b32_e32 v30, v6
	v_ashrrev_i32_e32 v4, 31, v4
	v_mov_b32_e32 v29, v5
	v_and_b32_e32 v3, exec_lo, v3
	v_xor_b32_e32 v6, s17, v4
	v_xor_b32_e32 v4, s16, v4
	v_lshlrev_b32_e32 v18, 29, v1
	v_and_b32_e32 v3, v3, v4
	v_cmp_gt_i64_e64 s[16:17], 0, v[17:18]
	v_not_b32_e32 v4, v18
	v_and_b32_e32 v2, exec_hi, v2
	v_ashrrev_i32_e32 v4, 31, v4
	v_and_b32_e32 v2, v2, v6
	v_xor_b32_e32 v6, s17, v4
	v_xor_b32_e32 v4, s16, v4
	v_lshlrev_b32_e32 v18, 28, v1
	v_and_b32_e32 v3, v3, v4
	v_cmp_gt_i64_e64 s[16:17], 0, v[17:18]
	v_not_b32_e32 v4, v18
	v_ashrrev_i32_e32 v4, 31, v4
	v_and_b32_e32 v2, v2, v6
	v_xor_b32_e32 v6, s17, v4
	v_xor_b32_e32 v4, s16, v4
	v_lshlrev_b32_e32 v18, 27, v1
	v_and_b32_e32 v3, v3, v4
	v_cmp_gt_i64_e64 s[16:17], 0, v[17:18]
	v_not_b32_e32 v4, v18
	;; [unrolled: 8-line block ×4, first 2 shown]
	v_ashrrev_i32_e32 v4, 31, v4
	v_lshlrev_b32_e32 v18, 24, v1
	v_lshl_add_u32 v5, v1, 2, v39
	v_and_b32_e32 v2, v2, v6
	v_xor_b32_e32 v6, s17, v4
	v_xor_b32_e32 v4, s16, v4
	v_cmp_gt_i64_e64 s[16:17], 0, v[17:18]
	v_not_b32_e32 v1, v18
	v_ashrrev_i32_e32 v1, 31, v1
	v_and_b32_e32 v3, v3, v4
	v_xor_b32_e32 v4, s17, v1
	v_xor_b32_e32 v1, s16, v1
	v_and_b32_e32 v2, v2, v6
	v_and_b32_e32 v1, v3, v1
	;; [unrolled: 1-line block ×3, first 2 shown]
	v_mbcnt_lo_u32_b32 v3, v1, 0
	v_mbcnt_hi_u32_b32 v6, v2, v3
	v_cmp_ne_u64_e64 s[16:17], 0, v[1:2]
	v_mov_b32_e32 v28, v8
	v_mov_b32_e32 v26, v10
	;; [unrolled: 1-line block ×5, first 2 shown]
	v_cmp_eq_u32_e64 s[18:19], 0, v6
	v_mov_b32_e32 v27, v7
	v_mov_b32_e32 v25, v9
	;; [unrolled: 1-line block ×5, first 2 shown]
	s_and_b64 s[18:19], s[18:19], s[16:17]
	ds_write2_b32 v37, v17, v17 offset0:1 offset1:2
	ds_write2_b32 v37, v17, v17 offset0:3 offset1:4
	s_waitcnt lgkmcnt(0)
	; wave barrier
	; wave barrier
	s_and_saveexec_b64 s[16:17], s[18:19]
; %bb.5:                                ;   in Loop: Header=BB150_4 Depth=2
	v_bcnt_u32_b32 v1, v1, 0
	v_bcnt_u32_b32 v1, v2, v1
	ds_write_b32 v5, v1 offset:4
; %bb.6:                                ;   in Loop: Header=BB150_4 Depth=2
	s_or_b64 exec, exec, s[16:17]
	v_lshrrev_b32_e32 v2, s33, v31
	v_lshrrev_b32_e32 v1, s29, v32
	v_and_b32_e32 v2, s34, v2
	v_and_b32_e32 v1, s31, v1
	v_lshlrev_b32_e32 v2, s30, v2
	v_cndmask_b32_e64 v1, 0, v1, s[14:15]
	v_cndmask_b32_e32 v2, 0, v2, vcc
	v_or_b32_e32 v1, v1, v2
	v_and_b32_e32 v2, 1, v1
	v_add_co_u32_e64 v3, s[16:17], -1, v2
	v_addc_co_u32_e64 v4, s[16:17], 0, -1, s[16:17]
	v_cmp_ne_u32_e64 s[16:17], 0, v2
	v_lshlrev_b32_e32 v18, 30, v1
	v_xor_b32_e32 v2, s17, v4
	v_xor_b32_e32 v3, s16, v3
	v_cmp_gt_i64_e64 s[16:17], 0, v[17:18]
	v_not_b32_e32 v4, v18
	v_ashrrev_i32_e32 v4, 31, v4
	v_and_b32_e32 v3, exec_lo, v3
	v_xor_b32_e32 v9, s17, v4
	v_xor_b32_e32 v4, s16, v4
	v_lshlrev_b32_e32 v18, 29, v1
	v_and_b32_e32 v3, v3, v4
	v_cmp_gt_i64_e64 s[16:17], 0, v[17:18]
	v_not_b32_e32 v4, v18
	v_and_b32_e32 v2, exec_hi, v2
	v_ashrrev_i32_e32 v4, 31, v4
	v_and_b32_e32 v2, v2, v9
	v_xor_b32_e32 v9, s17, v4
	v_xor_b32_e32 v4, s16, v4
	v_lshlrev_b32_e32 v18, 28, v1
	v_and_b32_e32 v3, v3, v4
	v_cmp_gt_i64_e64 s[16:17], 0, v[17:18]
	v_not_b32_e32 v4, v18
	v_ashrrev_i32_e32 v4, 31, v4
	v_and_b32_e32 v2, v2, v9
	v_xor_b32_e32 v9, s17, v4
	v_xor_b32_e32 v4, s16, v4
	v_lshlrev_b32_e32 v18, 27, v1
	v_and_b32_e32 v3, v3, v4
	v_cmp_gt_i64_e64 s[16:17], 0, v[17:18]
	v_not_b32_e32 v4, v18
	;; [unrolled: 8-line block ×4, first 2 shown]
	v_ashrrev_i32_e32 v4, 31, v4
	v_lshlrev_b32_e32 v18, 24, v1
	v_lshl_add_u32 v8, v1, 2, v39
	v_and_b32_e32 v2, v2, v9
	v_xor_b32_e32 v9, s17, v4
	v_xor_b32_e32 v4, s16, v4
	v_cmp_gt_i64_e64 s[16:17], 0, v[17:18]
	v_not_b32_e32 v1, v18
	v_ashrrev_i32_e32 v1, 31, v1
	v_and_b32_e32 v3, v3, v4
	v_xor_b32_e32 v4, s17, v1
	v_xor_b32_e32 v1, s16, v1
	; wave barrier
	ds_read_b32 v7, v8 offset:4
	v_and_b32_e32 v2, v2, v9
	v_and_b32_e32 v1, v3, v1
	;; [unrolled: 1-line block ×3, first 2 shown]
	v_mbcnt_lo_u32_b32 v3, v1, 0
	v_mbcnt_hi_u32_b32 v9, v2, v3
	v_cmp_ne_u64_e64 s[16:17], 0, v[1:2]
	v_cmp_eq_u32_e64 s[18:19], 0, v9
	s_and_b64 s[18:19], s[18:19], s[16:17]
	; wave barrier
	s_and_saveexec_b64 s[16:17], s[18:19]
	s_cbranch_execz .LBB150_8
; %bb.7:                                ;   in Loop: Header=BB150_4 Depth=2
	v_bcnt_u32_b32 v1, v1, 0
	v_bcnt_u32_b32 v1, v2, v1
	s_waitcnt lgkmcnt(0)
	v_add_u32_e32 v1, v7, v1
	ds_write_b32 v8, v1 offset:4
.LBB150_8:                              ;   in Loop: Header=BB150_4 Depth=2
	s_or_b64 exec, exec, s[16:17]
	v_lshrrev_b32_e32 v2, s33, v29
	v_lshrrev_b32_e32 v1, s29, v30
	v_and_b32_e32 v2, s34, v2
	v_and_b32_e32 v1, s31, v1
	v_lshlrev_b32_e32 v2, s30, v2
	v_cndmask_b32_e64 v1, 0, v1, s[14:15]
	v_cndmask_b32_e32 v2, 0, v2, vcc
	v_or_b32_e32 v1, v1, v2
	v_and_b32_e32 v2, 1, v1
	v_add_co_u32_e64 v3, s[16:17], -1, v2
	v_addc_co_u32_e64 v4, s[16:17], 0, -1, s[16:17]
	v_cmp_ne_u32_e64 s[16:17], 0, v2
	v_lshlrev_b32_e32 v18, 30, v1
	v_xor_b32_e32 v2, s17, v4
	v_xor_b32_e32 v3, s16, v3
	v_cmp_gt_i64_e64 s[16:17], 0, v[17:18]
	v_not_b32_e32 v4, v18
	v_ashrrev_i32_e32 v4, 31, v4
	v_and_b32_e32 v3, exec_lo, v3
	v_xor_b32_e32 v12, s17, v4
	v_xor_b32_e32 v4, s16, v4
	v_lshlrev_b32_e32 v18, 29, v1
	v_and_b32_e32 v3, v3, v4
	v_cmp_gt_i64_e64 s[16:17], 0, v[17:18]
	v_not_b32_e32 v4, v18
	v_and_b32_e32 v2, exec_hi, v2
	v_ashrrev_i32_e32 v4, 31, v4
	v_and_b32_e32 v2, v2, v12
	v_xor_b32_e32 v12, s17, v4
	v_xor_b32_e32 v4, s16, v4
	v_lshlrev_b32_e32 v18, 28, v1
	v_and_b32_e32 v3, v3, v4
	v_cmp_gt_i64_e64 s[16:17], 0, v[17:18]
	v_not_b32_e32 v4, v18
	v_ashrrev_i32_e32 v4, 31, v4
	v_and_b32_e32 v2, v2, v12
	v_xor_b32_e32 v12, s17, v4
	v_xor_b32_e32 v4, s16, v4
	v_lshlrev_b32_e32 v18, 27, v1
	v_and_b32_e32 v3, v3, v4
	v_cmp_gt_i64_e64 s[16:17], 0, v[17:18]
	v_not_b32_e32 v4, v18
	v_ashrrev_i32_e32 v4, 31, v4
	v_and_b32_e32 v2, v2, v12
	v_xor_b32_e32 v12, s17, v4
	v_xor_b32_e32 v4, s16, v4
	v_lshlrev_b32_e32 v18, 26, v1
	v_and_b32_e32 v3, v3, v4
	v_cmp_gt_i64_e64 s[16:17], 0, v[17:18]
	v_not_b32_e32 v4, v18
	v_ashrrev_i32_e32 v4, 31, v4
	v_and_b32_e32 v2, v2, v12
	v_xor_b32_e32 v12, s17, v4
	v_xor_b32_e32 v4, s16, v4
	v_lshlrev_b32_e32 v18, 25, v1
	v_and_b32_e32 v3, v3, v4
	v_cmp_gt_i64_e64 s[16:17], 0, v[17:18]
	v_not_b32_e32 v4, v18
	v_ashrrev_i32_e32 v4, 31, v4
	v_lshlrev_b32_e32 v18, 24, v1
	v_lshl_add_u32 v11, v1, 2, v39
	v_and_b32_e32 v2, v2, v12
	v_xor_b32_e32 v12, s17, v4
	v_xor_b32_e32 v4, s16, v4
	v_cmp_gt_i64_e64 s[16:17], 0, v[17:18]
	v_not_b32_e32 v1, v18
	v_ashrrev_i32_e32 v1, 31, v1
	v_and_b32_e32 v3, v3, v4
	v_xor_b32_e32 v4, s17, v1
	v_xor_b32_e32 v1, s16, v1
	; wave barrier
	ds_read_b32 v10, v11 offset:4
	v_and_b32_e32 v2, v2, v12
	v_and_b32_e32 v1, v3, v1
	;; [unrolled: 1-line block ×3, first 2 shown]
	v_mbcnt_lo_u32_b32 v3, v1, 0
	v_mbcnt_hi_u32_b32 v12, v2, v3
	v_cmp_ne_u64_e64 s[16:17], 0, v[1:2]
	v_cmp_eq_u32_e64 s[18:19], 0, v12
	s_and_b64 s[18:19], s[18:19], s[16:17]
	; wave barrier
	s_and_saveexec_b64 s[16:17], s[18:19]
	s_cbranch_execz .LBB150_10
; %bb.9:                                ;   in Loop: Header=BB150_4 Depth=2
	v_bcnt_u32_b32 v1, v1, 0
	v_bcnt_u32_b32 v1, v2, v1
	s_waitcnt lgkmcnt(0)
	v_add_u32_e32 v1, v10, v1
	ds_write_b32 v11, v1 offset:4
.LBB150_10:                             ;   in Loop: Header=BB150_4 Depth=2
	s_or_b64 exec, exec, s[16:17]
	v_lshrrev_b32_e32 v2, s33, v27
	v_lshrrev_b32_e32 v1, s29, v28
	v_and_b32_e32 v2, s34, v2
	v_and_b32_e32 v1, s31, v1
	v_lshlrev_b32_e32 v2, s30, v2
	v_cndmask_b32_e64 v1, 0, v1, s[14:15]
	v_cndmask_b32_e32 v2, 0, v2, vcc
	v_or_b32_e32 v1, v1, v2
	v_and_b32_e32 v2, 1, v1
	v_add_co_u32_e64 v3, s[16:17], -1, v2
	v_addc_co_u32_e64 v4, s[16:17], 0, -1, s[16:17]
	v_cmp_ne_u32_e64 s[16:17], 0, v2
	v_lshlrev_b32_e32 v18, 30, v1
	v_xor_b32_e32 v2, s17, v4
	v_xor_b32_e32 v3, s16, v3
	v_cmp_gt_i64_e64 s[16:17], 0, v[17:18]
	v_not_b32_e32 v4, v18
	v_ashrrev_i32_e32 v4, 31, v4
	v_and_b32_e32 v3, exec_lo, v3
	v_xor_b32_e32 v15, s17, v4
	v_xor_b32_e32 v4, s16, v4
	v_lshlrev_b32_e32 v18, 29, v1
	v_and_b32_e32 v3, v3, v4
	v_cmp_gt_i64_e64 s[16:17], 0, v[17:18]
	v_not_b32_e32 v4, v18
	v_and_b32_e32 v2, exec_hi, v2
	v_ashrrev_i32_e32 v4, 31, v4
	v_and_b32_e32 v2, v2, v15
	v_xor_b32_e32 v15, s17, v4
	v_xor_b32_e32 v4, s16, v4
	v_lshlrev_b32_e32 v18, 28, v1
	v_and_b32_e32 v3, v3, v4
	v_cmp_gt_i64_e64 s[16:17], 0, v[17:18]
	v_not_b32_e32 v4, v18
	v_ashrrev_i32_e32 v4, 31, v4
	v_and_b32_e32 v2, v2, v15
	v_xor_b32_e32 v15, s17, v4
	v_xor_b32_e32 v4, s16, v4
	v_lshlrev_b32_e32 v18, 27, v1
	v_and_b32_e32 v3, v3, v4
	v_cmp_gt_i64_e64 s[16:17], 0, v[17:18]
	v_not_b32_e32 v4, v18
	;; [unrolled: 8-line block ×4, first 2 shown]
	v_ashrrev_i32_e32 v4, 31, v4
	v_lshlrev_b32_e32 v18, 24, v1
	v_lshl_add_u32 v14, v1, 2, v39
	v_and_b32_e32 v2, v2, v15
	v_xor_b32_e32 v15, s17, v4
	v_xor_b32_e32 v4, s16, v4
	v_cmp_gt_i64_e64 s[16:17], 0, v[17:18]
	v_not_b32_e32 v1, v18
	v_ashrrev_i32_e32 v1, 31, v1
	v_and_b32_e32 v3, v3, v4
	v_xor_b32_e32 v4, s17, v1
	v_xor_b32_e32 v1, s16, v1
	; wave barrier
	ds_read_b32 v13, v14 offset:4
	v_and_b32_e32 v2, v2, v15
	v_and_b32_e32 v1, v3, v1
	;; [unrolled: 1-line block ×3, first 2 shown]
	v_mbcnt_lo_u32_b32 v3, v1, 0
	v_mbcnt_hi_u32_b32 v15, v2, v3
	v_cmp_ne_u64_e64 s[16:17], 0, v[1:2]
	v_cmp_eq_u32_e64 s[18:19], 0, v15
	s_and_b64 s[18:19], s[18:19], s[16:17]
	; wave barrier
	s_and_saveexec_b64 s[16:17], s[18:19]
	s_cbranch_execz .LBB150_12
; %bb.11:                               ;   in Loop: Header=BB150_4 Depth=2
	v_bcnt_u32_b32 v1, v1, 0
	v_bcnt_u32_b32 v1, v2, v1
	s_waitcnt lgkmcnt(0)
	v_add_u32_e32 v1, v13, v1
	ds_write_b32 v14, v1 offset:4
.LBB150_12:                             ;   in Loop: Header=BB150_4 Depth=2
	s_or_b64 exec, exec, s[16:17]
	v_lshrrev_b32_e32 v2, s33, v25
	v_lshrrev_b32_e32 v1, s29, v26
	v_and_b32_e32 v2, s34, v2
	v_and_b32_e32 v1, s31, v1
	v_lshlrev_b32_e32 v2, s30, v2
	v_cndmask_b32_e64 v1, 0, v1, s[14:15]
	v_cndmask_b32_e32 v2, 0, v2, vcc
	v_or_b32_e32 v1, v1, v2
	v_and_b32_e32 v2, 1, v1
	v_add_co_u32_e64 v3, s[16:17], -1, v2
	v_addc_co_u32_e64 v4, s[16:17], 0, -1, s[16:17]
	v_cmp_ne_u32_e64 s[16:17], 0, v2
	v_lshlrev_b32_e32 v18, 30, v1
	v_xor_b32_e32 v2, s17, v4
	v_xor_b32_e32 v3, s16, v3
	v_cmp_gt_i64_e64 s[16:17], 0, v[17:18]
	v_not_b32_e32 v4, v18
	v_ashrrev_i32_e32 v4, 31, v4
	v_and_b32_e32 v2, exec_hi, v2
	v_xor_b32_e32 v18, s17, v4
	v_and_b32_e32 v3, exec_lo, v3
	v_xor_b32_e32 v4, s16, v4
	v_and_b32_e32 v2, v2, v18
	v_lshlrev_b32_e32 v18, 29, v1
	v_and_b32_e32 v3, v3, v4
	v_cmp_gt_i64_e64 s[16:17], 0, v[17:18]
	v_not_b32_e32 v4, v18
	v_ashrrev_i32_e32 v4, 31, v4
	v_xor_b32_e32 v18, s17, v4
	v_xor_b32_e32 v4, s16, v4
	v_and_b32_e32 v2, v2, v18
	v_lshlrev_b32_e32 v18, 28, v1
	v_and_b32_e32 v3, v3, v4
	v_cmp_gt_i64_e64 s[16:17], 0, v[17:18]
	v_not_b32_e32 v4, v18
	v_ashrrev_i32_e32 v4, 31, v4
	v_xor_b32_e32 v18, s17, v4
	;; [unrolled: 8-line block ×5, first 2 shown]
	v_and_b32_e32 v2, v2, v18
	v_lshlrev_b32_e32 v18, 24, v1
	v_lshl_add_u32 v41, v1, 2, v39
	v_xor_b32_e32 v4, s16, v4
	v_cmp_gt_i64_e64 s[16:17], 0, v[17:18]
	v_not_b32_e32 v1, v18
	v_ashrrev_i32_e32 v1, 31, v1
	v_and_b32_e32 v3, v3, v4
	v_xor_b32_e32 v4, s17, v1
	v_xor_b32_e32 v1, s16, v1
	; wave barrier
	ds_read_b32 v16, v41 offset:4
	v_and_b32_e32 v1, v3, v1
	v_and_b32_e32 v2, v2, v4
	v_mbcnt_lo_u32_b32 v3, v1, 0
	v_mbcnt_hi_u32_b32 v42, v2, v3
	v_cmp_ne_u64_e64 s[16:17], 0, v[1:2]
	v_cmp_eq_u32_e64 s[18:19], 0, v42
	s_and_b64 s[18:19], s[18:19], s[16:17]
	; wave barrier
	s_and_saveexec_b64 s[16:17], s[18:19]
	s_cbranch_execz .LBB150_14
; %bb.13:                               ;   in Loop: Header=BB150_4 Depth=2
	v_bcnt_u32_b32 v1, v1, 0
	v_bcnt_u32_b32 v1, v2, v1
	s_waitcnt lgkmcnt(0)
	v_add_u32_e32 v1, v16, v1
	ds_write_b32 v41, v1 offset:4
.LBB150_14:                             ;   in Loop: Header=BB150_4 Depth=2
	s_or_b64 exec, exec, s[16:17]
	v_lshrrev_b32_e32 v2, s33, v23
	v_lshrrev_b32_e32 v1, s29, v24
	v_and_b32_e32 v2, s34, v2
	v_and_b32_e32 v1, s31, v1
	v_lshlrev_b32_e32 v2, s30, v2
	v_cndmask_b32_e64 v1, 0, v1, s[14:15]
	v_cndmask_b32_e32 v2, 0, v2, vcc
	v_or_b32_e32 v1, v1, v2
	v_and_b32_e32 v2, 1, v1
	v_add_co_u32_e64 v3, s[16:17], -1, v2
	v_addc_co_u32_e64 v4, s[16:17], 0, -1, s[16:17]
	v_cmp_ne_u32_e64 s[16:17], 0, v2
	v_lshlrev_b32_e32 v18, 30, v1
	v_xor_b32_e32 v2, s17, v4
	v_xor_b32_e32 v3, s16, v3
	v_cmp_gt_i64_e64 s[16:17], 0, v[17:18]
	v_not_b32_e32 v4, v18
	v_ashrrev_i32_e32 v4, 31, v4
	v_and_b32_e32 v2, exec_hi, v2
	v_xor_b32_e32 v18, s17, v4
	v_and_b32_e32 v3, exec_lo, v3
	v_xor_b32_e32 v4, s16, v4
	v_and_b32_e32 v2, v2, v18
	v_lshlrev_b32_e32 v18, 29, v1
	v_and_b32_e32 v3, v3, v4
	v_cmp_gt_i64_e64 s[16:17], 0, v[17:18]
	v_not_b32_e32 v4, v18
	v_ashrrev_i32_e32 v4, 31, v4
	v_xor_b32_e32 v18, s17, v4
	v_xor_b32_e32 v4, s16, v4
	v_and_b32_e32 v2, v2, v18
	v_lshlrev_b32_e32 v18, 28, v1
	v_and_b32_e32 v3, v3, v4
	v_cmp_gt_i64_e64 s[16:17], 0, v[17:18]
	v_not_b32_e32 v4, v18
	v_ashrrev_i32_e32 v4, 31, v4
	v_xor_b32_e32 v18, s17, v4
	;; [unrolled: 8-line block ×5, first 2 shown]
	v_and_b32_e32 v2, v2, v18
	v_lshlrev_b32_e32 v18, 24, v1
	v_lshl_add_u32 v44, v1, 2, v39
	v_xor_b32_e32 v4, s16, v4
	v_cmp_gt_i64_e64 s[16:17], 0, v[17:18]
	v_not_b32_e32 v1, v18
	v_ashrrev_i32_e32 v1, 31, v1
	v_and_b32_e32 v3, v3, v4
	v_xor_b32_e32 v4, s17, v1
	v_xor_b32_e32 v1, s16, v1
	; wave barrier
	ds_read_b32 v43, v44 offset:4
	v_and_b32_e32 v1, v3, v1
	v_and_b32_e32 v2, v2, v4
	v_mbcnt_lo_u32_b32 v3, v1, 0
	v_mbcnt_hi_u32_b32 v45, v2, v3
	v_cmp_ne_u64_e64 s[16:17], 0, v[1:2]
	v_cmp_eq_u32_e64 s[18:19], 0, v45
	s_and_b64 s[18:19], s[18:19], s[16:17]
	; wave barrier
	s_and_saveexec_b64 s[16:17], s[18:19]
	s_cbranch_execz .LBB150_16
; %bb.15:                               ;   in Loop: Header=BB150_4 Depth=2
	v_bcnt_u32_b32 v1, v1, 0
	v_bcnt_u32_b32 v1, v2, v1
	s_waitcnt lgkmcnt(0)
	v_add_u32_e32 v1, v43, v1
	ds_write_b32 v44, v1 offset:4
.LBB150_16:                             ;   in Loop: Header=BB150_4 Depth=2
	s_or_b64 exec, exec, s[16:17]
	v_lshrrev_b32_e32 v2, s33, v21
	v_lshrrev_b32_e32 v1, s29, v22
	v_and_b32_e32 v2, s34, v2
	v_and_b32_e32 v1, s31, v1
	v_lshlrev_b32_e32 v2, s30, v2
	v_cndmask_b32_e64 v1, 0, v1, s[14:15]
	v_cndmask_b32_e32 v2, 0, v2, vcc
	v_or_b32_e32 v1, v1, v2
	v_and_b32_e32 v2, 1, v1
	v_add_co_u32_e64 v3, s[16:17], -1, v2
	v_addc_co_u32_e64 v4, s[16:17], 0, -1, s[16:17]
	v_cmp_ne_u32_e64 s[16:17], 0, v2
	v_lshlrev_b32_e32 v18, 30, v1
	v_xor_b32_e32 v2, s17, v4
	v_xor_b32_e32 v3, s16, v3
	v_cmp_gt_i64_e64 s[16:17], 0, v[17:18]
	v_not_b32_e32 v4, v18
	v_ashrrev_i32_e32 v4, 31, v4
	v_and_b32_e32 v2, exec_hi, v2
	v_xor_b32_e32 v18, s17, v4
	v_and_b32_e32 v3, exec_lo, v3
	v_xor_b32_e32 v4, s16, v4
	v_and_b32_e32 v2, v2, v18
	v_lshlrev_b32_e32 v18, 29, v1
	v_and_b32_e32 v3, v3, v4
	v_cmp_gt_i64_e64 s[16:17], 0, v[17:18]
	v_not_b32_e32 v4, v18
	v_ashrrev_i32_e32 v4, 31, v4
	v_xor_b32_e32 v18, s17, v4
	v_xor_b32_e32 v4, s16, v4
	v_and_b32_e32 v2, v2, v18
	v_lshlrev_b32_e32 v18, 28, v1
	v_and_b32_e32 v3, v3, v4
	v_cmp_gt_i64_e64 s[16:17], 0, v[17:18]
	v_not_b32_e32 v4, v18
	v_ashrrev_i32_e32 v4, 31, v4
	v_xor_b32_e32 v18, s17, v4
	;; [unrolled: 8-line block ×5, first 2 shown]
	v_and_b32_e32 v2, v2, v18
	v_lshlrev_b32_e32 v18, 24, v1
	v_lshl_add_u32 v47, v1, 2, v39
	v_xor_b32_e32 v4, s16, v4
	v_cmp_gt_i64_e64 s[16:17], 0, v[17:18]
	v_not_b32_e32 v1, v18
	v_ashrrev_i32_e32 v1, 31, v1
	v_and_b32_e32 v3, v3, v4
	v_xor_b32_e32 v4, s17, v1
	v_xor_b32_e32 v1, s16, v1
	; wave barrier
	ds_read_b32 v46, v47 offset:4
	v_and_b32_e32 v1, v3, v1
	v_and_b32_e32 v2, v2, v4
	v_mbcnt_lo_u32_b32 v3, v1, 0
	v_mbcnt_hi_u32_b32 v48, v2, v3
	v_cmp_ne_u64_e64 s[16:17], 0, v[1:2]
	v_cmp_eq_u32_e64 s[18:19], 0, v48
	s_and_b64 s[18:19], s[18:19], s[16:17]
	; wave barrier
	s_and_saveexec_b64 s[16:17], s[18:19]
	s_cbranch_execz .LBB150_18
; %bb.17:                               ;   in Loop: Header=BB150_4 Depth=2
	v_bcnt_u32_b32 v1, v1, 0
	v_bcnt_u32_b32 v1, v2, v1
	s_waitcnt lgkmcnt(0)
	v_add_u32_e32 v1, v46, v1
	ds_write_b32 v47, v1 offset:4
.LBB150_18:                             ;   in Loop: Header=BB150_4 Depth=2
	s_or_b64 exec, exec, s[16:17]
	v_lshrrev_b32_e32 v2, s33, v19
	v_lshrrev_b32_e32 v1, s29, v20
	v_and_b32_e32 v2, s34, v2
	v_and_b32_e32 v1, s31, v1
	v_lshlrev_b32_e32 v2, s30, v2
	v_cndmask_b32_e64 v1, 0, v1, s[14:15]
	v_cndmask_b32_e32 v2, 0, v2, vcc
	v_or_b32_e32 v1, v1, v2
	v_and_b32_e32 v2, 1, v1
	v_add_co_u32_e32 v3, vcc, -1, v2
	v_addc_co_u32_e64 v4, s[14:15], 0, -1, vcc
	v_cmp_ne_u32_e32 vcc, 0, v2
	v_lshlrev_b32_e32 v18, 30, v1
	v_xor_b32_e32 v2, vcc_hi, v4
	v_xor_b32_e32 v3, vcc_lo, v3
	v_cmp_gt_i64_e32 vcc, 0, v[17:18]
	v_not_b32_e32 v4, v18
	v_ashrrev_i32_e32 v4, 31, v4
	v_and_b32_e32 v2, exec_hi, v2
	v_xor_b32_e32 v18, vcc_hi, v4
	v_and_b32_e32 v3, exec_lo, v3
	v_xor_b32_e32 v4, vcc_lo, v4
	v_and_b32_e32 v2, v2, v18
	v_lshlrev_b32_e32 v18, 29, v1
	v_and_b32_e32 v3, v3, v4
	v_cmp_gt_i64_e32 vcc, 0, v[17:18]
	v_not_b32_e32 v4, v18
	v_ashrrev_i32_e32 v4, 31, v4
	v_xor_b32_e32 v18, vcc_hi, v4
	v_xor_b32_e32 v4, vcc_lo, v4
	v_and_b32_e32 v2, v2, v18
	v_lshlrev_b32_e32 v18, 28, v1
	v_and_b32_e32 v3, v3, v4
	v_cmp_gt_i64_e32 vcc, 0, v[17:18]
	v_not_b32_e32 v4, v18
	v_ashrrev_i32_e32 v4, 31, v4
	v_xor_b32_e32 v18, vcc_hi, v4
	;; [unrolled: 8-line block ×5, first 2 shown]
	v_and_b32_e32 v2, v2, v18
	v_lshlrev_b32_e32 v18, 24, v1
	v_lshl_add_u32 v50, v1, 2, v39
	v_xor_b32_e32 v4, vcc_lo, v4
	v_cmp_gt_i64_e32 vcc, 0, v[17:18]
	v_not_b32_e32 v1, v18
	v_ashrrev_i32_e32 v1, 31, v1
	v_and_b32_e32 v3, v3, v4
	v_xor_b32_e32 v4, vcc_hi, v1
	v_xor_b32_e32 v1, vcc_lo, v1
	; wave barrier
	ds_read_b32 v49, v50 offset:4
	v_and_b32_e32 v1, v3, v1
	v_and_b32_e32 v2, v2, v4
	v_mbcnt_lo_u32_b32 v3, v1, 0
	v_mbcnt_hi_u32_b32 v51, v2, v3
	v_cmp_ne_u64_e32 vcc, 0, v[1:2]
	v_cmp_eq_u32_e64 s[14:15], 0, v51
	s_and_b64 s[16:17], s[14:15], vcc
	; wave barrier
	s_and_saveexec_b64 s[14:15], s[16:17]
	s_cbranch_execz .LBB150_20
; %bb.19:                               ;   in Loop: Header=BB150_4 Depth=2
	v_bcnt_u32_b32 v1, v1, 0
	v_bcnt_u32_b32 v1, v2, v1
	s_waitcnt lgkmcnt(0)
	v_add_u32_e32 v1, v49, v1
	ds_write_b32 v50, v1 offset:4
.LBB150_20:                             ;   in Loop: Header=BB150_4 Depth=2
	s_or_b64 exec, exec, s[14:15]
	; wave barrier
	s_waitcnt lgkmcnt(0)
	; wave barrier
	ds_read2_b32 v[3:4], v37 offset0:1 offset1:2
	ds_read2_b32 v[1:2], v37 offset0:3 offset1:4
	s_waitcnt lgkmcnt(1)
	v_add_u32_e32 v18, v4, v3
	s_waitcnt lgkmcnt(0)
	v_add3_u32 v2, v18, v1, v2
	s_nop 1
	v_mov_b32_dpp v18, v2 row_shr:1 row_mask:0xf bank_mask:0xf
	v_cndmask_b32_e64 v18, v18, 0, s[0:1]
	v_add_u32_e32 v2, v18, v2
	s_nop 1
	v_mov_b32_dpp v18, v2 row_shr:2 row_mask:0xf bank_mask:0xf
	v_cndmask_b32_e64 v18, 0, v18, s[2:3]
	v_add_u32_e32 v2, v2, v18
	;; [unrolled: 4-line block ×4, first 2 shown]
	s_nop 1
	v_mov_b32_dpp v18, v2 row_bcast:15 row_mask:0xf bank_mask:0xf
	v_cndmask_b32_e64 v18, v18, 0, s[8:9]
	v_add_u32_e32 v2, v2, v18
	s_nop 1
	v_mov_b32_dpp v18, v2 row_bcast:31 row_mask:0xf bank_mask:0xf
	v_cndmask_b32_e64 v18, 0, v18, s[10:11]
	v_add_u32_e32 v2, v2, v18
	s_and_saveexec_b64 s[14:15], s[12:13]
; %bb.21:                               ;   in Loop: Header=BB150_4 Depth=2
	ds_write_b32 v17, v2
; %bb.22:                               ;   in Loop: Header=BB150_4 Depth=2
	s_or_b64 exec, exec, s[14:15]
	ds_bpermute_b32 v2, v38, v2
	s_waitcnt lgkmcnt(0)
	; wave barrier
	v_lshlrev_b32_e32 v6, 3, v6
	s_cmp_gt_u32 s29, 55
	v_cndmask_b32_e64 v2, v2, 0, s[20:21]
	v_add_u32_e32 v3, v2, v3
	v_add_u32_e32 v4, v3, v4
	;; [unrolled: 1-line block ×3, first 2 shown]
	ds_write2_b32 v37, v2, v3 offset0:1 offset1:2
	ds_write2_b32 v37, v4, v1 offset0:3 offset1:4
	s_waitcnt lgkmcnt(0)
	; wave barrier
	ds_read_b32 v1, v5 offset:4
	ds_read_b32 v2, v8 offset:4
	ds_read_b32 v3, v11 offset:4
	ds_read_b32 v4, v14 offset:4
	ds_read_b32 v5, v41 offset:4
	ds_read_b32 v8, v44 offset:4
	ds_read_b32 v11, v47 offset:4
	ds_read_b32 v14, v50 offset:4
	s_waitcnt lgkmcnt(7)
	v_lshl_add_u32 v18, v1, 3, v6
	v_lshlrev_b32_e32 v1, 3, v9
	v_lshlrev_b32_e32 v6, 3, v7
	s_waitcnt lgkmcnt(6)
	v_lshlrev_b32_e32 v2, 3, v2
	v_add3_u32 v41, v1, v6, v2
	v_lshlrev_b32_e32 v1, 3, v12
	v_lshlrev_b32_e32 v2, 3, v10
	s_waitcnt lgkmcnt(5)
	v_lshlrev_b32_e32 v3, 3, v3
	v_add3_u32 v44, v1, v2, v3
	;; [unrolled: 5-line block ×7, first 2 shown]
	s_mov_b64 s[14:15], -1
                                        ; implicit-def: $vgpr1_vgpr2
                                        ; implicit-def: $vgpr5_vgpr6
                                        ; implicit-def: $vgpr9_vgpr10
                                        ; implicit-def: $vgpr13_vgpr14
	s_cbranch_scc1 .LBB150_3
; %bb.23:                               ;   in Loop: Header=BB150_4 Depth=2
	; wave barrier
	ds_write_b64 v18, v[33:34]
	ds_write_b64 v41, v[31:32]
	;; [unrolled: 1-line block ×8, first 2 shown]
	s_waitcnt lgkmcnt(0)
	; wave barrier
	ds_read2st64_b64 v[1:4], v36 offset1:1
	ds_read2st64_b64 v[5:8], v36 offset0:2 offset1:3
	ds_read2st64_b64 v[9:12], v36 offset0:4 offset1:5
	;; [unrolled: 1-line block ×3, first 2 shown]
	s_add_i32 s28, s28, -8
	s_add_i32 s24, s24, 8
	s_add_i32 s29, s29, 8
	s_mov_b64 s[14:15], 0
	s_waitcnt lgkmcnt(0)
	; wave barrier
	s_branch .LBB150_3
.LBB150_24:
	s_add_u32 s0, s22, s26
	s_addc_u32 s1, s23, s27
	v_lshlrev_b32_e32 v0, 3, v0
	global_store_dwordx2 v0, v[3:4], s[0:1]
	global_store_dwordx2 v0, v[5:6], s[0:1] offset:512
	global_store_dwordx2 v0, v[7:8], s[0:1] offset:1024
	;; [unrolled: 1-line block ×7, first 2 shown]
	s_endpgm
	.section	.rodata,"a",@progbits
	.p2align	6, 0x0
	.amdhsa_kernel _Z16sort_keys_kernelI22helper_blocked_blockedN15benchmark_utils11custom_typeIiiEELj64ELj8ELj10EEvPKT0_PS4_
		.amdhsa_group_segment_fixed_size 4096
		.amdhsa_private_segment_fixed_size 0
		.amdhsa_kernarg_size 272
		.amdhsa_user_sgpr_count 6
		.amdhsa_user_sgpr_private_segment_buffer 1
		.amdhsa_user_sgpr_dispatch_ptr 0
		.amdhsa_user_sgpr_queue_ptr 0
		.amdhsa_user_sgpr_kernarg_segment_ptr 1
		.amdhsa_user_sgpr_dispatch_id 0
		.amdhsa_user_sgpr_flat_scratch_init 0
		.amdhsa_user_sgpr_private_segment_size 0
		.amdhsa_uses_dynamic_stack 0
		.amdhsa_system_sgpr_private_segment_wavefront_offset 0
		.amdhsa_system_sgpr_workgroup_id_x 1
		.amdhsa_system_sgpr_workgroup_id_y 0
		.amdhsa_system_sgpr_workgroup_id_z 0
		.amdhsa_system_sgpr_workgroup_info 0
		.amdhsa_system_vgpr_workitem_id 2
		.amdhsa_next_free_vgpr 52
		.amdhsa_next_free_sgpr 98
		.amdhsa_reserve_vcc 1
		.amdhsa_reserve_flat_scratch 0
		.amdhsa_float_round_mode_32 0
		.amdhsa_float_round_mode_16_64 0
		.amdhsa_float_denorm_mode_32 3
		.amdhsa_float_denorm_mode_16_64 3
		.amdhsa_dx10_clamp 1
		.amdhsa_ieee_mode 1
		.amdhsa_fp16_overflow 0
		.amdhsa_exception_fp_ieee_invalid_op 0
		.amdhsa_exception_fp_denorm_src 0
		.amdhsa_exception_fp_ieee_div_zero 0
		.amdhsa_exception_fp_ieee_overflow 0
		.amdhsa_exception_fp_ieee_underflow 0
		.amdhsa_exception_fp_ieee_inexact 0
		.amdhsa_exception_int_div_zero 0
	.end_amdhsa_kernel
	.section	.text._Z16sort_keys_kernelI22helper_blocked_blockedN15benchmark_utils11custom_typeIiiEELj64ELj8ELj10EEvPKT0_PS4_,"axG",@progbits,_Z16sort_keys_kernelI22helper_blocked_blockedN15benchmark_utils11custom_typeIiiEELj64ELj8ELj10EEvPKT0_PS4_,comdat
.Lfunc_end150:
	.size	_Z16sort_keys_kernelI22helper_blocked_blockedN15benchmark_utils11custom_typeIiiEELj64ELj8ELj10EEvPKT0_PS4_, .Lfunc_end150-_Z16sort_keys_kernelI22helper_blocked_blockedN15benchmark_utils11custom_typeIiiEELj64ELj8ELj10EEvPKT0_PS4_
                                        ; -- End function
	.set _Z16sort_keys_kernelI22helper_blocked_blockedN15benchmark_utils11custom_typeIiiEELj64ELj8ELj10EEvPKT0_PS4_.num_vgpr, 52
	.set _Z16sort_keys_kernelI22helper_blocked_blockedN15benchmark_utils11custom_typeIiiEELj64ELj8ELj10EEvPKT0_PS4_.num_agpr, 0
	.set _Z16sort_keys_kernelI22helper_blocked_blockedN15benchmark_utils11custom_typeIiiEELj64ELj8ELj10EEvPKT0_PS4_.numbered_sgpr, 35
	.set _Z16sort_keys_kernelI22helper_blocked_blockedN15benchmark_utils11custom_typeIiiEELj64ELj8ELj10EEvPKT0_PS4_.num_named_barrier, 0
	.set _Z16sort_keys_kernelI22helper_blocked_blockedN15benchmark_utils11custom_typeIiiEELj64ELj8ELj10EEvPKT0_PS4_.private_seg_size, 0
	.set _Z16sort_keys_kernelI22helper_blocked_blockedN15benchmark_utils11custom_typeIiiEELj64ELj8ELj10EEvPKT0_PS4_.uses_vcc, 1
	.set _Z16sort_keys_kernelI22helper_blocked_blockedN15benchmark_utils11custom_typeIiiEELj64ELj8ELj10EEvPKT0_PS4_.uses_flat_scratch, 0
	.set _Z16sort_keys_kernelI22helper_blocked_blockedN15benchmark_utils11custom_typeIiiEELj64ELj8ELj10EEvPKT0_PS4_.has_dyn_sized_stack, 0
	.set _Z16sort_keys_kernelI22helper_blocked_blockedN15benchmark_utils11custom_typeIiiEELj64ELj8ELj10EEvPKT0_PS4_.has_recursion, 0
	.set _Z16sort_keys_kernelI22helper_blocked_blockedN15benchmark_utils11custom_typeIiiEELj64ELj8ELj10EEvPKT0_PS4_.has_indirect_call, 0
	.section	.AMDGPU.csdata,"",@progbits
; Kernel info:
; codeLenInByte = 5056
; TotalNumSgprs: 39
; NumVgprs: 52
; ScratchSize: 0
; MemoryBound: 0
; FloatMode: 240
; IeeeMode: 1
; LDSByteSize: 4096 bytes/workgroup (compile time only)
; SGPRBlocks: 12
; VGPRBlocks: 12
; NumSGPRsForWavesPerEU: 102
; NumVGPRsForWavesPerEU: 52
; Occupancy: 4
; WaveLimiterHint : 1
; COMPUTE_PGM_RSRC2:SCRATCH_EN: 0
; COMPUTE_PGM_RSRC2:USER_SGPR: 6
; COMPUTE_PGM_RSRC2:TRAP_HANDLER: 0
; COMPUTE_PGM_RSRC2:TGID_X_EN: 1
; COMPUTE_PGM_RSRC2:TGID_Y_EN: 0
; COMPUTE_PGM_RSRC2:TGID_Z_EN: 0
; COMPUTE_PGM_RSRC2:TIDIG_COMP_CNT: 2
	.section	.text._Z17sort_pairs_kernelI22helper_blocked_blockedN15benchmark_utils11custom_typeIiiEELj64ELj8ELj10EEvPKT0_PS4_,"axG",@progbits,_Z17sort_pairs_kernelI22helper_blocked_blockedN15benchmark_utils11custom_typeIiiEELj64ELj8ELj10EEvPKT0_PS4_,comdat
	.protected	_Z17sort_pairs_kernelI22helper_blocked_blockedN15benchmark_utils11custom_typeIiiEELj64ELj8ELj10EEvPKT0_PS4_ ; -- Begin function _Z17sort_pairs_kernelI22helper_blocked_blockedN15benchmark_utils11custom_typeIiiEELj64ELj8ELj10EEvPKT0_PS4_
	.globl	_Z17sort_pairs_kernelI22helper_blocked_blockedN15benchmark_utils11custom_typeIiiEELj64ELj8ELj10EEvPKT0_PS4_
	.p2align	8
	.type	_Z17sort_pairs_kernelI22helper_blocked_blockedN15benchmark_utils11custom_typeIiiEELj64ELj8ELj10EEvPKT0_PS4_,@function
_Z17sort_pairs_kernelI22helper_blocked_blockedN15benchmark_utils11custom_typeIiiEELj64ELj8ELj10EEvPKT0_PS4_: ; @_Z17sort_pairs_kernelI22helper_blocked_blockedN15benchmark_utils11custom_typeIiiEELj64ELj8ELj10EEvPKT0_PS4_
; %bb.0:
	s_load_dwordx4 s[20:23], s[4:5], 0x0
	s_load_dword s18, s[4:5], 0x1c
	s_lshl_b32 s26, s6, 9
	s_mov_b32 s27, 0
	s_lshl_b64 s[24:25], s[26:27], 3
	s_waitcnt lgkmcnt(0)
	s_add_u32 s0, s20, s24
	s_addc_u32 s1, s21, s25
	v_lshlrev_b32_e32 v13, 3, v0
	global_load_dwordx2 v[3:4], v13, s[0:1]
	global_load_dwordx2 v[5:6], v13, s[0:1] offset:512
	global_load_dwordx2 v[7:8], v13, s[0:1] offset:1024
	;; [unrolled: 1-line block ×7, first 2 shown]
	v_mbcnt_lo_u32_b32 v13, -1, 0
	v_mbcnt_hi_u32_b32 v13, -1, v13
	v_subrev_co_u32_e64 v16, s[14:15], 1, v13
	v_and_b32_e32 v17, 64, v13
	v_cmp_lt_i32_e64 s[16:17], v16, v17
	v_lshlrev_b32_e32 v68, 6, v13
	v_lshlrev_b32_e32 v69, 3, v13
	v_and_b32_e32 v14, 15, v13
	v_and_b32_e32 v15, 16, v13
	v_cmp_lt_u32_e64 s[2:3], 31, v13
	v_cndmask_b32_e64 v13, v16, v13, s[16:17]
	s_lshr_b32 s16, s18, 16
	s_and_b32 s17, s18, 0xffff
	v_mad_u32_u24 v1, v2, s16, v1
	v_mad_u32_u24 v1, v1, s17, v0
	v_lshlrev_b32_e32 v67, 4, v0
	v_cmp_eq_u32_e32 vcc, 0, v0
	v_mul_u32_u24_e32 v36, 48, v0
	v_lshrrev_b32_e32 v1, 4, v1
	v_mov_b32_e32 v33, 0
	v_cmp_eq_u32_e64 s[0:1], 63, v0
	v_cmp_eq_u32_e64 s[4:5], 0, v14
	v_cmp_lt_u32_e64 s[6:7], 1, v14
	v_cmp_lt_u32_e64 s[8:9], 3, v14
	;; [unrolled: 1-line block ×3, first 2 shown]
	v_cmp_eq_u32_e64 s[12:13], 0, v15
	v_lshlrev_b32_e32 v70, 2, v13
	s_or_b64 s[20:21], vcc, s[14:15]
	v_and_b32_e32 v71, 0xffffffc, v1
	v_add_u32_e32 v72, v67, v36
	s_waitcnt vmcnt(7)
	v_add_u32_e32 v26, 1, v4
	v_add_u32_e32 v25, 1, v3
	s_waitcnt vmcnt(6)
	v_add_u32_e32 v28, 1, v6
	;; [unrolled: 3-line block ×8, first 2 shown]
	v_add_u32_e32 v15, 1, v34
	s_branch .LBB151_2
.LBB151_1:                              ;   in Loop: Header=BB151_2 Depth=1
	; wave barrier
	ds_write_b64 v34, v[65:66]
	ds_write_b64 v73, v[63:64]
	;; [unrolled: 1-line block ×8, first 2 shown]
	s_waitcnt lgkmcnt(0)
	; wave barrier
	ds_read2_b64 v[3:6], v72 offset1:1
	ds_read2_b64 v[7:10], v72 offset0:2 offset1:3
	ds_read2_b64 v[29:32], v72 offset0:4 offset1:5
	;; [unrolled: 1-line block ×3, first 2 shown]
	s_waitcnt lgkmcnt(0)
	; wave barrier
	ds_write_b64 v34, v[49:50]
	ds_write_b64 v73, v[47:48]
	;; [unrolled: 1-line block ×8, first 2 shown]
	s_waitcnt lgkmcnt(0)
	; wave barrier
	ds_read2_b64 v[25:28], v72 offset1:1
	ds_read2_b64 v[21:24], v72 offset0:2 offset1:3
	ds_read2_b64 v[17:20], v72 offset0:4 offset1:5
	;; [unrolled: 1-line block ×3, first 2 shown]
	s_add_i32 s27, s27, 1
	v_xor_b32_e32 v3, 0x80000000, v3
	v_xor_b32_e32 v4, 0x80000000, v4
	v_xor_b32_e32 v5, 0x80000000, v5
	v_xor_b32_e32 v6, 0x80000000, v6
	v_xor_b32_e32 v7, 0x80000000, v7
	v_xor_b32_e32 v8, 0x80000000, v8
	v_xor_b32_e32 v9, 0x80000000, v9
	v_xor_b32_e32 v10, 0x80000000, v10
	v_xor_b32_e32 v11, 0x80000000, v29
	v_xor_b32_e32 v12, 0x80000000, v30
	v_xor_b32_e32 v29, 0x80000000, v31
	v_xor_b32_e32 v30, 0x80000000, v32
	v_xor_b32_e32 v31, 0x80000000, v51
	v_xor_b32_e32 v32, 0x80000000, v52
	v_xor_b32_e32 v34, 0x80000000, v53
	s_cmp_lg_u32 s27, 10
	v_xor_b32_e32 v35, 0x80000000, v54
	s_cbranch_scc0 .LBB151_24
.LBB151_2:                              ; =>This Loop Header: Depth=1
                                        ;     Child Loop BB151_4 Depth 2
	v_xor_b32_e32 v2, 0x80000000, v4
	v_xor_b32_e32 v1, 0x80000000, v3
	;; [unrolled: 1-line block ×16, first 2 shown]
	ds_write2_b64 v68, v[1:2], v[3:4] offset1:1
	ds_write2_b64 v68, v[5:6], v[7:8] offset0:2 offset1:3
	ds_write2_b64 v68, v[9:10], v[11:12] offset0:4 offset1:5
	;; [unrolled: 1-line block ×3, first 2 shown]
	; wave barrier
	ds_read2st64_b64 v[1:4], v69 offset1:1
	ds_read2st64_b64 v[5:8], v69 offset0:2 offset1:3
	ds_read2st64_b64 v[9:12], v69 offset0:4 offset1:5
	;; [unrolled: 1-line block ×3, first 2 shown]
	; wave barrier
	s_waitcnt lgkmcnt(11)
	ds_write2_b64 v68, v[25:26], v[27:28] offset1:1
	s_waitcnt lgkmcnt(11)
	ds_write2_b64 v68, v[21:22], v[23:24] offset0:2 offset1:3
	s_waitcnt lgkmcnt(11)
	ds_write2_b64 v68, v[17:18], v[19:20] offset0:4 offset1:5
	;; [unrolled: 2-line block ×3, first 2 shown]
	; wave barrier
	ds_read2st64_b64 v[13:16], v69 offset1:1
	ds_read2st64_b64 v[17:20], v69 offset0:2 offset1:3
	ds_read2st64_b64 v[21:24], v69 offset0:4 offset1:5
	;; [unrolled: 1-line block ×3, first 2 shown]
	s_mov_b32 s26, 8
	s_mov_b32 s28, 32
	;; [unrolled: 1-line block ×3, first 2 shown]
	s_waitcnt lgkmcnt(0)
	; wave barrier
	s_branch .LBB151_4
.LBB151_3:                              ;   in Loop: Header=BB151_4 Depth=2
	s_andn2_b64 vcc, exec, s[14:15]
	s_cbranch_vccz .LBB151_1
.LBB151_4:                              ;   Parent Loop BB151_2 Depth=1
                                        ; =>  This Inner Loop Header: Depth=2
	s_min_i32 s16, s26, 32
	s_cmp_lt_u32 s29, 32
	s_cselect_b64 s[14:15], -1, 0
	s_cmp_gt_u32 s29, 31
	s_cselect_b64 vcc, -1, 0
	s_sub_i32 s16, s16, 32
	s_add_i32 s17, s16, s28
	s_lshl_b32 s17, -1, s17
	s_not_b32 s17, s17
	s_cmp_lg_u32 s16, s29
	s_cselect_b32 s31, s17, -1
	s_max_i32 s30, s28, 0
	s_max_i32 s16, s29, 32
	s_sub_i32 s33, s16, 32
	s_sub_i32 s16, s16, s30
	;; [unrolled: 1-line block ×3, first 2 shown]
	s_min_i32 s16, s16, 32
	s_sub_i32 s16, s16, s33
	s_lshl_b32 s17, -1, s16
	v_mov_b32_e32 v66, v2
	s_not_b32 s17, s17
	v_mov_b32_e32 v65, v1
	s_cmp_lg_u32 s16, 32
	s_cselect_b32 s34, s17, -1
	v_lshrrev_b32_e32 v2, s33, v65
	v_lshrrev_b32_e32 v1, s29, v66
	v_and_b32_e32 v2, s34, v2
	v_and_b32_e32 v1, s31, v1
	v_lshlrev_b32_e32 v2, s30, v2
	v_cndmask_b32_e64 v1, 0, v1, s[14:15]
	v_cndmask_b32_e32 v2, 0, v2, vcc
	v_or_b32_e32 v1, v1, v2
	v_mov_b32_e32 v64, v4
	v_and_b32_e32 v2, 1, v1
	v_mov_b32_e32 v63, v3
	v_add_co_u32_e64 v3, s[16:17], -1, v2
	v_addc_co_u32_e64 v4, s[16:17], 0, -1, s[16:17]
	v_cmp_ne_u32_e64 s[16:17], 0, v2
	v_lshlrev_b32_e32 v34, 30, v1
	v_xor_b32_e32 v2, s17, v4
	v_xor_b32_e32 v3, s16, v3
	v_cmp_gt_i64_e64 s[16:17], 0, v[33:34]
	v_not_b32_e32 v4, v34
	v_mov_b32_e32 v62, v6
	v_ashrrev_i32_e32 v4, 31, v4
	v_mov_b32_e32 v61, v5
	v_and_b32_e32 v3, exec_lo, v3
	v_xor_b32_e32 v6, s17, v4
	v_xor_b32_e32 v4, s16, v4
	v_lshlrev_b32_e32 v34, 29, v1
	v_and_b32_e32 v3, v3, v4
	v_cmp_gt_i64_e64 s[16:17], 0, v[33:34]
	v_not_b32_e32 v4, v34
	v_and_b32_e32 v2, exec_hi, v2
	v_ashrrev_i32_e32 v4, 31, v4
	v_and_b32_e32 v2, v2, v6
	v_xor_b32_e32 v6, s17, v4
	v_xor_b32_e32 v4, s16, v4
	v_lshlrev_b32_e32 v34, 28, v1
	v_and_b32_e32 v3, v3, v4
	v_cmp_gt_i64_e64 s[16:17], 0, v[33:34]
	v_not_b32_e32 v4, v34
	v_ashrrev_i32_e32 v4, 31, v4
	v_and_b32_e32 v2, v2, v6
	v_xor_b32_e32 v6, s17, v4
	v_xor_b32_e32 v4, s16, v4
	v_lshlrev_b32_e32 v34, 27, v1
	v_and_b32_e32 v3, v3, v4
	v_cmp_gt_i64_e64 s[16:17], 0, v[33:34]
	v_not_b32_e32 v4, v34
	;; [unrolled: 8-line block ×4, first 2 shown]
	v_ashrrev_i32_e32 v4, 31, v4
	v_lshlrev_b32_e32 v34, 24, v1
	v_lshl_add_u32 v5, v1, 2, v71
	v_and_b32_e32 v2, v2, v6
	v_xor_b32_e32 v6, s17, v4
	v_xor_b32_e32 v4, s16, v4
	v_cmp_gt_i64_e64 s[16:17], 0, v[33:34]
	v_not_b32_e32 v1, v34
	v_ashrrev_i32_e32 v1, 31, v1
	v_and_b32_e32 v3, v3, v4
	v_xor_b32_e32 v4, s17, v1
	v_xor_b32_e32 v1, s16, v1
	v_and_b32_e32 v2, v2, v6
	v_and_b32_e32 v1, v3, v1
	;; [unrolled: 1-line block ×3, first 2 shown]
	v_mbcnt_lo_u32_b32 v3, v1, 0
	v_mbcnt_hi_u32_b32 v6, v2, v3
	v_cmp_ne_u64_e64 s[16:17], 0, v[1:2]
	v_mov_b32_e32 v50, v14
	v_mov_b32_e32 v48, v16
	;; [unrolled: 1-line block ×13, first 2 shown]
	v_cmp_eq_u32_e64 s[18:19], 0, v6
	v_mov_b32_e32 v49, v13
	v_mov_b32_e32 v47, v15
	v_mov_b32_e32 v45, v17
	v_mov_b32_e32 v43, v19
	v_mov_b32_e32 v41, v21
	v_mov_b32_e32 v39, v23
	v_mov_b32_e32 v37, v25
	v_mov_b32_e32 v35, v27
	v_mov_b32_e32 v59, v7
	v_mov_b32_e32 v57, v9
	v_mov_b32_e32 v55, v11
	v_mov_b32_e32 v53, v29
	v_mov_b32_e32 v51, v31
	s_and_b64 s[18:19], s[18:19], s[16:17]
	ds_write2_b32 v67, v33, v33 offset0:1 offset1:2
	ds_write2_b32 v67, v33, v33 offset0:3 offset1:4
	s_waitcnt lgkmcnt(0)
	; wave barrier
	; wave barrier
	s_and_saveexec_b64 s[16:17], s[18:19]
; %bb.5:                                ;   in Loop: Header=BB151_4 Depth=2
	v_bcnt_u32_b32 v1, v1, 0
	v_bcnt_u32_b32 v1, v2, v1
	ds_write_b32 v5, v1 offset:4
; %bb.6:                                ;   in Loop: Header=BB151_4 Depth=2
	s_or_b64 exec, exec, s[16:17]
	v_lshrrev_b32_e32 v2, s33, v63
	v_lshrrev_b32_e32 v1, s29, v64
	v_and_b32_e32 v2, s34, v2
	v_and_b32_e32 v1, s31, v1
	v_lshlrev_b32_e32 v2, s30, v2
	v_cndmask_b32_e64 v1, 0, v1, s[14:15]
	v_cndmask_b32_e32 v2, 0, v2, vcc
	v_or_b32_e32 v1, v1, v2
	v_and_b32_e32 v2, 1, v1
	v_add_co_u32_e64 v3, s[16:17], -1, v2
	v_addc_co_u32_e64 v4, s[16:17], 0, -1, s[16:17]
	v_cmp_ne_u32_e64 s[16:17], 0, v2
	v_lshlrev_b32_e32 v34, 30, v1
	v_xor_b32_e32 v2, s17, v4
	v_xor_b32_e32 v3, s16, v3
	v_cmp_gt_i64_e64 s[16:17], 0, v[33:34]
	v_not_b32_e32 v4, v34
	v_ashrrev_i32_e32 v4, 31, v4
	v_and_b32_e32 v3, exec_lo, v3
	v_xor_b32_e32 v9, s17, v4
	v_xor_b32_e32 v4, s16, v4
	v_lshlrev_b32_e32 v34, 29, v1
	v_and_b32_e32 v3, v3, v4
	v_cmp_gt_i64_e64 s[16:17], 0, v[33:34]
	v_not_b32_e32 v4, v34
	v_and_b32_e32 v2, exec_hi, v2
	v_ashrrev_i32_e32 v4, 31, v4
	v_and_b32_e32 v2, v2, v9
	v_xor_b32_e32 v9, s17, v4
	v_xor_b32_e32 v4, s16, v4
	v_lshlrev_b32_e32 v34, 28, v1
	v_and_b32_e32 v3, v3, v4
	v_cmp_gt_i64_e64 s[16:17], 0, v[33:34]
	v_not_b32_e32 v4, v34
	v_ashrrev_i32_e32 v4, 31, v4
	v_and_b32_e32 v2, v2, v9
	v_xor_b32_e32 v9, s17, v4
	v_xor_b32_e32 v4, s16, v4
	v_lshlrev_b32_e32 v34, 27, v1
	v_and_b32_e32 v3, v3, v4
	v_cmp_gt_i64_e64 s[16:17], 0, v[33:34]
	v_not_b32_e32 v4, v34
	;; [unrolled: 8-line block ×4, first 2 shown]
	v_ashrrev_i32_e32 v4, 31, v4
	v_lshlrev_b32_e32 v34, 24, v1
	v_lshl_add_u32 v8, v1, 2, v71
	v_and_b32_e32 v2, v2, v9
	v_xor_b32_e32 v9, s17, v4
	v_xor_b32_e32 v4, s16, v4
	v_cmp_gt_i64_e64 s[16:17], 0, v[33:34]
	v_not_b32_e32 v1, v34
	v_ashrrev_i32_e32 v1, 31, v1
	v_and_b32_e32 v3, v3, v4
	v_xor_b32_e32 v4, s17, v1
	v_xor_b32_e32 v1, s16, v1
	; wave barrier
	ds_read_b32 v7, v8 offset:4
	v_and_b32_e32 v2, v2, v9
	v_and_b32_e32 v1, v3, v1
	;; [unrolled: 1-line block ×3, first 2 shown]
	v_mbcnt_lo_u32_b32 v3, v1, 0
	v_mbcnt_hi_u32_b32 v9, v2, v3
	v_cmp_ne_u64_e64 s[16:17], 0, v[1:2]
	v_cmp_eq_u32_e64 s[18:19], 0, v9
	s_and_b64 s[18:19], s[18:19], s[16:17]
	; wave barrier
	s_and_saveexec_b64 s[16:17], s[18:19]
	s_cbranch_execz .LBB151_8
; %bb.7:                                ;   in Loop: Header=BB151_4 Depth=2
	v_bcnt_u32_b32 v1, v1, 0
	v_bcnt_u32_b32 v1, v2, v1
	s_waitcnt lgkmcnt(0)
	v_add_u32_e32 v1, v7, v1
	ds_write_b32 v8, v1 offset:4
.LBB151_8:                              ;   in Loop: Header=BB151_4 Depth=2
	s_or_b64 exec, exec, s[16:17]
	v_lshrrev_b32_e32 v2, s33, v61
	v_lshrrev_b32_e32 v1, s29, v62
	v_and_b32_e32 v2, s34, v2
	v_and_b32_e32 v1, s31, v1
	v_lshlrev_b32_e32 v2, s30, v2
	v_cndmask_b32_e64 v1, 0, v1, s[14:15]
	v_cndmask_b32_e32 v2, 0, v2, vcc
	v_or_b32_e32 v1, v1, v2
	v_and_b32_e32 v2, 1, v1
	v_add_co_u32_e64 v3, s[16:17], -1, v2
	v_addc_co_u32_e64 v4, s[16:17], 0, -1, s[16:17]
	v_cmp_ne_u32_e64 s[16:17], 0, v2
	v_lshlrev_b32_e32 v34, 30, v1
	v_xor_b32_e32 v2, s17, v4
	v_xor_b32_e32 v3, s16, v3
	v_cmp_gt_i64_e64 s[16:17], 0, v[33:34]
	v_not_b32_e32 v4, v34
	v_ashrrev_i32_e32 v4, 31, v4
	v_and_b32_e32 v3, exec_lo, v3
	v_xor_b32_e32 v12, s17, v4
	v_xor_b32_e32 v4, s16, v4
	v_lshlrev_b32_e32 v34, 29, v1
	v_and_b32_e32 v3, v3, v4
	v_cmp_gt_i64_e64 s[16:17], 0, v[33:34]
	v_not_b32_e32 v4, v34
	v_and_b32_e32 v2, exec_hi, v2
	v_ashrrev_i32_e32 v4, 31, v4
	v_and_b32_e32 v2, v2, v12
	v_xor_b32_e32 v12, s17, v4
	v_xor_b32_e32 v4, s16, v4
	v_lshlrev_b32_e32 v34, 28, v1
	v_and_b32_e32 v3, v3, v4
	v_cmp_gt_i64_e64 s[16:17], 0, v[33:34]
	v_not_b32_e32 v4, v34
	v_ashrrev_i32_e32 v4, 31, v4
	v_and_b32_e32 v2, v2, v12
	v_xor_b32_e32 v12, s17, v4
	v_xor_b32_e32 v4, s16, v4
	v_lshlrev_b32_e32 v34, 27, v1
	v_and_b32_e32 v3, v3, v4
	v_cmp_gt_i64_e64 s[16:17], 0, v[33:34]
	v_not_b32_e32 v4, v34
	;; [unrolled: 8-line block ×4, first 2 shown]
	v_ashrrev_i32_e32 v4, 31, v4
	v_lshlrev_b32_e32 v34, 24, v1
	v_lshl_add_u32 v11, v1, 2, v71
	v_and_b32_e32 v2, v2, v12
	v_xor_b32_e32 v12, s17, v4
	v_xor_b32_e32 v4, s16, v4
	v_cmp_gt_i64_e64 s[16:17], 0, v[33:34]
	v_not_b32_e32 v1, v34
	v_ashrrev_i32_e32 v1, 31, v1
	v_and_b32_e32 v3, v3, v4
	v_xor_b32_e32 v4, s17, v1
	v_xor_b32_e32 v1, s16, v1
	; wave barrier
	ds_read_b32 v10, v11 offset:4
	v_and_b32_e32 v2, v2, v12
	v_and_b32_e32 v1, v3, v1
	;; [unrolled: 1-line block ×3, first 2 shown]
	v_mbcnt_lo_u32_b32 v3, v1, 0
	v_mbcnt_hi_u32_b32 v12, v2, v3
	v_cmp_ne_u64_e64 s[16:17], 0, v[1:2]
	v_cmp_eq_u32_e64 s[18:19], 0, v12
	s_and_b64 s[18:19], s[18:19], s[16:17]
	; wave barrier
	s_and_saveexec_b64 s[16:17], s[18:19]
	s_cbranch_execz .LBB151_10
; %bb.9:                                ;   in Loop: Header=BB151_4 Depth=2
	v_bcnt_u32_b32 v1, v1, 0
	v_bcnt_u32_b32 v1, v2, v1
	s_waitcnt lgkmcnt(0)
	v_add_u32_e32 v1, v10, v1
	ds_write_b32 v11, v1 offset:4
.LBB151_10:                             ;   in Loop: Header=BB151_4 Depth=2
	s_or_b64 exec, exec, s[16:17]
	v_lshrrev_b32_e32 v2, s33, v59
	v_lshrrev_b32_e32 v1, s29, v60
	v_and_b32_e32 v2, s34, v2
	v_and_b32_e32 v1, s31, v1
	v_lshlrev_b32_e32 v2, s30, v2
	v_cndmask_b32_e64 v1, 0, v1, s[14:15]
	v_cndmask_b32_e32 v2, 0, v2, vcc
	v_or_b32_e32 v1, v1, v2
	v_and_b32_e32 v2, 1, v1
	v_add_co_u32_e64 v3, s[16:17], -1, v2
	v_addc_co_u32_e64 v4, s[16:17], 0, -1, s[16:17]
	v_cmp_ne_u32_e64 s[16:17], 0, v2
	v_lshlrev_b32_e32 v34, 30, v1
	v_xor_b32_e32 v2, s17, v4
	v_xor_b32_e32 v3, s16, v3
	v_cmp_gt_i64_e64 s[16:17], 0, v[33:34]
	v_not_b32_e32 v4, v34
	v_ashrrev_i32_e32 v4, 31, v4
	v_and_b32_e32 v3, exec_lo, v3
	v_xor_b32_e32 v15, s17, v4
	v_xor_b32_e32 v4, s16, v4
	v_lshlrev_b32_e32 v34, 29, v1
	v_and_b32_e32 v3, v3, v4
	v_cmp_gt_i64_e64 s[16:17], 0, v[33:34]
	v_not_b32_e32 v4, v34
	v_and_b32_e32 v2, exec_hi, v2
	v_ashrrev_i32_e32 v4, 31, v4
	v_and_b32_e32 v2, v2, v15
	v_xor_b32_e32 v15, s17, v4
	v_xor_b32_e32 v4, s16, v4
	v_lshlrev_b32_e32 v34, 28, v1
	v_and_b32_e32 v3, v3, v4
	v_cmp_gt_i64_e64 s[16:17], 0, v[33:34]
	v_not_b32_e32 v4, v34
	v_ashrrev_i32_e32 v4, 31, v4
	v_and_b32_e32 v2, v2, v15
	v_xor_b32_e32 v15, s17, v4
	v_xor_b32_e32 v4, s16, v4
	v_lshlrev_b32_e32 v34, 27, v1
	v_and_b32_e32 v3, v3, v4
	v_cmp_gt_i64_e64 s[16:17], 0, v[33:34]
	v_not_b32_e32 v4, v34
	v_ashrrev_i32_e32 v4, 31, v4
	v_and_b32_e32 v2, v2, v15
	v_xor_b32_e32 v15, s17, v4
	v_xor_b32_e32 v4, s16, v4
	v_lshlrev_b32_e32 v34, 26, v1
	v_and_b32_e32 v3, v3, v4
	v_cmp_gt_i64_e64 s[16:17], 0, v[33:34]
	v_not_b32_e32 v4, v34
	v_ashrrev_i32_e32 v4, 31, v4
	v_and_b32_e32 v2, v2, v15
	v_xor_b32_e32 v15, s17, v4
	v_xor_b32_e32 v4, s16, v4
	v_lshlrev_b32_e32 v34, 25, v1
	v_and_b32_e32 v3, v3, v4
	v_cmp_gt_i64_e64 s[16:17], 0, v[33:34]
	v_not_b32_e32 v4, v34
	v_ashrrev_i32_e32 v4, 31, v4
	v_lshlrev_b32_e32 v34, 24, v1
	v_lshl_add_u32 v14, v1, 2, v71
	v_and_b32_e32 v2, v2, v15
	v_xor_b32_e32 v15, s17, v4
	v_xor_b32_e32 v4, s16, v4
	v_cmp_gt_i64_e64 s[16:17], 0, v[33:34]
	v_not_b32_e32 v1, v34
	v_ashrrev_i32_e32 v1, 31, v1
	v_and_b32_e32 v3, v3, v4
	v_xor_b32_e32 v4, s17, v1
	v_xor_b32_e32 v1, s16, v1
	; wave barrier
	ds_read_b32 v13, v14 offset:4
	v_and_b32_e32 v2, v2, v15
	v_and_b32_e32 v1, v3, v1
	;; [unrolled: 1-line block ×3, first 2 shown]
	v_mbcnt_lo_u32_b32 v3, v1, 0
	v_mbcnt_hi_u32_b32 v15, v2, v3
	v_cmp_ne_u64_e64 s[16:17], 0, v[1:2]
	v_cmp_eq_u32_e64 s[18:19], 0, v15
	s_and_b64 s[18:19], s[18:19], s[16:17]
	; wave barrier
	s_and_saveexec_b64 s[16:17], s[18:19]
	s_cbranch_execz .LBB151_12
; %bb.11:                               ;   in Loop: Header=BB151_4 Depth=2
	v_bcnt_u32_b32 v1, v1, 0
	v_bcnt_u32_b32 v1, v2, v1
	s_waitcnt lgkmcnt(0)
	v_add_u32_e32 v1, v13, v1
	ds_write_b32 v14, v1 offset:4
.LBB151_12:                             ;   in Loop: Header=BB151_4 Depth=2
	s_or_b64 exec, exec, s[16:17]
	v_lshrrev_b32_e32 v2, s33, v57
	v_lshrrev_b32_e32 v1, s29, v58
	v_and_b32_e32 v2, s34, v2
	v_and_b32_e32 v1, s31, v1
	v_lshlrev_b32_e32 v2, s30, v2
	v_cndmask_b32_e64 v1, 0, v1, s[14:15]
	v_cndmask_b32_e32 v2, 0, v2, vcc
	v_or_b32_e32 v1, v1, v2
	v_and_b32_e32 v2, 1, v1
	v_add_co_u32_e64 v3, s[16:17], -1, v2
	v_addc_co_u32_e64 v4, s[16:17], 0, -1, s[16:17]
	v_cmp_ne_u32_e64 s[16:17], 0, v2
	v_lshlrev_b32_e32 v34, 30, v1
	v_xor_b32_e32 v2, s17, v4
	v_xor_b32_e32 v3, s16, v3
	v_cmp_gt_i64_e64 s[16:17], 0, v[33:34]
	v_not_b32_e32 v4, v34
	v_ashrrev_i32_e32 v4, 31, v4
	v_and_b32_e32 v3, exec_lo, v3
	v_xor_b32_e32 v18, s17, v4
	v_xor_b32_e32 v4, s16, v4
	v_lshlrev_b32_e32 v34, 29, v1
	v_and_b32_e32 v3, v3, v4
	v_cmp_gt_i64_e64 s[16:17], 0, v[33:34]
	v_not_b32_e32 v4, v34
	v_and_b32_e32 v2, exec_hi, v2
	v_ashrrev_i32_e32 v4, 31, v4
	v_and_b32_e32 v2, v2, v18
	v_xor_b32_e32 v18, s17, v4
	v_xor_b32_e32 v4, s16, v4
	v_lshlrev_b32_e32 v34, 28, v1
	v_and_b32_e32 v3, v3, v4
	v_cmp_gt_i64_e64 s[16:17], 0, v[33:34]
	v_not_b32_e32 v4, v34
	v_ashrrev_i32_e32 v4, 31, v4
	v_and_b32_e32 v2, v2, v18
	v_xor_b32_e32 v18, s17, v4
	v_xor_b32_e32 v4, s16, v4
	v_lshlrev_b32_e32 v34, 27, v1
	v_and_b32_e32 v3, v3, v4
	v_cmp_gt_i64_e64 s[16:17], 0, v[33:34]
	v_not_b32_e32 v4, v34
	;; [unrolled: 8-line block ×4, first 2 shown]
	v_ashrrev_i32_e32 v4, 31, v4
	v_lshlrev_b32_e32 v34, 24, v1
	v_lshl_add_u32 v17, v1, 2, v71
	v_and_b32_e32 v2, v2, v18
	v_xor_b32_e32 v18, s17, v4
	v_xor_b32_e32 v4, s16, v4
	v_cmp_gt_i64_e64 s[16:17], 0, v[33:34]
	v_not_b32_e32 v1, v34
	v_ashrrev_i32_e32 v1, 31, v1
	v_and_b32_e32 v3, v3, v4
	v_xor_b32_e32 v4, s17, v1
	v_xor_b32_e32 v1, s16, v1
	; wave barrier
	ds_read_b32 v16, v17 offset:4
	v_and_b32_e32 v2, v2, v18
	v_and_b32_e32 v1, v3, v1
	;; [unrolled: 1-line block ×3, first 2 shown]
	v_mbcnt_lo_u32_b32 v3, v1, 0
	v_mbcnt_hi_u32_b32 v18, v2, v3
	v_cmp_ne_u64_e64 s[16:17], 0, v[1:2]
	v_cmp_eq_u32_e64 s[18:19], 0, v18
	s_and_b64 s[18:19], s[18:19], s[16:17]
	; wave barrier
	s_and_saveexec_b64 s[16:17], s[18:19]
	s_cbranch_execz .LBB151_14
; %bb.13:                               ;   in Loop: Header=BB151_4 Depth=2
	v_bcnt_u32_b32 v1, v1, 0
	v_bcnt_u32_b32 v1, v2, v1
	s_waitcnt lgkmcnt(0)
	v_add_u32_e32 v1, v16, v1
	ds_write_b32 v17, v1 offset:4
.LBB151_14:                             ;   in Loop: Header=BB151_4 Depth=2
	s_or_b64 exec, exec, s[16:17]
	v_lshrrev_b32_e32 v2, s33, v55
	v_lshrrev_b32_e32 v1, s29, v56
	v_and_b32_e32 v2, s34, v2
	v_and_b32_e32 v1, s31, v1
	v_lshlrev_b32_e32 v2, s30, v2
	v_cndmask_b32_e64 v1, 0, v1, s[14:15]
	v_cndmask_b32_e32 v2, 0, v2, vcc
	v_or_b32_e32 v1, v1, v2
	v_and_b32_e32 v2, 1, v1
	v_add_co_u32_e64 v3, s[16:17], -1, v2
	v_addc_co_u32_e64 v4, s[16:17], 0, -1, s[16:17]
	v_cmp_ne_u32_e64 s[16:17], 0, v2
	v_lshlrev_b32_e32 v34, 30, v1
	v_xor_b32_e32 v2, s17, v4
	v_xor_b32_e32 v3, s16, v3
	v_cmp_gt_i64_e64 s[16:17], 0, v[33:34]
	v_not_b32_e32 v4, v34
	v_ashrrev_i32_e32 v4, 31, v4
	v_and_b32_e32 v3, exec_lo, v3
	v_xor_b32_e32 v21, s17, v4
	v_xor_b32_e32 v4, s16, v4
	v_lshlrev_b32_e32 v34, 29, v1
	v_and_b32_e32 v3, v3, v4
	v_cmp_gt_i64_e64 s[16:17], 0, v[33:34]
	v_not_b32_e32 v4, v34
	v_and_b32_e32 v2, exec_hi, v2
	v_ashrrev_i32_e32 v4, 31, v4
	v_and_b32_e32 v2, v2, v21
	v_xor_b32_e32 v21, s17, v4
	v_xor_b32_e32 v4, s16, v4
	v_lshlrev_b32_e32 v34, 28, v1
	v_and_b32_e32 v3, v3, v4
	v_cmp_gt_i64_e64 s[16:17], 0, v[33:34]
	v_not_b32_e32 v4, v34
	v_ashrrev_i32_e32 v4, 31, v4
	v_and_b32_e32 v2, v2, v21
	v_xor_b32_e32 v21, s17, v4
	v_xor_b32_e32 v4, s16, v4
	v_lshlrev_b32_e32 v34, 27, v1
	v_and_b32_e32 v3, v3, v4
	v_cmp_gt_i64_e64 s[16:17], 0, v[33:34]
	v_not_b32_e32 v4, v34
	;; [unrolled: 8-line block ×4, first 2 shown]
	v_ashrrev_i32_e32 v4, 31, v4
	v_lshlrev_b32_e32 v34, 24, v1
	v_lshl_add_u32 v20, v1, 2, v71
	v_and_b32_e32 v2, v2, v21
	v_xor_b32_e32 v21, s17, v4
	v_xor_b32_e32 v4, s16, v4
	v_cmp_gt_i64_e64 s[16:17], 0, v[33:34]
	v_not_b32_e32 v1, v34
	v_ashrrev_i32_e32 v1, 31, v1
	v_and_b32_e32 v3, v3, v4
	v_xor_b32_e32 v4, s17, v1
	v_xor_b32_e32 v1, s16, v1
	; wave barrier
	ds_read_b32 v19, v20 offset:4
	v_and_b32_e32 v2, v2, v21
	v_and_b32_e32 v1, v3, v1
	;; [unrolled: 1-line block ×3, first 2 shown]
	v_mbcnt_lo_u32_b32 v3, v1, 0
	v_mbcnt_hi_u32_b32 v21, v2, v3
	v_cmp_ne_u64_e64 s[16:17], 0, v[1:2]
	v_cmp_eq_u32_e64 s[18:19], 0, v21
	s_and_b64 s[18:19], s[18:19], s[16:17]
	; wave barrier
	s_and_saveexec_b64 s[16:17], s[18:19]
	s_cbranch_execz .LBB151_16
; %bb.15:                               ;   in Loop: Header=BB151_4 Depth=2
	v_bcnt_u32_b32 v1, v1, 0
	v_bcnt_u32_b32 v1, v2, v1
	s_waitcnt lgkmcnt(0)
	v_add_u32_e32 v1, v19, v1
	ds_write_b32 v20, v1 offset:4
.LBB151_16:                             ;   in Loop: Header=BB151_4 Depth=2
	s_or_b64 exec, exec, s[16:17]
	v_lshrrev_b32_e32 v2, s33, v53
	v_lshrrev_b32_e32 v1, s29, v54
	v_and_b32_e32 v2, s34, v2
	v_and_b32_e32 v1, s31, v1
	v_lshlrev_b32_e32 v2, s30, v2
	v_cndmask_b32_e64 v1, 0, v1, s[14:15]
	v_cndmask_b32_e32 v2, 0, v2, vcc
	v_or_b32_e32 v1, v1, v2
	v_and_b32_e32 v2, 1, v1
	v_add_co_u32_e64 v3, s[16:17], -1, v2
	v_addc_co_u32_e64 v4, s[16:17], 0, -1, s[16:17]
	v_cmp_ne_u32_e64 s[16:17], 0, v2
	v_lshlrev_b32_e32 v34, 30, v1
	v_xor_b32_e32 v2, s17, v4
	v_xor_b32_e32 v3, s16, v3
	v_cmp_gt_i64_e64 s[16:17], 0, v[33:34]
	v_not_b32_e32 v4, v34
	v_ashrrev_i32_e32 v4, 31, v4
	v_and_b32_e32 v3, exec_lo, v3
	v_xor_b32_e32 v24, s17, v4
	v_xor_b32_e32 v4, s16, v4
	v_lshlrev_b32_e32 v34, 29, v1
	v_and_b32_e32 v3, v3, v4
	v_cmp_gt_i64_e64 s[16:17], 0, v[33:34]
	v_not_b32_e32 v4, v34
	v_and_b32_e32 v2, exec_hi, v2
	v_ashrrev_i32_e32 v4, 31, v4
	v_and_b32_e32 v2, v2, v24
	v_xor_b32_e32 v24, s17, v4
	v_xor_b32_e32 v4, s16, v4
	v_lshlrev_b32_e32 v34, 28, v1
	v_and_b32_e32 v3, v3, v4
	v_cmp_gt_i64_e64 s[16:17], 0, v[33:34]
	v_not_b32_e32 v4, v34
	v_ashrrev_i32_e32 v4, 31, v4
	v_and_b32_e32 v2, v2, v24
	v_xor_b32_e32 v24, s17, v4
	v_xor_b32_e32 v4, s16, v4
	v_lshlrev_b32_e32 v34, 27, v1
	v_and_b32_e32 v3, v3, v4
	v_cmp_gt_i64_e64 s[16:17], 0, v[33:34]
	v_not_b32_e32 v4, v34
	;; [unrolled: 8-line block ×4, first 2 shown]
	v_ashrrev_i32_e32 v4, 31, v4
	v_lshlrev_b32_e32 v34, 24, v1
	v_lshl_add_u32 v23, v1, 2, v71
	v_and_b32_e32 v2, v2, v24
	v_xor_b32_e32 v24, s17, v4
	v_xor_b32_e32 v4, s16, v4
	v_cmp_gt_i64_e64 s[16:17], 0, v[33:34]
	v_not_b32_e32 v1, v34
	v_ashrrev_i32_e32 v1, 31, v1
	v_and_b32_e32 v3, v3, v4
	v_xor_b32_e32 v4, s17, v1
	v_xor_b32_e32 v1, s16, v1
	; wave barrier
	ds_read_b32 v22, v23 offset:4
	v_and_b32_e32 v2, v2, v24
	v_and_b32_e32 v1, v3, v1
	;; [unrolled: 1-line block ×3, first 2 shown]
	v_mbcnt_lo_u32_b32 v3, v1, 0
	v_mbcnt_hi_u32_b32 v24, v2, v3
	v_cmp_ne_u64_e64 s[16:17], 0, v[1:2]
	v_cmp_eq_u32_e64 s[18:19], 0, v24
	s_and_b64 s[18:19], s[18:19], s[16:17]
	; wave barrier
	s_and_saveexec_b64 s[16:17], s[18:19]
	s_cbranch_execz .LBB151_18
; %bb.17:                               ;   in Loop: Header=BB151_4 Depth=2
	v_bcnt_u32_b32 v1, v1, 0
	v_bcnt_u32_b32 v1, v2, v1
	s_waitcnt lgkmcnt(0)
	v_add_u32_e32 v1, v22, v1
	ds_write_b32 v23, v1 offset:4
.LBB151_18:                             ;   in Loop: Header=BB151_4 Depth=2
	s_or_b64 exec, exec, s[16:17]
	v_lshrrev_b32_e32 v2, s33, v51
	v_lshrrev_b32_e32 v1, s29, v52
	v_and_b32_e32 v2, s34, v2
	v_and_b32_e32 v1, s31, v1
	v_lshlrev_b32_e32 v2, s30, v2
	v_cndmask_b32_e64 v1, 0, v1, s[14:15]
	v_cndmask_b32_e32 v2, 0, v2, vcc
	v_or_b32_e32 v1, v1, v2
	v_and_b32_e32 v2, 1, v1
	v_add_co_u32_e32 v3, vcc, -1, v2
	v_addc_co_u32_e64 v4, s[14:15], 0, -1, vcc
	v_cmp_ne_u32_e32 vcc, 0, v2
	v_lshlrev_b32_e32 v34, 30, v1
	v_xor_b32_e32 v2, vcc_hi, v4
	v_xor_b32_e32 v3, vcc_lo, v3
	v_cmp_gt_i64_e32 vcc, 0, v[33:34]
	v_not_b32_e32 v4, v34
	v_ashrrev_i32_e32 v4, 31, v4
	v_and_b32_e32 v3, exec_lo, v3
	v_xor_b32_e32 v27, vcc_hi, v4
	v_xor_b32_e32 v4, vcc_lo, v4
	v_lshlrev_b32_e32 v34, 29, v1
	v_and_b32_e32 v3, v3, v4
	v_cmp_gt_i64_e32 vcc, 0, v[33:34]
	v_not_b32_e32 v4, v34
	v_and_b32_e32 v2, exec_hi, v2
	v_ashrrev_i32_e32 v4, 31, v4
	v_and_b32_e32 v2, v2, v27
	v_xor_b32_e32 v27, vcc_hi, v4
	v_xor_b32_e32 v4, vcc_lo, v4
	v_lshlrev_b32_e32 v34, 28, v1
	v_and_b32_e32 v3, v3, v4
	v_cmp_gt_i64_e32 vcc, 0, v[33:34]
	v_not_b32_e32 v4, v34
	v_ashrrev_i32_e32 v4, 31, v4
	v_and_b32_e32 v2, v2, v27
	v_xor_b32_e32 v27, vcc_hi, v4
	v_xor_b32_e32 v4, vcc_lo, v4
	v_lshlrev_b32_e32 v34, 27, v1
	v_and_b32_e32 v3, v3, v4
	v_cmp_gt_i64_e32 vcc, 0, v[33:34]
	v_not_b32_e32 v4, v34
	;; [unrolled: 8-line block ×4, first 2 shown]
	v_ashrrev_i32_e32 v4, 31, v4
	v_lshlrev_b32_e32 v34, 24, v1
	v_lshl_add_u32 v26, v1, 2, v71
	v_and_b32_e32 v2, v2, v27
	v_xor_b32_e32 v27, vcc_hi, v4
	v_xor_b32_e32 v4, vcc_lo, v4
	v_cmp_gt_i64_e32 vcc, 0, v[33:34]
	v_not_b32_e32 v1, v34
	v_ashrrev_i32_e32 v1, 31, v1
	v_and_b32_e32 v3, v3, v4
	v_xor_b32_e32 v4, vcc_hi, v1
	v_xor_b32_e32 v1, vcc_lo, v1
	; wave barrier
	ds_read_b32 v25, v26 offset:4
	v_and_b32_e32 v2, v2, v27
	v_and_b32_e32 v1, v3, v1
	;; [unrolled: 1-line block ×3, first 2 shown]
	v_mbcnt_lo_u32_b32 v3, v1, 0
	v_mbcnt_hi_u32_b32 v27, v2, v3
	v_cmp_ne_u64_e32 vcc, 0, v[1:2]
	v_cmp_eq_u32_e64 s[14:15], 0, v27
	s_and_b64 s[16:17], s[14:15], vcc
	; wave barrier
	s_and_saveexec_b64 s[14:15], s[16:17]
	s_cbranch_execz .LBB151_20
; %bb.19:                               ;   in Loop: Header=BB151_4 Depth=2
	v_bcnt_u32_b32 v1, v1, 0
	v_bcnt_u32_b32 v1, v2, v1
	s_waitcnt lgkmcnt(0)
	v_add_u32_e32 v1, v25, v1
	ds_write_b32 v26, v1 offset:4
.LBB151_20:                             ;   in Loop: Header=BB151_4 Depth=2
	s_or_b64 exec, exec, s[14:15]
	; wave barrier
	s_waitcnt lgkmcnt(0)
	; wave barrier
	ds_read2_b32 v[3:4], v67 offset0:1 offset1:2
	ds_read2_b32 v[1:2], v67 offset0:3 offset1:4
	s_waitcnt lgkmcnt(1)
	v_add_u32_e32 v28, v4, v3
	s_waitcnt lgkmcnt(0)
	v_add3_u32 v2, v28, v1, v2
	s_nop 1
	v_mov_b32_dpp v28, v2 row_shr:1 row_mask:0xf bank_mask:0xf
	v_cndmask_b32_e64 v28, v28, 0, s[4:5]
	v_add_u32_e32 v2, v28, v2
	s_nop 1
	v_mov_b32_dpp v28, v2 row_shr:2 row_mask:0xf bank_mask:0xf
	v_cndmask_b32_e64 v28, 0, v28, s[6:7]
	v_add_u32_e32 v2, v2, v28
	;; [unrolled: 4-line block ×4, first 2 shown]
	s_nop 1
	v_mov_b32_dpp v28, v2 row_bcast:15 row_mask:0xf bank_mask:0xf
	v_cndmask_b32_e64 v28, v28, 0, s[12:13]
	v_add_u32_e32 v2, v2, v28
	s_nop 1
	v_mov_b32_dpp v28, v2 row_bcast:31 row_mask:0xf bank_mask:0xf
	v_cndmask_b32_e64 v28, 0, v28, s[2:3]
	v_add_u32_e32 v2, v2, v28
	s_and_saveexec_b64 s[14:15], s[0:1]
; %bb.21:                               ;   in Loop: Header=BB151_4 Depth=2
	ds_write_b32 v33, v2
; %bb.22:                               ;   in Loop: Header=BB151_4 Depth=2
	s_or_b64 exec, exec, s[14:15]
	ds_bpermute_b32 v2, v70, v2
	s_waitcnt lgkmcnt(0)
	; wave barrier
	v_lshlrev_b32_e32 v6, 3, v6
	s_cmp_gt_u32 s29, 55
	v_cndmask_b32_e64 v2, v2, 0, s[20:21]
	v_add_u32_e32 v3, v2, v3
	v_add_u32_e32 v4, v3, v4
	;; [unrolled: 1-line block ×3, first 2 shown]
	ds_write2_b32 v67, v2, v3 offset0:1 offset1:2
	ds_write2_b32 v67, v4, v1 offset0:3 offset1:4
	s_waitcnt lgkmcnt(0)
	; wave barrier
	ds_read_b32 v1, v5 offset:4
	ds_read_b32 v2, v8 offset:4
	;; [unrolled: 1-line block ×8, first 2 shown]
	s_waitcnt lgkmcnt(7)
	v_lshl_add_u32 v34, v1, 3, v6
	v_lshlrev_b32_e32 v1, 3, v9
	v_lshlrev_b32_e32 v6, 3, v7
	s_waitcnt lgkmcnt(6)
	v_lshlrev_b32_e32 v2, 3, v2
	v_add3_u32 v73, v1, v6, v2
	v_lshlrev_b32_e32 v1, 3, v12
	v_lshlrev_b32_e32 v2, 3, v10
	s_waitcnt lgkmcnt(5)
	v_lshlrev_b32_e32 v3, 3, v3
	v_add3_u32 v74, v1, v2, v3
	;; [unrolled: 5-line block ×7, first 2 shown]
	s_mov_b64 s[14:15], -1
                                        ; implicit-def: $vgpr13_vgpr14
                                        ; implicit-def: $vgpr17_vgpr18
                                        ; implicit-def: $vgpr21_vgpr22
                                        ; implicit-def: $vgpr25_vgpr26
                                        ; implicit-def: $vgpr1_vgpr2
                                        ; implicit-def: $vgpr5_vgpr6
                                        ; implicit-def: $vgpr9_vgpr10
                                        ; implicit-def: $vgpr29_vgpr30
	s_cbranch_scc1 .LBB151_3
; %bb.23:                               ;   in Loop: Header=BB151_4 Depth=2
	; wave barrier
	ds_write_b64 v34, v[65:66]
	ds_write_b64 v73, v[63:64]
	;; [unrolled: 1-line block ×8, first 2 shown]
	s_waitcnt lgkmcnt(0)
	; wave barrier
	ds_read2st64_b64 v[1:4], v69 offset1:1
	ds_read2st64_b64 v[5:8], v69 offset0:2 offset1:3
	ds_read2st64_b64 v[9:12], v69 offset0:4 offset1:5
	ds_read2st64_b64 v[29:32], v69 offset0:6 offset1:7
	s_waitcnt lgkmcnt(0)
	; wave barrier
	ds_write_b64 v34, v[49:50]
	ds_write_b64 v73, v[47:48]
	;; [unrolled: 1-line block ×8, first 2 shown]
	s_waitcnt lgkmcnt(0)
	; wave barrier
	ds_read2st64_b64 v[13:16], v69 offset1:1
	ds_read2st64_b64 v[17:20], v69 offset0:2 offset1:3
	ds_read2st64_b64 v[21:24], v69 offset0:4 offset1:5
	;; [unrolled: 1-line block ×3, first 2 shown]
	s_add_i32 s28, s28, -8
	s_add_i32 s26, s26, 8
	s_add_i32 s29, s29, 8
	s_mov_b64 s[14:15], 0
	s_waitcnt lgkmcnt(0)
	; wave barrier
	s_branch .LBB151_3
.LBB151_24:
	s_add_u32 s0, s22, s24
	s_waitcnt lgkmcnt(3)
	v_add_u32_e32 v1, v3, v25
	v_add_u32_e32 v2, v4, v26
	s_addc_u32 s1, s23, s25
	v_lshlrev_b32_e32 v0, 3, v0
	v_add_u32_e32 v3, v5, v27
	v_add_u32_e32 v4, v6, v28
	s_waitcnt lgkmcnt(2)
	v_add_u32_e32 v5, v7, v21
	v_add_u32_e32 v6, v8, v22
	v_add_u32_e32 v7, v9, v23
	v_add_u32_e32 v8, v10, v24
	s_waitcnt lgkmcnt(1)
	v_add_u32_e32 v9, v11, v17
	v_add_u32_e32 v10, v12, v18
	;; [unrolled: 5-line block ×3, first 2 shown]
	v_add_u32_e32 v15, v34, v15
	v_add_u32_e32 v16, v35, v16
	global_store_dwordx2 v0, v[1:2], s[0:1]
	global_store_dwordx2 v0, v[3:4], s[0:1] offset:512
	global_store_dwordx2 v0, v[5:6], s[0:1] offset:1024
	;; [unrolled: 1-line block ×7, first 2 shown]
	s_endpgm
	.section	.rodata,"a",@progbits
	.p2align	6, 0x0
	.amdhsa_kernel _Z17sort_pairs_kernelI22helper_blocked_blockedN15benchmark_utils11custom_typeIiiEELj64ELj8ELj10EEvPKT0_PS4_
		.amdhsa_group_segment_fixed_size 4096
		.amdhsa_private_segment_fixed_size 0
		.amdhsa_kernarg_size 272
		.amdhsa_user_sgpr_count 6
		.amdhsa_user_sgpr_private_segment_buffer 1
		.amdhsa_user_sgpr_dispatch_ptr 0
		.amdhsa_user_sgpr_queue_ptr 0
		.amdhsa_user_sgpr_kernarg_segment_ptr 1
		.amdhsa_user_sgpr_dispatch_id 0
		.amdhsa_user_sgpr_flat_scratch_init 0
		.amdhsa_user_sgpr_private_segment_size 0
		.amdhsa_uses_dynamic_stack 0
		.amdhsa_system_sgpr_private_segment_wavefront_offset 0
		.amdhsa_system_sgpr_workgroup_id_x 1
		.amdhsa_system_sgpr_workgroup_id_y 0
		.amdhsa_system_sgpr_workgroup_id_z 0
		.amdhsa_system_sgpr_workgroup_info 0
		.amdhsa_system_vgpr_workitem_id 2
		.amdhsa_next_free_vgpr 80
		.amdhsa_next_free_sgpr 98
		.amdhsa_reserve_vcc 1
		.amdhsa_reserve_flat_scratch 0
		.amdhsa_float_round_mode_32 0
		.amdhsa_float_round_mode_16_64 0
		.amdhsa_float_denorm_mode_32 3
		.amdhsa_float_denorm_mode_16_64 3
		.amdhsa_dx10_clamp 1
		.amdhsa_ieee_mode 1
		.amdhsa_fp16_overflow 0
		.amdhsa_exception_fp_ieee_invalid_op 0
		.amdhsa_exception_fp_denorm_src 0
		.amdhsa_exception_fp_ieee_div_zero 0
		.amdhsa_exception_fp_ieee_overflow 0
		.amdhsa_exception_fp_ieee_underflow 0
		.amdhsa_exception_fp_ieee_inexact 0
		.amdhsa_exception_int_div_zero 0
	.end_amdhsa_kernel
	.section	.text._Z17sort_pairs_kernelI22helper_blocked_blockedN15benchmark_utils11custom_typeIiiEELj64ELj8ELj10EEvPKT0_PS4_,"axG",@progbits,_Z17sort_pairs_kernelI22helper_blocked_blockedN15benchmark_utils11custom_typeIiiEELj64ELj8ELj10EEvPKT0_PS4_,comdat
.Lfunc_end151:
	.size	_Z17sort_pairs_kernelI22helper_blocked_blockedN15benchmark_utils11custom_typeIiiEELj64ELj8ELj10EEvPKT0_PS4_, .Lfunc_end151-_Z17sort_pairs_kernelI22helper_blocked_blockedN15benchmark_utils11custom_typeIiiEELj64ELj8ELj10EEvPKT0_PS4_
                                        ; -- End function
	.set _Z17sort_pairs_kernelI22helper_blocked_blockedN15benchmark_utils11custom_typeIiiEELj64ELj8ELj10EEvPKT0_PS4_.num_vgpr, 80
	.set _Z17sort_pairs_kernelI22helper_blocked_blockedN15benchmark_utils11custom_typeIiiEELj64ELj8ELj10EEvPKT0_PS4_.num_agpr, 0
	.set _Z17sort_pairs_kernelI22helper_blocked_blockedN15benchmark_utils11custom_typeIiiEELj64ELj8ELj10EEvPKT0_PS4_.numbered_sgpr, 35
	.set _Z17sort_pairs_kernelI22helper_blocked_blockedN15benchmark_utils11custom_typeIiiEELj64ELj8ELj10EEvPKT0_PS4_.num_named_barrier, 0
	.set _Z17sort_pairs_kernelI22helper_blocked_blockedN15benchmark_utils11custom_typeIiiEELj64ELj8ELj10EEvPKT0_PS4_.private_seg_size, 0
	.set _Z17sort_pairs_kernelI22helper_blocked_blockedN15benchmark_utils11custom_typeIiiEELj64ELj8ELj10EEvPKT0_PS4_.uses_vcc, 1
	.set _Z17sort_pairs_kernelI22helper_blocked_blockedN15benchmark_utils11custom_typeIiiEELj64ELj8ELj10EEvPKT0_PS4_.uses_flat_scratch, 0
	.set _Z17sort_pairs_kernelI22helper_blocked_blockedN15benchmark_utils11custom_typeIiiEELj64ELj8ELj10EEvPKT0_PS4_.has_dyn_sized_stack, 0
	.set _Z17sort_pairs_kernelI22helper_blocked_blockedN15benchmark_utils11custom_typeIiiEELj64ELj8ELj10EEvPKT0_PS4_.has_recursion, 0
	.set _Z17sort_pairs_kernelI22helper_blocked_blockedN15benchmark_utils11custom_typeIiiEELj64ELj8ELj10EEvPKT0_PS4_.has_indirect_call, 0
	.section	.AMDGPU.csdata,"",@progbits
; Kernel info:
; codeLenInByte = 5536
; TotalNumSgprs: 39
; NumVgprs: 80
; ScratchSize: 0
; MemoryBound: 0
; FloatMode: 240
; IeeeMode: 1
; LDSByteSize: 4096 bytes/workgroup (compile time only)
; SGPRBlocks: 12
; VGPRBlocks: 19
; NumSGPRsForWavesPerEU: 102
; NumVGPRsForWavesPerEU: 80
; Occupancy: 3
; WaveLimiterHint : 1
; COMPUTE_PGM_RSRC2:SCRATCH_EN: 0
; COMPUTE_PGM_RSRC2:USER_SGPR: 6
; COMPUTE_PGM_RSRC2:TRAP_HANDLER: 0
; COMPUTE_PGM_RSRC2:TGID_X_EN: 1
; COMPUTE_PGM_RSRC2:TGID_Y_EN: 0
; COMPUTE_PGM_RSRC2:TGID_Z_EN: 0
; COMPUTE_PGM_RSRC2:TIDIG_COMP_CNT: 2
	.section	.text._Z16sort_keys_kernelI22helper_blocked_blockedN15benchmark_utils11custom_typeIiiEELj128ELj1ELj10EEvPKT0_PS4_,"axG",@progbits,_Z16sort_keys_kernelI22helper_blocked_blockedN15benchmark_utils11custom_typeIiiEELj128ELj1ELj10EEvPKT0_PS4_,comdat
	.protected	_Z16sort_keys_kernelI22helper_blocked_blockedN15benchmark_utils11custom_typeIiiEELj128ELj1ELj10EEvPKT0_PS4_ ; -- Begin function _Z16sort_keys_kernelI22helper_blocked_blockedN15benchmark_utils11custom_typeIiiEELj128ELj1ELj10EEvPKT0_PS4_
	.globl	_Z16sort_keys_kernelI22helper_blocked_blockedN15benchmark_utils11custom_typeIiiEELj128ELj1ELj10EEvPKT0_PS4_
	.p2align	8
	.type	_Z16sort_keys_kernelI22helper_blocked_blockedN15benchmark_utils11custom_typeIiiEELj128ELj1ELj10EEvPKT0_PS4_,@function
_Z16sort_keys_kernelI22helper_blocked_blockedN15benchmark_utils11custom_typeIiiEELj128ELj1ELj10EEvPKT0_PS4_: ; @_Z16sort_keys_kernelI22helper_blocked_blockedN15benchmark_utils11custom_typeIiiEELj128ELj1ELj10EEvPKT0_PS4_
; %bb.0:
	s_load_dwordx4 s[24:27], s[4:5], 0x0
	s_load_dword s22, s[4:5], 0x1c
	s_lshl_b32 s30, s6, 7
	s_mov_b32 s31, 0
	s_lshl_b64 s[28:29], s[30:31], 3
	s_waitcnt lgkmcnt(0)
	s_add_u32 s0, s24, s28
	s_addc_u32 s1, s25, s29
	v_lshlrev_b32_e32 v3, 3, v0
	global_load_dwordx2 v[3:4], v3, s[0:1]
	v_mbcnt_lo_u32_b32 v6, -1, 0
	v_mbcnt_hi_u32_b32 v6, -1, v6
	s_lshr_b32 s23, s22, 16
	v_and_b32_e32 v7, 64, v0
	v_subrev_co_u32_e64 v24, s[6:7], 1, v6
	v_and_b32_e32 v25, 64, v6
	s_and_b32 s22, s22, 0xffff
	v_mad_u32_u24 v1, v2, s23, v1
	v_lshlrev_b32_e32 v21, 4, v0
	v_lshrrev_b32_e32 v8, 4, v0
	s_mov_b32 s34, s31
	v_and_b32_e32 v9, 15, v6
	v_and_b32_e32 v10, 16, v6
	v_or_b32_e32 v12, 63, v7
	s_mov_b32 s30, s31
	v_cmp_lt_i32_e64 s[20:21], v24, v25
	v_mad_u32_u24 v1, v1, s22, v0
	v_lshlrev_b32_e32 v11, 2, v0
	s_mov_b32 s35, s31
	v_and_b32_e32 v22, 4, v8
	v_mad_i32_i24 v23, v0, -12, v21
	v_and_b32_e32 v26, 1, v6
	v_lshlrev_b32_e32 v27, 3, v7
	v_mov_b32_e32 v7, s34
	v_cmp_eq_u32_e64 s[8:9], 0, v9
	v_cmp_lt_u32_e64 s[10:11], 1, v9
	v_cmp_lt_u32_e64 s[12:13], 3, v9
	;; [unrolled: 1-line block ×3, first 2 shown]
	v_cmp_eq_u32_e64 s[16:17], 0, v10
	v_cmp_eq_u32_e64 s[18:19], v0, v12
	v_cndmask_b32_e64 v12, v24, v6, s[20:21]
	v_mov_b32_e32 v9, s30
	v_lshrrev_b32_e32 v1, 4, v1
	v_mov_b32_e32 v5, 0
	s_mov_b32 s33, 10
	s_movk_i32 s36, 0xff
	v_mov_b32_e32 v13, 3
	v_mov_b32_e32 v14, 1
	;; [unrolled: 1-line block ×8, first 2 shown]
	v_cmp_gt_u32_e32 vcc, 2, v0
	v_cmp_lt_u32_e64 s[0:1], 63, v0
	v_cmp_eq_u32_e64 s[2:3], 0, v0
	v_cmp_lt_u32_e64 s[4:5], 31, v6
	v_mov_b32_e32 v8, s35
	v_cmp_eq_u32_e64 s[20:21], 0, v26
	v_add_u32_e32 v24, -4, v22
	v_lshl_add_u32 v25, v6, 3, v27
	v_mov_b32_e32 v10, s31
	v_add_u32_e32 v26, v23, v11
	v_lshlrev_b32_e32 v27, 2, v12
	v_and_b32_e32 v28, 0xffffffc, v1
	v_mov_b32_e32 v29, 24
	s_waitcnt vmcnt(0)
	v_xor_b32_e32 v11, 0x80000000, v3
	v_xor_b32_e32 v12, 0x80000000, v4
	s_branch .LBB152_2
.LBB152_1:                              ;   in Loop: Header=BB152_2 Depth=1
	s_or_b64 exec, exec, s[22:23]
	s_waitcnt lgkmcnt(0)
	v_add_u32_e32 v4, v31, v4
	ds_bpermute_b32 v4, v27, v4
	s_add_i32 s33, s33, -1
	s_cmp_eq_u32 s33, 0
	s_waitcnt lgkmcnt(0)
	v_cndmask_b32_e64 v4, v4, v31, s[6:7]
	v_cndmask_b32_e64 v31, v4, 0, s[2:3]
	v_add_u32_e32 v32, v31, v1
	v_add_u32_e32 v1, v32, v2
	v_add_u32_e32 v2, v1, v3
	ds_write2_b64 v21, v[31:32], v[1:2] offset0:1 offset1:2
	s_waitcnt lgkmcnt(0)
	s_barrier
	ds_read_b32 v1, v30 offset:8
	v_lshlrev_b32_e32 v2, 3, v6
	s_waitcnt lgkmcnt(0)
	s_barrier
	v_lshl_add_u32 v1, v1, 3, v2
	ds_write_b64 v1, v[11:12]
	s_waitcnt lgkmcnt(0)
	s_barrier
	ds_read_b64 v[11:12], v26
	s_cbranch_scc1 .LBB152_66
.LBB152_2:                              ; =>This Inner Loop Header: Depth=1
	s_waitcnt lgkmcnt(0)
	v_and_b32_e32 v1, 1, v12
	v_add_co_u32_e64 v2, s[22:23], -1, v1
	v_addc_co_u32_e64 v4, s[22:23], 0, -1, s[22:23]
	v_cmp_ne_u32_e64 s[22:23], 0, v1
	v_lshlrev_b32_e32 v6, 30, v12
	v_xor_b32_e32 v1, s23, v4
	v_xor_b32_e32 v2, s22, v2
	v_cmp_gt_i64_e64 s[22:23], 0, v[5:6]
	v_not_b32_e32 v4, v6
	v_ashrrev_i32_e32 v4, 31, v4
	v_and_b32_e32 v1, exec_hi, v1
	v_xor_b32_e32 v6, s23, v4
	v_and_b32_e32 v2, exec_lo, v2
	v_xor_b32_e32 v4, s22, v4
	v_and_b32_e32 v1, v1, v6
	v_lshlrev_b32_e32 v6, 29, v12
	v_and_b32_e32 v2, v2, v4
	v_cmp_gt_i64_e64 s[22:23], 0, v[5:6]
	v_not_b32_e32 v4, v6
	v_ashrrev_i32_e32 v4, 31, v4
	v_xor_b32_e32 v6, s23, v4
	v_xor_b32_e32 v4, s22, v4
	v_and_b32_e32 v1, v1, v6
	v_lshlrev_b32_e32 v6, 28, v12
	v_and_b32_e32 v2, v2, v4
	v_cmp_gt_i64_e64 s[22:23], 0, v[5:6]
	v_not_b32_e32 v4, v6
	v_ashrrev_i32_e32 v4, 31, v4
	v_xor_b32_e32 v6, s23, v4
	v_xor_b32_e32 v4, s22, v4
	v_and_b32_e32 v1, v1, v6
	v_lshlrev_b32_e32 v6, 27, v12
	v_and_b32_e32 v2, v2, v4
	v_cmp_gt_i64_e64 s[22:23], 0, v[5:6]
	v_not_b32_e32 v4, v6
	v_ashrrev_i32_e32 v4, 31, v4
	v_xor_b32_e32 v6, s23, v4
	v_xor_b32_e32 v4, s22, v4
	v_and_b32_e32 v1, v1, v6
	v_lshlrev_b32_e32 v6, 26, v12
	v_and_b32_e32 v2, v2, v4
	v_cmp_gt_i64_e64 s[22:23], 0, v[5:6]
	v_not_b32_e32 v4, v6
	v_ashrrev_i32_e32 v4, 31, v4
	v_xor_b32_e32 v6, s23, v4
	v_xor_b32_e32 v4, s22, v4
	v_and_b32_e32 v1, v1, v6
	v_lshlrev_b32_e32 v6, 25, v12
	v_and_b32_e32 v2, v2, v4
	v_cmp_gt_i64_e64 s[22:23], 0, v[5:6]
	v_not_b32_e32 v4, v6
	v_ashrrev_i32_e32 v4, 31, v4
	v_xor_b32_e32 v6, s23, v4
	v_xor_b32_e32 v4, s22, v4
	v_and_b32_e32 v1, v1, v6
	v_lshlrev_b32_e32 v6, 24, v12
	v_and_b32_e32 v4, v2, v4
	v_cmp_gt_i64_e64 s[22:23], 0, v[5:6]
	v_not_b32_e32 v2, v6
	v_ashrrev_i32_e32 v2, 31, v2
	v_xor_b32_e32 v6, s23, v2
	v_xor_b32_e32 v30, s22, v2
	v_and_b32_e32 v2, v1, v6
	v_and_b32_e32 v1, v4, v30
	v_mbcnt_lo_u32_b32 v4, v1, 0
	v_mbcnt_hi_u32_b32 v6, v2, v4
	v_cmp_ne_u64_e64 s[22:23], 0, v[1:2]
	v_lshlrev_b32_sdwa v3, v13, v12 dst_sel:DWORD dst_unused:UNUSED_PAD src0_sel:DWORD src1_sel:BYTE_0
	v_cmp_eq_u32_e64 s[24:25], 0, v6
	s_and_b64 s[24:25], s[24:25], s[22:23]
	v_add_u32_e32 v30, v28, v3
	ds_write2_b64 v21, v[9:10], v[7:8] offset0:1 offset1:2
	s_waitcnt lgkmcnt(0)
	s_barrier
	; wave barrier
	s_and_saveexec_b64 s[22:23], s[24:25]
; %bb.3:                                ;   in Loop: Header=BB152_2 Depth=1
	v_bcnt_u32_b32 v1, v1, 0
	v_bcnt_u32_b32 v1, v2, v1
	ds_write_b32 v30, v1 offset:8
; %bb.4:                                ;   in Loop: Header=BB152_2 Depth=1
	s_or_b64 exec, exec, s[22:23]
	; wave barrier
	s_waitcnt lgkmcnt(0)
	s_barrier
	ds_read2_b64 v[1:4], v21 offset0:1 offset1:2
	s_waitcnt lgkmcnt(0)
	v_add_u32_e32 v31, v2, v1
	v_add3_u32 v4, v31, v3, v4
	s_nop 1
	v_mov_b32_dpp v31, v4 row_shr:1 row_mask:0xf bank_mask:0xf
	v_cndmask_b32_e64 v31, v31, 0, s[8:9]
	v_add_u32_e32 v4, v31, v4
	s_nop 1
	v_mov_b32_dpp v31, v4 row_shr:2 row_mask:0xf bank_mask:0xf
	v_cndmask_b32_e64 v31, 0, v31, s[10:11]
	v_add_u32_e32 v4, v4, v31
	;; [unrolled: 4-line block ×4, first 2 shown]
	s_nop 1
	v_mov_b32_dpp v31, v4 row_bcast:15 row_mask:0xf bank_mask:0xf
	v_cndmask_b32_e64 v31, v31, 0, s[16:17]
	v_add_u32_e32 v4, v4, v31
	s_nop 1
	v_mov_b32_dpp v31, v4 row_bcast:31 row_mask:0xf bank_mask:0xf
	v_cndmask_b32_e64 v31, 0, v31, s[4:5]
	v_add_u32_e32 v4, v4, v31
	s_and_saveexec_b64 s[22:23], s[18:19]
; %bb.5:                                ;   in Loop: Header=BB152_2 Depth=1
	ds_write_b32 v22, v4
; %bb.6:                                ;   in Loop: Header=BB152_2 Depth=1
	s_or_b64 exec, exec, s[22:23]
	s_waitcnt lgkmcnt(0)
	s_barrier
	s_and_saveexec_b64 s[22:23], vcc
	s_cbranch_execz .LBB152_8
; %bb.7:                                ;   in Loop: Header=BB152_2 Depth=1
	ds_read_b32 v31, v23
	s_waitcnt lgkmcnt(0)
	s_nop 0
	v_mov_b32_dpp v32, v31 row_shr:1 row_mask:0xf bank_mask:0xf
	v_cndmask_b32_e64 v32, v32, 0, s[20:21]
	v_add_u32_e32 v31, v32, v31
	ds_write_b32 v23, v31
.LBB152_8:                              ;   in Loop: Header=BB152_2 Depth=1
	s_or_b64 exec, exec, s[22:23]
	v_mov_b32_e32 v31, 0
	s_waitcnt lgkmcnt(0)
	s_barrier
	s_and_saveexec_b64 s[22:23], s[0:1]
; %bb.9:                                ;   in Loop: Header=BB152_2 Depth=1
	ds_read_b32 v31, v24
; %bb.10:                               ;   in Loop: Header=BB152_2 Depth=1
	s_or_b64 exec, exec, s[22:23]
	s_waitcnt lgkmcnt(0)
	v_add_u32_e32 v4, v31, v4
	ds_bpermute_b32 v4, v27, v4
	s_waitcnt lgkmcnt(0)
	v_cndmask_b32_e64 v4, v4, v31, s[6:7]
	v_cndmask_b32_e64 v31, v4, 0, s[2:3]
	v_add_u32_e32 v32, v31, v1
	v_add_u32_e32 v1, v32, v2
	;; [unrolled: 1-line block ×3, first 2 shown]
	ds_write2_b64 v21, v[31:32], v[1:2] offset0:1 offset1:2
	s_waitcnt lgkmcnt(0)
	s_barrier
	ds_read_b32 v1, v30 offset:8
	v_lshlrev_b32_e32 v2, 3, v6
	s_waitcnt lgkmcnt(0)
	s_barrier
	v_lshl_add_u32 v1, v1, 3, v2
	ds_write_b64 v1, v[11:12]
	s_waitcnt lgkmcnt(0)
	s_barrier
	ds_read_b64 v[11:12], v25
	v_mov_b32_e32 v1, s30
	v_mov_b32_e32 v3, s34
	;; [unrolled: 1-line block ×4, first 2 shown]
	s_waitcnt lgkmcnt(0)
	s_barrier
	ds_write2_b64 v21, v[1:2], v[3:4] offset0:1 offset1:2
	v_lshrrev_b32_e32 v1, 8, v12
	v_and_b32_e32 v2, 1, v1
	v_add_co_u32_e64 v4, s[22:23], -1, v2
	v_addc_co_u32_e64 v6, s[22:23], 0, -1, s[22:23]
	v_cmp_ne_u32_e64 s[22:23], 0, v2
	v_xor_b32_e32 v2, s23, v6
	v_lshlrev_b32_e32 v6, 30, v1
	v_xor_b32_e32 v4, s22, v4
	v_cmp_gt_i64_e64 s[22:23], 0, v[5:6]
	v_not_b32_e32 v6, v6
	v_ashrrev_i32_e32 v6, 31, v6
	v_and_b32_e32 v4, exec_lo, v4
	v_xor_b32_e32 v30, s23, v6
	v_xor_b32_e32 v6, s22, v6
	v_and_b32_e32 v4, v4, v6
	v_lshlrev_b32_e32 v6, 29, v1
	v_cmp_gt_i64_e64 s[22:23], 0, v[5:6]
	v_not_b32_e32 v6, v6
	v_and_b32_e32 v2, exec_hi, v2
	v_ashrrev_i32_e32 v6, 31, v6
	v_and_b32_e32 v2, v2, v30
	v_xor_b32_e32 v30, s23, v6
	v_xor_b32_e32 v6, s22, v6
	v_and_b32_e32 v4, v4, v6
	v_lshlrev_b32_e32 v6, 28, v1
	v_cmp_gt_i64_e64 s[22:23], 0, v[5:6]
	v_not_b32_e32 v6, v6
	v_ashrrev_i32_e32 v6, 31, v6
	v_and_b32_e32 v2, v2, v30
	v_xor_b32_e32 v30, s23, v6
	v_xor_b32_e32 v6, s22, v6
	v_and_b32_e32 v4, v4, v6
	v_lshlrev_b32_e32 v6, 27, v1
	v_cmp_gt_i64_e64 s[22:23], 0, v[5:6]
	v_not_b32_e32 v6, v6
	;; [unrolled: 8-line block ×4, first 2 shown]
	v_ashrrev_i32_e32 v6, 31, v6
	v_and_b32_e32 v2, v2, v30
	v_xor_b32_e32 v30, s23, v6
	v_xor_b32_e32 v6, s22, v6
	v_and_b32_e32 v4, v4, v6
	v_lshlrev_b32_e32 v6, 24, v1
	v_lshlrev_b32_sdwa v3, v13, v1 dst_sel:DWORD dst_unused:UNUSED_PAD src0_sel:DWORD src1_sel:BYTE_0
	v_cmp_gt_i64_e64 s[22:23], 0, v[5:6]
	v_not_b32_e32 v1, v6
	v_ashrrev_i32_e32 v1, 31, v1
	v_xor_b32_e32 v6, s23, v1
	v_xor_b32_e32 v1, s22, v1
	v_and_b32_e32 v2, v2, v30
	v_and_b32_e32 v1, v4, v1
	;; [unrolled: 1-line block ×3, first 2 shown]
	v_mbcnt_lo_u32_b32 v4, v1, 0
	v_mbcnt_hi_u32_b32 v6, v2, v4
	v_cmp_ne_u64_e64 s[22:23], 0, v[1:2]
	v_cmp_eq_u32_e64 s[24:25], 0, v6
	s_and_b64 s[24:25], s[24:25], s[22:23]
	v_add_u32_e32 v30, v28, v3
	s_waitcnt lgkmcnt(0)
	s_barrier
	; wave barrier
	s_and_saveexec_b64 s[22:23], s[24:25]
; %bb.11:                               ;   in Loop: Header=BB152_2 Depth=1
	v_bcnt_u32_b32 v1, v1, 0
	v_bcnt_u32_b32 v1, v2, v1
	ds_write_b32 v30, v1 offset:8
; %bb.12:                               ;   in Loop: Header=BB152_2 Depth=1
	s_or_b64 exec, exec, s[22:23]
	; wave barrier
	s_waitcnt lgkmcnt(0)
	s_barrier
	ds_read2_b64 v[1:4], v21 offset0:1 offset1:2
	s_waitcnt lgkmcnt(0)
	v_add_u32_e32 v31, v2, v1
	v_add3_u32 v4, v31, v3, v4
	s_nop 1
	v_mov_b32_dpp v31, v4 row_shr:1 row_mask:0xf bank_mask:0xf
	v_cndmask_b32_e64 v31, v31, 0, s[8:9]
	v_add_u32_e32 v4, v31, v4
	s_nop 1
	v_mov_b32_dpp v31, v4 row_shr:2 row_mask:0xf bank_mask:0xf
	v_cndmask_b32_e64 v31, 0, v31, s[10:11]
	v_add_u32_e32 v4, v4, v31
	;; [unrolled: 4-line block ×4, first 2 shown]
	s_nop 1
	v_mov_b32_dpp v31, v4 row_bcast:15 row_mask:0xf bank_mask:0xf
	v_cndmask_b32_e64 v31, v31, 0, s[16:17]
	v_add_u32_e32 v4, v4, v31
	s_nop 1
	v_mov_b32_dpp v31, v4 row_bcast:31 row_mask:0xf bank_mask:0xf
	v_cndmask_b32_e64 v31, 0, v31, s[4:5]
	v_add_u32_e32 v4, v4, v31
	s_and_saveexec_b64 s[22:23], s[18:19]
; %bb.13:                               ;   in Loop: Header=BB152_2 Depth=1
	ds_write_b32 v22, v4
; %bb.14:                               ;   in Loop: Header=BB152_2 Depth=1
	s_or_b64 exec, exec, s[22:23]
	s_waitcnt lgkmcnt(0)
	s_barrier
	s_and_saveexec_b64 s[22:23], vcc
	s_cbranch_execz .LBB152_16
; %bb.15:                               ;   in Loop: Header=BB152_2 Depth=1
	ds_read_b32 v31, v23
	s_waitcnt lgkmcnt(0)
	s_nop 0
	v_mov_b32_dpp v32, v31 row_shr:1 row_mask:0xf bank_mask:0xf
	v_cndmask_b32_e64 v32, v32, 0, s[20:21]
	v_add_u32_e32 v31, v32, v31
	ds_write_b32 v23, v31
.LBB152_16:                             ;   in Loop: Header=BB152_2 Depth=1
	s_or_b64 exec, exec, s[22:23]
	v_mov_b32_e32 v31, 0
	s_waitcnt lgkmcnt(0)
	s_barrier
	s_and_saveexec_b64 s[22:23], s[0:1]
; %bb.17:                               ;   in Loop: Header=BB152_2 Depth=1
	ds_read_b32 v31, v24
; %bb.18:                               ;   in Loop: Header=BB152_2 Depth=1
	s_or_b64 exec, exec, s[22:23]
	s_waitcnt lgkmcnt(0)
	v_add_u32_e32 v4, v31, v4
	ds_bpermute_b32 v4, v27, v4
	s_waitcnt lgkmcnt(0)
	v_cndmask_b32_e64 v4, v4, v31, s[6:7]
	v_cndmask_b32_e64 v31, v4, 0, s[2:3]
	v_add_u32_e32 v32, v31, v1
	v_add_u32_e32 v1, v32, v2
	;; [unrolled: 1-line block ×3, first 2 shown]
	ds_write2_b64 v21, v[31:32], v[1:2] offset0:1 offset1:2
	s_waitcnt lgkmcnt(0)
	s_barrier
	ds_read_b32 v1, v30 offset:8
	v_lshlrev_b32_e32 v2, 3, v6
	s_waitcnt lgkmcnt(0)
	s_barrier
	v_lshl_add_u32 v1, v1, 3, v2
	ds_write_b64 v1, v[11:12]
	s_waitcnt lgkmcnt(0)
	s_barrier
	ds_read_b64 v[11:12], v25
	v_mov_b32_e32 v1, s30
	v_mov_b32_e32 v3, s34
	;; [unrolled: 1-line block ×4, first 2 shown]
	s_waitcnt lgkmcnt(0)
	s_barrier
	ds_write2_b64 v21, v[1:2], v[3:4] offset0:1 offset1:2
	v_and_b32_sdwa v1, v12, s36 dst_sel:DWORD dst_unused:UNUSED_PAD src0_sel:WORD_1 src1_sel:DWORD
	v_lshlrev_b32_e32 v3, 3, v1
	v_and_b32_sdwa v1, v12, v14 dst_sel:DWORD dst_unused:UNUSED_PAD src0_sel:WORD_1 src1_sel:DWORD
	v_add_co_u32_e64 v2, s[22:23], -1, v1
	v_addc_co_u32_e64 v4, s[22:23], 0, -1, s[22:23]
	v_cmp_ne_u32_e64 s[22:23], 0, v1
	v_lshlrev_b32_sdwa v6, v15, v12 dst_sel:DWORD dst_unused:UNUSED_PAD src0_sel:DWORD src1_sel:WORD_1
	v_xor_b32_e32 v1, s23, v4
	v_xor_b32_e32 v2, s22, v2
	v_cmp_gt_i64_e64 s[22:23], 0, v[5:6]
	v_not_b32_e32 v4, v6
	v_ashrrev_i32_e32 v4, 31, v4
	v_and_b32_e32 v1, exec_hi, v1
	v_xor_b32_e32 v6, s23, v4
	v_and_b32_e32 v2, exec_lo, v2
	v_xor_b32_e32 v4, s22, v4
	v_and_b32_e32 v1, v1, v6
	v_lshlrev_b32_sdwa v6, v16, v12 dst_sel:DWORD dst_unused:UNUSED_PAD src0_sel:DWORD src1_sel:WORD_1
	v_and_b32_e32 v2, v2, v4
	v_cmp_gt_i64_e64 s[22:23], 0, v[5:6]
	v_not_b32_e32 v4, v6
	v_ashrrev_i32_e32 v4, 31, v4
	v_xor_b32_e32 v6, s23, v4
	v_xor_b32_e32 v4, s22, v4
	v_and_b32_e32 v1, v1, v6
	v_lshlrev_b32_sdwa v6, v17, v12 dst_sel:DWORD dst_unused:UNUSED_PAD src0_sel:DWORD src1_sel:WORD_1
	v_and_b32_e32 v2, v2, v4
	v_cmp_gt_i64_e64 s[22:23], 0, v[5:6]
	v_not_b32_e32 v4, v6
	v_ashrrev_i32_e32 v4, 31, v4
	v_xor_b32_e32 v6, s23, v4
	;; [unrolled: 8-line block ×6, first 2 shown]
	v_xor_b32_e32 v30, s22, v2
	v_and_b32_e32 v2, v1, v6
	v_and_b32_e32 v1, v4, v30
	v_mbcnt_lo_u32_b32 v4, v1, 0
	v_mbcnt_hi_u32_b32 v6, v2, v4
	v_cmp_ne_u64_e64 s[22:23], 0, v[1:2]
	v_cmp_eq_u32_e64 s[24:25], 0, v6
	s_and_b64 s[24:25], s[24:25], s[22:23]
	v_add_u32_e32 v30, v28, v3
	s_waitcnt lgkmcnt(0)
	s_barrier
	; wave barrier
	s_and_saveexec_b64 s[22:23], s[24:25]
; %bb.19:                               ;   in Loop: Header=BB152_2 Depth=1
	v_bcnt_u32_b32 v1, v1, 0
	v_bcnt_u32_b32 v1, v2, v1
	ds_write_b32 v30, v1 offset:8
; %bb.20:                               ;   in Loop: Header=BB152_2 Depth=1
	s_or_b64 exec, exec, s[22:23]
	; wave barrier
	s_waitcnt lgkmcnt(0)
	s_barrier
	ds_read2_b64 v[1:4], v21 offset0:1 offset1:2
	s_waitcnt lgkmcnt(0)
	v_add_u32_e32 v31, v2, v1
	v_add3_u32 v4, v31, v3, v4
	s_nop 1
	v_mov_b32_dpp v31, v4 row_shr:1 row_mask:0xf bank_mask:0xf
	v_cndmask_b32_e64 v31, v31, 0, s[8:9]
	v_add_u32_e32 v4, v31, v4
	s_nop 1
	v_mov_b32_dpp v31, v4 row_shr:2 row_mask:0xf bank_mask:0xf
	v_cndmask_b32_e64 v31, 0, v31, s[10:11]
	v_add_u32_e32 v4, v4, v31
	;; [unrolled: 4-line block ×4, first 2 shown]
	s_nop 1
	v_mov_b32_dpp v31, v4 row_bcast:15 row_mask:0xf bank_mask:0xf
	v_cndmask_b32_e64 v31, v31, 0, s[16:17]
	v_add_u32_e32 v4, v4, v31
	s_nop 1
	v_mov_b32_dpp v31, v4 row_bcast:31 row_mask:0xf bank_mask:0xf
	v_cndmask_b32_e64 v31, 0, v31, s[4:5]
	v_add_u32_e32 v4, v4, v31
	s_and_saveexec_b64 s[22:23], s[18:19]
; %bb.21:                               ;   in Loop: Header=BB152_2 Depth=1
	ds_write_b32 v22, v4
; %bb.22:                               ;   in Loop: Header=BB152_2 Depth=1
	s_or_b64 exec, exec, s[22:23]
	s_waitcnt lgkmcnt(0)
	s_barrier
	s_and_saveexec_b64 s[22:23], vcc
	s_cbranch_execz .LBB152_24
; %bb.23:                               ;   in Loop: Header=BB152_2 Depth=1
	ds_read_b32 v31, v23
	s_waitcnt lgkmcnt(0)
	s_nop 0
	v_mov_b32_dpp v32, v31 row_shr:1 row_mask:0xf bank_mask:0xf
	v_cndmask_b32_e64 v32, v32, 0, s[20:21]
	v_add_u32_e32 v31, v32, v31
	ds_write_b32 v23, v31
.LBB152_24:                             ;   in Loop: Header=BB152_2 Depth=1
	s_or_b64 exec, exec, s[22:23]
	v_mov_b32_e32 v31, 0
	s_waitcnt lgkmcnt(0)
	s_barrier
	s_and_saveexec_b64 s[22:23], s[0:1]
; %bb.25:                               ;   in Loop: Header=BB152_2 Depth=1
	ds_read_b32 v31, v24
; %bb.26:                               ;   in Loop: Header=BB152_2 Depth=1
	s_or_b64 exec, exec, s[22:23]
	s_waitcnt lgkmcnt(0)
	v_add_u32_e32 v4, v31, v4
	ds_bpermute_b32 v4, v27, v4
	s_waitcnt lgkmcnt(0)
	v_cndmask_b32_e64 v4, v4, v31, s[6:7]
	v_cndmask_b32_e64 v31, v4, 0, s[2:3]
	v_add_u32_e32 v32, v31, v1
	v_add_u32_e32 v1, v32, v2
	;; [unrolled: 1-line block ×3, first 2 shown]
	ds_write2_b64 v21, v[31:32], v[1:2] offset0:1 offset1:2
	s_waitcnt lgkmcnt(0)
	s_barrier
	ds_read_b32 v1, v30 offset:8
	v_lshlrev_b32_e32 v2, 3, v6
	s_waitcnt lgkmcnt(0)
	s_barrier
	v_lshl_add_u32 v1, v1, 3, v2
	ds_write_b64 v1, v[11:12]
	s_waitcnt lgkmcnt(0)
	s_barrier
	ds_read_b64 v[11:12], v25
	v_mov_b32_e32 v1, s30
	v_mov_b32_e32 v3, s34
	;; [unrolled: 1-line block ×4, first 2 shown]
	s_waitcnt lgkmcnt(0)
	s_barrier
	ds_write2_b64 v21, v[1:2], v[3:4] offset0:1 offset1:2
	v_and_b32_sdwa v1, v12, v14 dst_sel:DWORD dst_unused:UNUSED_PAD src0_sel:BYTE_3 src1_sel:DWORD
	v_add_co_u32_e64 v2, s[22:23], -1, v1
	v_addc_co_u32_e64 v4, s[22:23], 0, -1, s[22:23]
	v_cmp_ne_u32_e64 s[22:23], 0, v1
	v_lshlrev_b32_sdwa v6, v15, v12 dst_sel:DWORD dst_unused:UNUSED_PAD src0_sel:DWORD src1_sel:BYTE_3
	v_xor_b32_e32 v1, s23, v4
	v_xor_b32_e32 v2, s22, v2
	v_cmp_gt_i64_e64 s[22:23], 0, v[5:6]
	v_not_b32_e32 v4, v6
	v_ashrrev_i32_e32 v4, 31, v4
	v_and_b32_e32 v1, exec_hi, v1
	v_xor_b32_e32 v6, s23, v4
	v_and_b32_e32 v2, exec_lo, v2
	v_xor_b32_e32 v4, s22, v4
	v_and_b32_e32 v1, v1, v6
	v_lshlrev_b32_sdwa v6, v16, v12 dst_sel:DWORD dst_unused:UNUSED_PAD src0_sel:DWORD src1_sel:BYTE_3
	v_and_b32_e32 v2, v2, v4
	v_cmp_gt_i64_e64 s[22:23], 0, v[5:6]
	v_not_b32_e32 v4, v6
	v_ashrrev_i32_e32 v4, 31, v4
	v_xor_b32_e32 v6, s23, v4
	v_xor_b32_e32 v4, s22, v4
	v_and_b32_e32 v1, v1, v6
	v_lshlrev_b32_sdwa v6, v17, v12 dst_sel:DWORD dst_unused:UNUSED_PAD src0_sel:DWORD src1_sel:BYTE_3
	v_and_b32_e32 v2, v2, v4
	v_cmp_gt_i64_e64 s[22:23], 0, v[5:6]
	v_not_b32_e32 v4, v6
	v_ashrrev_i32_e32 v4, 31, v4
	v_xor_b32_e32 v6, s23, v4
	;; [unrolled: 8-line block ×6, first 2 shown]
	v_xor_b32_e32 v30, s22, v2
	v_and_b32_e32 v2, v1, v6
	v_and_b32_e32 v1, v4, v30
	v_mbcnt_lo_u32_b32 v4, v1, 0
	v_mbcnt_hi_u32_b32 v6, v2, v4
	v_cmp_ne_u64_e64 s[22:23], 0, v[1:2]
	v_lshlrev_b32_sdwa v3, v13, v12 dst_sel:DWORD dst_unused:UNUSED_PAD src0_sel:DWORD src1_sel:BYTE_3
	v_cmp_eq_u32_e64 s[24:25], 0, v6
	s_and_b64 s[24:25], s[24:25], s[22:23]
	v_add_u32_e32 v30, v28, v3
	s_waitcnt lgkmcnt(0)
	s_barrier
	; wave barrier
	s_and_saveexec_b64 s[22:23], s[24:25]
; %bb.27:                               ;   in Loop: Header=BB152_2 Depth=1
	v_bcnt_u32_b32 v1, v1, 0
	v_bcnt_u32_b32 v1, v2, v1
	ds_write_b32 v30, v1 offset:8
; %bb.28:                               ;   in Loop: Header=BB152_2 Depth=1
	s_or_b64 exec, exec, s[22:23]
	; wave barrier
	s_waitcnt lgkmcnt(0)
	s_barrier
	ds_read2_b64 v[1:4], v21 offset0:1 offset1:2
	s_waitcnt lgkmcnt(0)
	v_add_u32_e32 v31, v2, v1
	v_add3_u32 v4, v31, v3, v4
	s_nop 1
	v_mov_b32_dpp v31, v4 row_shr:1 row_mask:0xf bank_mask:0xf
	v_cndmask_b32_e64 v31, v31, 0, s[8:9]
	v_add_u32_e32 v4, v31, v4
	s_nop 1
	v_mov_b32_dpp v31, v4 row_shr:2 row_mask:0xf bank_mask:0xf
	v_cndmask_b32_e64 v31, 0, v31, s[10:11]
	v_add_u32_e32 v4, v4, v31
	;; [unrolled: 4-line block ×4, first 2 shown]
	s_nop 1
	v_mov_b32_dpp v31, v4 row_bcast:15 row_mask:0xf bank_mask:0xf
	v_cndmask_b32_e64 v31, v31, 0, s[16:17]
	v_add_u32_e32 v4, v4, v31
	s_nop 1
	v_mov_b32_dpp v31, v4 row_bcast:31 row_mask:0xf bank_mask:0xf
	v_cndmask_b32_e64 v31, 0, v31, s[4:5]
	v_add_u32_e32 v4, v4, v31
	s_and_saveexec_b64 s[22:23], s[18:19]
; %bb.29:                               ;   in Loop: Header=BB152_2 Depth=1
	ds_write_b32 v22, v4
; %bb.30:                               ;   in Loop: Header=BB152_2 Depth=1
	s_or_b64 exec, exec, s[22:23]
	s_waitcnt lgkmcnt(0)
	s_barrier
	s_and_saveexec_b64 s[22:23], vcc
	s_cbranch_execz .LBB152_32
; %bb.31:                               ;   in Loop: Header=BB152_2 Depth=1
	ds_read_b32 v31, v23
	s_waitcnt lgkmcnt(0)
	s_nop 0
	v_mov_b32_dpp v32, v31 row_shr:1 row_mask:0xf bank_mask:0xf
	v_cndmask_b32_e64 v32, v32, 0, s[20:21]
	v_add_u32_e32 v31, v32, v31
	ds_write_b32 v23, v31
.LBB152_32:                             ;   in Loop: Header=BB152_2 Depth=1
	s_or_b64 exec, exec, s[22:23]
	v_mov_b32_e32 v31, 0
	s_waitcnt lgkmcnt(0)
	s_barrier
	s_and_saveexec_b64 s[22:23], s[0:1]
; %bb.33:                               ;   in Loop: Header=BB152_2 Depth=1
	ds_read_b32 v31, v24
; %bb.34:                               ;   in Loop: Header=BB152_2 Depth=1
	s_or_b64 exec, exec, s[22:23]
	s_waitcnt lgkmcnt(0)
	v_add_u32_e32 v4, v31, v4
	ds_bpermute_b32 v4, v27, v4
	s_waitcnt lgkmcnt(0)
	v_cndmask_b32_e64 v4, v4, v31, s[6:7]
	v_cndmask_b32_e64 v31, v4, 0, s[2:3]
	v_add_u32_e32 v32, v31, v1
	v_add_u32_e32 v1, v32, v2
	;; [unrolled: 1-line block ×3, first 2 shown]
	ds_write2_b64 v21, v[31:32], v[1:2] offset0:1 offset1:2
	s_waitcnt lgkmcnt(0)
	s_barrier
	ds_read_b32 v1, v30 offset:8
	v_lshlrev_b32_e32 v2, 3, v6
	s_waitcnt lgkmcnt(0)
	s_barrier
	v_lshl_add_u32 v1, v1, 3, v2
	ds_write_b64 v1, v[11:12]
	s_waitcnt lgkmcnt(0)
	s_barrier
	ds_read_b64 v[11:12], v25
	v_mov_b32_e32 v1, s30
	v_mov_b32_e32 v3, s34
	;; [unrolled: 1-line block ×4, first 2 shown]
	s_waitcnt lgkmcnt(0)
	s_barrier
	ds_write2_b64 v21, v[1:2], v[3:4] offset0:1 offset1:2
	v_and_b32_e32 v1, 1, v11
	v_add_co_u32_e64 v2, s[22:23], -1, v1
	v_addc_co_u32_e64 v4, s[22:23], 0, -1, s[22:23]
	v_cmp_ne_u32_e64 s[22:23], 0, v1
	v_lshlrev_b32_e32 v6, 30, v11
	v_xor_b32_e32 v1, s23, v4
	v_xor_b32_e32 v2, s22, v2
	v_cmp_gt_i64_e64 s[22:23], 0, v[5:6]
	v_not_b32_e32 v4, v6
	v_ashrrev_i32_e32 v4, 31, v4
	v_and_b32_e32 v1, exec_hi, v1
	v_xor_b32_e32 v6, s23, v4
	v_and_b32_e32 v2, exec_lo, v2
	v_xor_b32_e32 v4, s22, v4
	v_and_b32_e32 v1, v1, v6
	v_lshlrev_b32_e32 v6, 29, v11
	v_and_b32_e32 v2, v2, v4
	v_cmp_gt_i64_e64 s[22:23], 0, v[5:6]
	v_not_b32_e32 v4, v6
	v_ashrrev_i32_e32 v4, 31, v4
	v_xor_b32_e32 v6, s23, v4
	v_xor_b32_e32 v4, s22, v4
	v_and_b32_e32 v1, v1, v6
	v_lshlrev_b32_e32 v6, 28, v11
	v_and_b32_e32 v2, v2, v4
	v_cmp_gt_i64_e64 s[22:23], 0, v[5:6]
	v_not_b32_e32 v4, v6
	v_ashrrev_i32_e32 v4, 31, v4
	v_xor_b32_e32 v6, s23, v4
	;; [unrolled: 8-line block ×6, first 2 shown]
	v_xor_b32_e32 v30, s22, v2
	v_and_b32_e32 v2, v1, v6
	v_and_b32_e32 v1, v4, v30
	v_mbcnt_lo_u32_b32 v4, v1, 0
	v_mbcnt_hi_u32_b32 v6, v2, v4
	v_cmp_ne_u64_e64 s[22:23], 0, v[1:2]
	v_lshlrev_b32_sdwa v3, v13, v11 dst_sel:DWORD dst_unused:UNUSED_PAD src0_sel:DWORD src1_sel:BYTE_0
	v_cmp_eq_u32_e64 s[24:25], 0, v6
	s_and_b64 s[24:25], s[24:25], s[22:23]
	v_add_u32_e32 v30, v28, v3
	s_waitcnt lgkmcnt(0)
	s_barrier
	; wave barrier
	s_and_saveexec_b64 s[22:23], s[24:25]
; %bb.35:                               ;   in Loop: Header=BB152_2 Depth=1
	v_bcnt_u32_b32 v1, v1, 0
	v_bcnt_u32_b32 v1, v2, v1
	ds_write_b32 v30, v1 offset:8
; %bb.36:                               ;   in Loop: Header=BB152_2 Depth=1
	s_or_b64 exec, exec, s[22:23]
	; wave barrier
	s_waitcnt lgkmcnt(0)
	s_barrier
	ds_read2_b64 v[1:4], v21 offset0:1 offset1:2
	s_waitcnt lgkmcnt(0)
	v_add_u32_e32 v31, v2, v1
	v_add3_u32 v4, v31, v3, v4
	s_nop 1
	v_mov_b32_dpp v31, v4 row_shr:1 row_mask:0xf bank_mask:0xf
	v_cndmask_b32_e64 v31, v31, 0, s[8:9]
	v_add_u32_e32 v4, v31, v4
	s_nop 1
	v_mov_b32_dpp v31, v4 row_shr:2 row_mask:0xf bank_mask:0xf
	v_cndmask_b32_e64 v31, 0, v31, s[10:11]
	v_add_u32_e32 v4, v4, v31
	;; [unrolled: 4-line block ×4, first 2 shown]
	s_nop 1
	v_mov_b32_dpp v31, v4 row_bcast:15 row_mask:0xf bank_mask:0xf
	v_cndmask_b32_e64 v31, v31, 0, s[16:17]
	v_add_u32_e32 v4, v4, v31
	s_nop 1
	v_mov_b32_dpp v31, v4 row_bcast:31 row_mask:0xf bank_mask:0xf
	v_cndmask_b32_e64 v31, 0, v31, s[4:5]
	v_add_u32_e32 v4, v4, v31
	s_and_saveexec_b64 s[22:23], s[18:19]
; %bb.37:                               ;   in Loop: Header=BB152_2 Depth=1
	ds_write_b32 v22, v4
; %bb.38:                               ;   in Loop: Header=BB152_2 Depth=1
	s_or_b64 exec, exec, s[22:23]
	s_waitcnt lgkmcnt(0)
	s_barrier
	s_and_saveexec_b64 s[22:23], vcc
	s_cbranch_execz .LBB152_40
; %bb.39:                               ;   in Loop: Header=BB152_2 Depth=1
	ds_read_b32 v31, v23
	s_waitcnt lgkmcnt(0)
	s_nop 0
	v_mov_b32_dpp v32, v31 row_shr:1 row_mask:0xf bank_mask:0xf
	v_cndmask_b32_e64 v32, v32, 0, s[20:21]
	v_add_u32_e32 v31, v32, v31
	ds_write_b32 v23, v31
.LBB152_40:                             ;   in Loop: Header=BB152_2 Depth=1
	s_or_b64 exec, exec, s[22:23]
	v_mov_b32_e32 v31, 0
	s_waitcnt lgkmcnt(0)
	s_barrier
	s_and_saveexec_b64 s[22:23], s[0:1]
; %bb.41:                               ;   in Loop: Header=BB152_2 Depth=1
	ds_read_b32 v31, v24
; %bb.42:                               ;   in Loop: Header=BB152_2 Depth=1
	s_or_b64 exec, exec, s[22:23]
	s_waitcnt lgkmcnt(0)
	v_add_u32_e32 v4, v31, v4
	ds_bpermute_b32 v4, v27, v4
	s_waitcnt lgkmcnt(0)
	v_cndmask_b32_e64 v4, v4, v31, s[6:7]
	v_cndmask_b32_e64 v31, v4, 0, s[2:3]
	v_add_u32_e32 v32, v31, v1
	v_add_u32_e32 v1, v32, v2
	;; [unrolled: 1-line block ×3, first 2 shown]
	ds_write2_b64 v21, v[31:32], v[1:2] offset0:1 offset1:2
	s_waitcnt lgkmcnt(0)
	s_barrier
	ds_read_b32 v1, v30 offset:8
	v_lshlrev_b32_e32 v2, 3, v6
	s_waitcnt lgkmcnt(0)
	s_barrier
	v_lshl_add_u32 v1, v1, 3, v2
	ds_write_b64 v1, v[11:12]
	s_waitcnt lgkmcnt(0)
	s_barrier
	ds_read_b64 v[11:12], v25
	v_mov_b32_e32 v1, s30
	v_mov_b32_e32 v3, s34
	;; [unrolled: 1-line block ×4, first 2 shown]
	s_waitcnt lgkmcnt(0)
	s_barrier
	ds_write2_b64 v21, v[1:2], v[3:4] offset0:1 offset1:2
	v_lshrrev_b32_e32 v1, 8, v11
	v_and_b32_e32 v2, 1, v1
	v_add_co_u32_e64 v4, s[22:23], -1, v2
	v_addc_co_u32_e64 v6, s[22:23], 0, -1, s[22:23]
	v_cmp_ne_u32_e64 s[22:23], 0, v2
	v_xor_b32_e32 v2, s23, v6
	v_lshlrev_b32_e32 v6, 30, v1
	v_xor_b32_e32 v4, s22, v4
	v_cmp_gt_i64_e64 s[22:23], 0, v[5:6]
	v_not_b32_e32 v6, v6
	v_ashrrev_i32_e32 v6, 31, v6
	v_and_b32_e32 v4, exec_lo, v4
	v_xor_b32_e32 v30, s23, v6
	v_xor_b32_e32 v6, s22, v6
	v_and_b32_e32 v4, v4, v6
	v_lshlrev_b32_e32 v6, 29, v1
	v_cmp_gt_i64_e64 s[22:23], 0, v[5:6]
	v_not_b32_e32 v6, v6
	v_and_b32_e32 v2, exec_hi, v2
	v_ashrrev_i32_e32 v6, 31, v6
	v_and_b32_e32 v2, v2, v30
	v_xor_b32_e32 v30, s23, v6
	v_xor_b32_e32 v6, s22, v6
	v_and_b32_e32 v4, v4, v6
	v_lshlrev_b32_e32 v6, 28, v1
	v_cmp_gt_i64_e64 s[22:23], 0, v[5:6]
	v_not_b32_e32 v6, v6
	v_ashrrev_i32_e32 v6, 31, v6
	v_and_b32_e32 v2, v2, v30
	v_xor_b32_e32 v30, s23, v6
	v_xor_b32_e32 v6, s22, v6
	v_and_b32_e32 v4, v4, v6
	v_lshlrev_b32_e32 v6, 27, v1
	v_cmp_gt_i64_e64 s[22:23], 0, v[5:6]
	v_not_b32_e32 v6, v6
	;; [unrolled: 8-line block ×4, first 2 shown]
	v_ashrrev_i32_e32 v6, 31, v6
	v_and_b32_e32 v2, v2, v30
	v_xor_b32_e32 v30, s23, v6
	v_xor_b32_e32 v6, s22, v6
	v_and_b32_e32 v4, v4, v6
	v_lshlrev_b32_e32 v6, 24, v1
	v_lshlrev_b32_sdwa v3, v13, v1 dst_sel:DWORD dst_unused:UNUSED_PAD src0_sel:DWORD src1_sel:BYTE_0
	v_cmp_gt_i64_e64 s[22:23], 0, v[5:6]
	v_not_b32_e32 v1, v6
	v_ashrrev_i32_e32 v1, 31, v1
	v_xor_b32_e32 v6, s23, v1
	v_xor_b32_e32 v1, s22, v1
	v_and_b32_e32 v2, v2, v30
	v_and_b32_e32 v1, v4, v1
	;; [unrolled: 1-line block ×3, first 2 shown]
	v_mbcnt_lo_u32_b32 v4, v1, 0
	v_mbcnt_hi_u32_b32 v6, v2, v4
	v_cmp_ne_u64_e64 s[22:23], 0, v[1:2]
	v_cmp_eq_u32_e64 s[24:25], 0, v6
	s_and_b64 s[24:25], s[24:25], s[22:23]
	v_add_u32_e32 v30, v28, v3
	s_waitcnt lgkmcnt(0)
	s_barrier
	; wave barrier
	s_and_saveexec_b64 s[22:23], s[24:25]
; %bb.43:                               ;   in Loop: Header=BB152_2 Depth=1
	v_bcnt_u32_b32 v1, v1, 0
	v_bcnt_u32_b32 v1, v2, v1
	ds_write_b32 v30, v1 offset:8
; %bb.44:                               ;   in Loop: Header=BB152_2 Depth=1
	s_or_b64 exec, exec, s[22:23]
	; wave barrier
	s_waitcnt lgkmcnt(0)
	s_barrier
	ds_read2_b64 v[1:4], v21 offset0:1 offset1:2
	s_waitcnt lgkmcnt(0)
	v_add_u32_e32 v31, v2, v1
	v_add3_u32 v4, v31, v3, v4
	s_nop 1
	v_mov_b32_dpp v31, v4 row_shr:1 row_mask:0xf bank_mask:0xf
	v_cndmask_b32_e64 v31, v31, 0, s[8:9]
	v_add_u32_e32 v4, v31, v4
	s_nop 1
	v_mov_b32_dpp v31, v4 row_shr:2 row_mask:0xf bank_mask:0xf
	v_cndmask_b32_e64 v31, 0, v31, s[10:11]
	v_add_u32_e32 v4, v4, v31
	s_nop 1
	v_mov_b32_dpp v31, v4 row_shr:4 row_mask:0xf bank_mask:0xf
	v_cndmask_b32_e64 v31, 0, v31, s[12:13]
	v_add_u32_e32 v4, v4, v31
	s_nop 1
	v_mov_b32_dpp v31, v4 row_shr:8 row_mask:0xf bank_mask:0xf
	v_cndmask_b32_e64 v31, 0, v31, s[14:15]
	v_add_u32_e32 v4, v4, v31
	s_nop 1
	v_mov_b32_dpp v31, v4 row_bcast:15 row_mask:0xf bank_mask:0xf
	v_cndmask_b32_e64 v31, v31, 0, s[16:17]
	v_add_u32_e32 v4, v4, v31
	s_nop 1
	v_mov_b32_dpp v31, v4 row_bcast:31 row_mask:0xf bank_mask:0xf
	v_cndmask_b32_e64 v31, 0, v31, s[4:5]
	v_add_u32_e32 v4, v4, v31
	s_and_saveexec_b64 s[22:23], s[18:19]
; %bb.45:                               ;   in Loop: Header=BB152_2 Depth=1
	ds_write_b32 v22, v4
; %bb.46:                               ;   in Loop: Header=BB152_2 Depth=1
	s_or_b64 exec, exec, s[22:23]
	s_waitcnt lgkmcnt(0)
	s_barrier
	s_and_saveexec_b64 s[22:23], vcc
	s_cbranch_execz .LBB152_48
; %bb.47:                               ;   in Loop: Header=BB152_2 Depth=1
	ds_read_b32 v31, v23
	s_waitcnt lgkmcnt(0)
	s_nop 0
	v_mov_b32_dpp v32, v31 row_shr:1 row_mask:0xf bank_mask:0xf
	v_cndmask_b32_e64 v32, v32, 0, s[20:21]
	v_add_u32_e32 v31, v32, v31
	ds_write_b32 v23, v31
.LBB152_48:                             ;   in Loop: Header=BB152_2 Depth=1
	s_or_b64 exec, exec, s[22:23]
	v_mov_b32_e32 v31, 0
	s_waitcnt lgkmcnt(0)
	s_barrier
	s_and_saveexec_b64 s[22:23], s[0:1]
; %bb.49:                               ;   in Loop: Header=BB152_2 Depth=1
	ds_read_b32 v31, v24
; %bb.50:                               ;   in Loop: Header=BB152_2 Depth=1
	s_or_b64 exec, exec, s[22:23]
	s_waitcnt lgkmcnt(0)
	v_add_u32_e32 v4, v31, v4
	ds_bpermute_b32 v4, v27, v4
	s_waitcnt lgkmcnt(0)
	v_cndmask_b32_e64 v4, v4, v31, s[6:7]
	v_cndmask_b32_e64 v31, v4, 0, s[2:3]
	v_add_u32_e32 v32, v31, v1
	v_add_u32_e32 v1, v32, v2
	;; [unrolled: 1-line block ×3, first 2 shown]
	ds_write2_b64 v21, v[31:32], v[1:2] offset0:1 offset1:2
	s_waitcnt lgkmcnt(0)
	s_barrier
	ds_read_b32 v1, v30 offset:8
	v_lshlrev_b32_e32 v2, 3, v6
	s_waitcnt lgkmcnt(0)
	s_barrier
	v_lshl_add_u32 v1, v1, 3, v2
	ds_write_b64 v1, v[11:12]
	s_waitcnt lgkmcnt(0)
	s_barrier
	ds_read_b64 v[11:12], v25
	v_mov_b32_e32 v1, s30
	v_mov_b32_e32 v3, s34
	;; [unrolled: 1-line block ×4, first 2 shown]
	s_waitcnt lgkmcnt(0)
	s_barrier
	ds_write2_b64 v21, v[1:2], v[3:4] offset0:1 offset1:2
	v_and_b32_sdwa v1, v11, s36 dst_sel:DWORD dst_unused:UNUSED_PAD src0_sel:WORD_1 src1_sel:DWORD
	v_lshlrev_b32_e32 v3, 3, v1
	v_and_b32_sdwa v1, v11, v14 dst_sel:DWORD dst_unused:UNUSED_PAD src0_sel:WORD_1 src1_sel:DWORD
	v_add_co_u32_e64 v2, s[22:23], -1, v1
	v_addc_co_u32_e64 v4, s[22:23], 0, -1, s[22:23]
	v_cmp_ne_u32_e64 s[22:23], 0, v1
	v_lshlrev_b32_sdwa v6, v15, v11 dst_sel:DWORD dst_unused:UNUSED_PAD src0_sel:DWORD src1_sel:WORD_1
	v_xor_b32_e32 v1, s23, v4
	v_xor_b32_e32 v2, s22, v2
	v_cmp_gt_i64_e64 s[22:23], 0, v[5:6]
	v_not_b32_e32 v4, v6
	v_ashrrev_i32_e32 v4, 31, v4
	v_and_b32_e32 v1, exec_hi, v1
	v_xor_b32_e32 v6, s23, v4
	v_and_b32_e32 v2, exec_lo, v2
	v_xor_b32_e32 v4, s22, v4
	v_and_b32_e32 v1, v1, v6
	v_lshlrev_b32_sdwa v6, v16, v11 dst_sel:DWORD dst_unused:UNUSED_PAD src0_sel:DWORD src1_sel:WORD_1
	v_and_b32_e32 v2, v2, v4
	v_cmp_gt_i64_e64 s[22:23], 0, v[5:6]
	v_not_b32_e32 v4, v6
	v_ashrrev_i32_e32 v4, 31, v4
	v_xor_b32_e32 v6, s23, v4
	v_xor_b32_e32 v4, s22, v4
	v_and_b32_e32 v1, v1, v6
	v_lshlrev_b32_sdwa v6, v17, v11 dst_sel:DWORD dst_unused:UNUSED_PAD src0_sel:DWORD src1_sel:WORD_1
	v_and_b32_e32 v2, v2, v4
	v_cmp_gt_i64_e64 s[22:23], 0, v[5:6]
	v_not_b32_e32 v4, v6
	v_ashrrev_i32_e32 v4, 31, v4
	v_xor_b32_e32 v6, s23, v4
	;; [unrolled: 8-line block ×6, first 2 shown]
	v_xor_b32_e32 v30, s22, v2
	v_and_b32_e32 v2, v1, v6
	v_and_b32_e32 v1, v4, v30
	v_mbcnt_lo_u32_b32 v4, v1, 0
	v_mbcnt_hi_u32_b32 v6, v2, v4
	v_cmp_ne_u64_e64 s[22:23], 0, v[1:2]
	v_cmp_eq_u32_e64 s[24:25], 0, v6
	s_and_b64 s[24:25], s[24:25], s[22:23]
	v_add_u32_e32 v30, v28, v3
	s_waitcnt lgkmcnt(0)
	s_barrier
	; wave barrier
	s_and_saveexec_b64 s[22:23], s[24:25]
; %bb.51:                               ;   in Loop: Header=BB152_2 Depth=1
	v_bcnt_u32_b32 v1, v1, 0
	v_bcnt_u32_b32 v1, v2, v1
	ds_write_b32 v30, v1 offset:8
; %bb.52:                               ;   in Loop: Header=BB152_2 Depth=1
	s_or_b64 exec, exec, s[22:23]
	; wave barrier
	s_waitcnt lgkmcnt(0)
	s_barrier
	ds_read2_b64 v[1:4], v21 offset0:1 offset1:2
	s_waitcnt lgkmcnt(0)
	v_add_u32_e32 v31, v2, v1
	v_add3_u32 v4, v31, v3, v4
	s_nop 1
	v_mov_b32_dpp v31, v4 row_shr:1 row_mask:0xf bank_mask:0xf
	v_cndmask_b32_e64 v31, v31, 0, s[8:9]
	v_add_u32_e32 v4, v31, v4
	s_nop 1
	v_mov_b32_dpp v31, v4 row_shr:2 row_mask:0xf bank_mask:0xf
	v_cndmask_b32_e64 v31, 0, v31, s[10:11]
	v_add_u32_e32 v4, v4, v31
	;; [unrolled: 4-line block ×4, first 2 shown]
	s_nop 1
	v_mov_b32_dpp v31, v4 row_bcast:15 row_mask:0xf bank_mask:0xf
	v_cndmask_b32_e64 v31, v31, 0, s[16:17]
	v_add_u32_e32 v4, v4, v31
	s_nop 1
	v_mov_b32_dpp v31, v4 row_bcast:31 row_mask:0xf bank_mask:0xf
	v_cndmask_b32_e64 v31, 0, v31, s[4:5]
	v_add_u32_e32 v4, v4, v31
	s_and_saveexec_b64 s[22:23], s[18:19]
; %bb.53:                               ;   in Loop: Header=BB152_2 Depth=1
	ds_write_b32 v22, v4
; %bb.54:                               ;   in Loop: Header=BB152_2 Depth=1
	s_or_b64 exec, exec, s[22:23]
	s_waitcnt lgkmcnt(0)
	s_barrier
	s_and_saveexec_b64 s[22:23], vcc
	s_cbranch_execz .LBB152_56
; %bb.55:                               ;   in Loop: Header=BB152_2 Depth=1
	ds_read_b32 v31, v23
	s_waitcnt lgkmcnt(0)
	s_nop 0
	v_mov_b32_dpp v32, v31 row_shr:1 row_mask:0xf bank_mask:0xf
	v_cndmask_b32_e64 v32, v32, 0, s[20:21]
	v_add_u32_e32 v31, v32, v31
	ds_write_b32 v23, v31
.LBB152_56:                             ;   in Loop: Header=BB152_2 Depth=1
	s_or_b64 exec, exec, s[22:23]
	v_mov_b32_e32 v31, 0
	s_waitcnt lgkmcnt(0)
	s_barrier
	s_and_saveexec_b64 s[22:23], s[0:1]
; %bb.57:                               ;   in Loop: Header=BB152_2 Depth=1
	ds_read_b32 v31, v24
; %bb.58:                               ;   in Loop: Header=BB152_2 Depth=1
	s_or_b64 exec, exec, s[22:23]
	s_waitcnt lgkmcnt(0)
	v_add_u32_e32 v4, v31, v4
	ds_bpermute_b32 v4, v27, v4
	s_waitcnt lgkmcnt(0)
	v_cndmask_b32_e64 v4, v4, v31, s[6:7]
	v_cndmask_b32_e64 v31, v4, 0, s[2:3]
	v_add_u32_e32 v32, v31, v1
	v_add_u32_e32 v1, v32, v2
	;; [unrolled: 1-line block ×3, first 2 shown]
	ds_write2_b64 v21, v[31:32], v[1:2] offset0:1 offset1:2
	s_waitcnt lgkmcnt(0)
	s_barrier
	ds_read_b32 v1, v30 offset:8
	v_lshlrev_b32_e32 v2, 3, v6
	s_waitcnt lgkmcnt(0)
	s_barrier
	v_lshl_add_u32 v1, v1, 3, v2
	ds_write_b64 v1, v[11:12]
	s_waitcnt lgkmcnt(0)
	s_barrier
	ds_read_b64 v[11:12], v25
	v_mov_b32_e32 v1, s30
	v_mov_b32_e32 v3, s34
	v_mov_b32_e32 v2, s31
	v_mov_b32_e32 v4, s35
	s_waitcnt lgkmcnt(0)
	s_barrier
	ds_write2_b64 v21, v[1:2], v[3:4] offset0:1 offset1:2
	v_and_b32_sdwa v1, v11, v14 dst_sel:DWORD dst_unused:UNUSED_PAD src0_sel:BYTE_3 src1_sel:DWORD
	v_add_co_u32_e64 v2, s[22:23], -1, v1
	v_addc_co_u32_e64 v4, s[22:23], 0, -1, s[22:23]
	v_cmp_ne_u32_e64 s[22:23], 0, v1
	v_lshlrev_b32_sdwa v6, v15, v11 dst_sel:DWORD dst_unused:UNUSED_PAD src0_sel:DWORD src1_sel:BYTE_3
	v_xor_b32_e32 v1, s23, v4
	v_xor_b32_e32 v2, s22, v2
	v_cmp_gt_i64_e64 s[22:23], 0, v[5:6]
	v_not_b32_e32 v4, v6
	v_ashrrev_i32_e32 v4, 31, v4
	v_and_b32_e32 v1, exec_hi, v1
	v_xor_b32_e32 v6, s23, v4
	v_and_b32_e32 v2, exec_lo, v2
	v_xor_b32_e32 v4, s22, v4
	v_and_b32_e32 v1, v1, v6
	v_lshlrev_b32_sdwa v6, v16, v11 dst_sel:DWORD dst_unused:UNUSED_PAD src0_sel:DWORD src1_sel:BYTE_3
	v_and_b32_e32 v2, v2, v4
	v_cmp_gt_i64_e64 s[22:23], 0, v[5:6]
	v_not_b32_e32 v4, v6
	v_ashrrev_i32_e32 v4, 31, v4
	v_xor_b32_e32 v6, s23, v4
	v_xor_b32_e32 v4, s22, v4
	v_and_b32_e32 v1, v1, v6
	v_lshlrev_b32_sdwa v6, v17, v11 dst_sel:DWORD dst_unused:UNUSED_PAD src0_sel:DWORD src1_sel:BYTE_3
	v_and_b32_e32 v2, v2, v4
	v_cmp_gt_i64_e64 s[22:23], 0, v[5:6]
	v_not_b32_e32 v4, v6
	v_ashrrev_i32_e32 v4, 31, v4
	v_xor_b32_e32 v6, s23, v4
	;; [unrolled: 8-line block ×6, first 2 shown]
	v_xor_b32_e32 v30, s22, v2
	v_and_b32_e32 v2, v1, v6
	v_and_b32_e32 v1, v4, v30
	v_mbcnt_lo_u32_b32 v4, v1, 0
	v_mbcnt_hi_u32_b32 v6, v2, v4
	v_cmp_ne_u64_e64 s[22:23], 0, v[1:2]
	v_lshlrev_b32_sdwa v3, v13, v11 dst_sel:DWORD dst_unused:UNUSED_PAD src0_sel:DWORD src1_sel:BYTE_3
	v_cmp_eq_u32_e64 s[24:25], 0, v6
	s_and_b64 s[24:25], s[24:25], s[22:23]
	v_add_u32_e32 v30, v28, v3
	s_waitcnt lgkmcnt(0)
	s_barrier
	; wave barrier
	s_and_saveexec_b64 s[22:23], s[24:25]
; %bb.59:                               ;   in Loop: Header=BB152_2 Depth=1
	v_bcnt_u32_b32 v1, v1, 0
	v_bcnt_u32_b32 v1, v2, v1
	ds_write_b32 v30, v1 offset:8
; %bb.60:                               ;   in Loop: Header=BB152_2 Depth=1
	s_or_b64 exec, exec, s[22:23]
	; wave barrier
	s_waitcnt lgkmcnt(0)
	s_barrier
	ds_read2_b64 v[1:4], v21 offset0:1 offset1:2
	s_waitcnt lgkmcnt(0)
	v_add_u32_e32 v31, v2, v1
	v_add3_u32 v4, v31, v3, v4
	s_nop 1
	v_mov_b32_dpp v31, v4 row_shr:1 row_mask:0xf bank_mask:0xf
	v_cndmask_b32_e64 v31, v31, 0, s[8:9]
	v_add_u32_e32 v4, v31, v4
	s_nop 1
	v_mov_b32_dpp v31, v4 row_shr:2 row_mask:0xf bank_mask:0xf
	v_cndmask_b32_e64 v31, 0, v31, s[10:11]
	v_add_u32_e32 v4, v4, v31
	;; [unrolled: 4-line block ×4, first 2 shown]
	s_nop 1
	v_mov_b32_dpp v31, v4 row_bcast:15 row_mask:0xf bank_mask:0xf
	v_cndmask_b32_e64 v31, v31, 0, s[16:17]
	v_add_u32_e32 v4, v4, v31
	s_nop 1
	v_mov_b32_dpp v31, v4 row_bcast:31 row_mask:0xf bank_mask:0xf
	v_cndmask_b32_e64 v31, 0, v31, s[4:5]
	v_add_u32_e32 v4, v4, v31
	s_and_saveexec_b64 s[22:23], s[18:19]
; %bb.61:                               ;   in Loop: Header=BB152_2 Depth=1
	ds_write_b32 v22, v4
; %bb.62:                               ;   in Loop: Header=BB152_2 Depth=1
	s_or_b64 exec, exec, s[22:23]
	s_waitcnt lgkmcnt(0)
	s_barrier
	s_and_saveexec_b64 s[22:23], vcc
	s_cbranch_execz .LBB152_64
; %bb.63:                               ;   in Loop: Header=BB152_2 Depth=1
	ds_read_b32 v31, v23
	s_waitcnt lgkmcnt(0)
	s_nop 0
	v_mov_b32_dpp v32, v31 row_shr:1 row_mask:0xf bank_mask:0xf
	v_cndmask_b32_e64 v32, v32, 0, s[20:21]
	v_add_u32_e32 v31, v32, v31
	ds_write_b32 v23, v31
.LBB152_64:                             ;   in Loop: Header=BB152_2 Depth=1
	s_or_b64 exec, exec, s[22:23]
	v_mov_b32_e32 v31, 0
	s_waitcnt lgkmcnt(0)
	s_barrier
	s_and_saveexec_b64 s[22:23], s[0:1]
	s_cbranch_execz .LBB152_1
; %bb.65:                               ;   in Loop: Header=BB152_2 Depth=1
	ds_read_b32 v31, v24
	s_branch .LBB152_1
.LBB152_66:
	s_add_u32 s0, s26, s28
	s_waitcnt lgkmcnt(0)
	v_xor_b32_e32 v2, 0x80000000, v12
	v_xor_b32_e32 v1, 0x80000000, v11
	s_addc_u32 s1, s27, s29
	v_lshlrev_b32_e32 v0, 3, v0
	global_store_dwordx2 v0, v[1:2], s[0:1]
	s_endpgm
	.section	.rodata,"a",@progbits
	.p2align	6, 0x0
	.amdhsa_kernel _Z16sort_keys_kernelI22helper_blocked_blockedN15benchmark_utils11custom_typeIiiEELj128ELj1ELj10EEvPKT0_PS4_
		.amdhsa_group_segment_fixed_size 2064
		.amdhsa_private_segment_fixed_size 0
		.amdhsa_kernarg_size 272
		.amdhsa_user_sgpr_count 6
		.amdhsa_user_sgpr_private_segment_buffer 1
		.amdhsa_user_sgpr_dispatch_ptr 0
		.amdhsa_user_sgpr_queue_ptr 0
		.amdhsa_user_sgpr_kernarg_segment_ptr 1
		.amdhsa_user_sgpr_dispatch_id 0
		.amdhsa_user_sgpr_flat_scratch_init 0
		.amdhsa_user_sgpr_private_segment_size 0
		.amdhsa_uses_dynamic_stack 0
		.amdhsa_system_sgpr_private_segment_wavefront_offset 0
		.amdhsa_system_sgpr_workgroup_id_x 1
		.amdhsa_system_sgpr_workgroup_id_y 0
		.amdhsa_system_sgpr_workgroup_id_z 0
		.amdhsa_system_sgpr_workgroup_info 0
		.amdhsa_system_vgpr_workitem_id 2
		.amdhsa_next_free_vgpr 33
		.amdhsa_next_free_sgpr 61
		.amdhsa_reserve_vcc 1
		.amdhsa_reserve_flat_scratch 0
		.amdhsa_float_round_mode_32 0
		.amdhsa_float_round_mode_16_64 0
		.amdhsa_float_denorm_mode_32 3
		.amdhsa_float_denorm_mode_16_64 3
		.amdhsa_dx10_clamp 1
		.amdhsa_ieee_mode 1
		.amdhsa_fp16_overflow 0
		.amdhsa_exception_fp_ieee_invalid_op 0
		.amdhsa_exception_fp_denorm_src 0
		.amdhsa_exception_fp_ieee_div_zero 0
		.amdhsa_exception_fp_ieee_overflow 0
		.amdhsa_exception_fp_ieee_underflow 0
		.amdhsa_exception_fp_ieee_inexact 0
		.amdhsa_exception_int_div_zero 0
	.end_amdhsa_kernel
	.section	.text._Z16sort_keys_kernelI22helper_blocked_blockedN15benchmark_utils11custom_typeIiiEELj128ELj1ELj10EEvPKT0_PS4_,"axG",@progbits,_Z16sort_keys_kernelI22helper_blocked_blockedN15benchmark_utils11custom_typeIiiEELj128ELj1ELj10EEvPKT0_PS4_,comdat
.Lfunc_end152:
	.size	_Z16sort_keys_kernelI22helper_blocked_blockedN15benchmark_utils11custom_typeIiiEELj128ELj1ELj10EEvPKT0_PS4_, .Lfunc_end152-_Z16sort_keys_kernelI22helper_blocked_blockedN15benchmark_utils11custom_typeIiiEELj128ELj1ELj10EEvPKT0_PS4_
                                        ; -- End function
	.set _Z16sort_keys_kernelI22helper_blocked_blockedN15benchmark_utils11custom_typeIiiEELj128ELj1ELj10EEvPKT0_PS4_.num_vgpr, 33
	.set _Z16sort_keys_kernelI22helper_blocked_blockedN15benchmark_utils11custom_typeIiiEELj128ELj1ELj10EEvPKT0_PS4_.num_agpr, 0
	.set _Z16sort_keys_kernelI22helper_blocked_blockedN15benchmark_utils11custom_typeIiiEELj128ELj1ELj10EEvPKT0_PS4_.numbered_sgpr, 37
	.set _Z16sort_keys_kernelI22helper_blocked_blockedN15benchmark_utils11custom_typeIiiEELj128ELj1ELj10EEvPKT0_PS4_.num_named_barrier, 0
	.set _Z16sort_keys_kernelI22helper_blocked_blockedN15benchmark_utils11custom_typeIiiEELj128ELj1ELj10EEvPKT0_PS4_.private_seg_size, 0
	.set _Z16sort_keys_kernelI22helper_blocked_blockedN15benchmark_utils11custom_typeIiiEELj128ELj1ELj10EEvPKT0_PS4_.uses_vcc, 1
	.set _Z16sort_keys_kernelI22helper_blocked_blockedN15benchmark_utils11custom_typeIiiEELj128ELj1ELj10EEvPKT0_PS4_.uses_flat_scratch, 0
	.set _Z16sort_keys_kernelI22helper_blocked_blockedN15benchmark_utils11custom_typeIiiEELj128ELj1ELj10EEvPKT0_PS4_.has_dyn_sized_stack, 0
	.set _Z16sort_keys_kernelI22helper_blocked_blockedN15benchmark_utils11custom_typeIiiEELj128ELj1ELj10EEvPKT0_PS4_.has_recursion, 0
	.set _Z16sort_keys_kernelI22helper_blocked_blockedN15benchmark_utils11custom_typeIiiEELj128ELj1ELj10EEvPKT0_PS4_.has_indirect_call, 0
	.section	.AMDGPU.csdata,"",@progbits
; Kernel info:
; codeLenInByte = 7104
; TotalNumSgprs: 41
; NumVgprs: 33
; ScratchSize: 0
; MemoryBound: 0
; FloatMode: 240
; IeeeMode: 1
; LDSByteSize: 2064 bytes/workgroup (compile time only)
; SGPRBlocks: 8
; VGPRBlocks: 8
; NumSGPRsForWavesPerEU: 65
; NumVGPRsForWavesPerEU: 33
; Occupancy: 7
; WaveLimiterHint : 0
; COMPUTE_PGM_RSRC2:SCRATCH_EN: 0
; COMPUTE_PGM_RSRC2:USER_SGPR: 6
; COMPUTE_PGM_RSRC2:TRAP_HANDLER: 0
; COMPUTE_PGM_RSRC2:TGID_X_EN: 1
; COMPUTE_PGM_RSRC2:TGID_Y_EN: 0
; COMPUTE_PGM_RSRC2:TGID_Z_EN: 0
; COMPUTE_PGM_RSRC2:TIDIG_COMP_CNT: 2
	.section	.text._Z17sort_pairs_kernelI22helper_blocked_blockedN15benchmark_utils11custom_typeIiiEELj128ELj1ELj10EEvPKT0_PS4_,"axG",@progbits,_Z17sort_pairs_kernelI22helper_blocked_blockedN15benchmark_utils11custom_typeIiiEELj128ELj1ELj10EEvPKT0_PS4_,comdat
	.protected	_Z17sort_pairs_kernelI22helper_blocked_blockedN15benchmark_utils11custom_typeIiiEELj128ELj1ELj10EEvPKT0_PS4_ ; -- Begin function _Z17sort_pairs_kernelI22helper_blocked_blockedN15benchmark_utils11custom_typeIiiEELj128ELj1ELj10EEvPKT0_PS4_
	.globl	_Z17sort_pairs_kernelI22helper_blocked_blockedN15benchmark_utils11custom_typeIiiEELj128ELj1ELj10EEvPKT0_PS4_
	.p2align	8
	.type	_Z17sort_pairs_kernelI22helper_blocked_blockedN15benchmark_utils11custom_typeIiiEELj128ELj1ELj10EEvPKT0_PS4_,@function
_Z17sort_pairs_kernelI22helper_blocked_blockedN15benchmark_utils11custom_typeIiiEELj128ELj1ELj10EEvPKT0_PS4_: ; @_Z17sort_pairs_kernelI22helper_blocked_blockedN15benchmark_utils11custom_typeIiiEELj128ELj1ELj10EEvPKT0_PS4_
; %bb.0:
	s_load_dwordx4 s[24:27], s[4:5], 0x0
	s_load_dword s36, s[4:5], 0x1c
	s_lshl_b32 s30, s6, 7
	s_mov_b32 s31, 0
	s_lshl_b64 s[28:29], s[30:31], 3
	s_waitcnt lgkmcnt(0)
	s_add_u32 s0, s24, s28
	s_addc_u32 s1, s25, s29
	v_lshlrev_b32_e32 v3, 3, v0
	global_load_dwordx2 v[3:4], v3, s[0:1]
	v_mbcnt_lo_u32_b32 v6, -1, 0
	v_mbcnt_hi_u32_b32 v6, -1, v6
	s_lshr_b32 s24, s36, 16
	v_and_b32_e32 v7, 64, v0
	v_subrev_co_u32_e64 v13, s[8:9], 1, v6
	v_and_b32_e32 v14, 64, v6
	s_and_b32 s25, s36, 0xffff
	v_mad_u32_u24 v1, v2, s24, v1
	v_lshlrev_b32_e32 v20, 4, v0
	v_lshrrev_b32_e32 v8, 4, v0
	s_mov_b32 s34, s31
	v_and_b32_e32 v9, 15, v6
	v_and_b32_e32 v10, 16, v6
	v_or_b32_e32 v12, 63, v7
	s_mov_b32 s30, s31
	v_cmp_lt_i32_e32 vcc, v13, v14
	v_mad_u32_u24 v1, v1, s25, v0
	v_lshlrev_b32_e32 v11, 2, v0
	s_mov_b32 s35, s31
	v_and_b32_e32 v21, 4, v8
	v_mad_i32_i24 v22, v0, -12, v20
	v_and_b32_e32 v23, 1, v6
	v_lshlrev_b32_e32 v24, 3, v7
	v_mov_b32_e32 v7, s34
	v_cmp_eq_u32_e64 s[10:11], 0, v9
	v_cmp_lt_u32_e64 s[12:13], 1, v9
	v_cmp_lt_u32_e64 s[14:15], 3, v9
	v_cmp_lt_u32_e64 s[16:17], 7, v9
	v_cmp_eq_u32_e64 s[18:19], 0, v10
	v_cmp_eq_u32_e64 s[20:21], v0, v12
	v_cndmask_b32_e32 v12, v13, v6, vcc
	v_mov_b32_e32 v9, s30
	v_lshrrev_b32_e32 v1, 4, v1
	v_mov_b32_e32 v5, 0
	s_movk_i32 s33, 0xff
	v_mov_b32_e32 v15, 3
	v_mov_b32_e32 v16, 27
	;; [unrolled: 1-line block ×5, first 2 shown]
	v_cmp_gt_u32_e64 s[0:1], 2, v0
	v_cmp_lt_u32_e64 s[2:3], 63, v0
	v_cmp_eq_u32_e64 s[4:5], 0, v0
	v_cmp_lt_u32_e64 s[6:7], 31, v6
	v_mov_b32_e32 v8, s35
	v_cmp_eq_u32_e64 s[22:23], 0, v23
	v_add_u32_e32 v23, -4, v21
	v_lshl_add_u32 v24, v6, 3, v24
	v_mov_b32_e32 v10, s31
	v_add_u32_e32 v25, v22, v11
	v_lshlrev_b32_e32 v26, 2, v12
	v_and_b32_e32 v27, 0xffffffc, v1
	s_mov_b32 s36, s31
	s_waitcnt vmcnt(0)
	v_add_u32_e32 v14, 1, v4
	v_add_u32_e32 v13, 1, v3
	v_xor_b32_e32 v11, 0x80000000, v3
	v_xor_b32_e32 v12, 0x80000000, v4
	s_branch .LBB153_2
.LBB153_1:                              ;   in Loop: Header=BB153_2 Depth=1
	s_barrier
	ds_write_b64 v6, v[3:4]
	s_waitcnt lgkmcnt(0)
	s_barrier
	ds_read_b64 v[11:12], v25
	s_waitcnt lgkmcnt(0)
	s_barrier
	ds_write_b64 v6, v[1:2]
	s_waitcnt lgkmcnt(0)
	s_barrier
	ds_read_b64 v[13:14], v25
	s_add_i32 s36, s36, 1
	s_cmp_eq_u32 s36, 10
	s_cbranch_scc1 .LBB153_38
.LBB153_2:                              ; =>This Loop Header: Depth=1
                                        ;     Child Loop BB153_28 Depth 2
	v_and_b32_e32 v1, 1, v12
	v_add_co_u32_e32 v2, vcc, -1, v1
	v_addc_co_u32_e64 v4, s[24:25], 0, -1, vcc
	v_cmp_ne_u32_e32 vcc, 0, v1
	v_lshlrev_b32_e32 v6, 30, v12
	v_xor_b32_e32 v1, vcc_hi, v4
	v_xor_b32_e32 v2, vcc_lo, v2
	v_cmp_gt_i64_e32 vcc, 0, v[5:6]
	v_not_b32_e32 v4, v6
	v_ashrrev_i32_e32 v4, 31, v4
	v_and_b32_e32 v1, exec_hi, v1
	v_xor_b32_e32 v6, vcc_hi, v4
	v_and_b32_e32 v2, exec_lo, v2
	v_xor_b32_e32 v4, vcc_lo, v4
	v_and_b32_e32 v1, v1, v6
	v_lshlrev_b32_e32 v6, 29, v12
	v_and_b32_e32 v2, v2, v4
	v_cmp_gt_i64_e32 vcc, 0, v[5:6]
	v_not_b32_e32 v4, v6
	v_ashrrev_i32_e32 v4, 31, v4
	v_xor_b32_e32 v6, vcc_hi, v4
	v_xor_b32_e32 v4, vcc_lo, v4
	v_and_b32_e32 v1, v1, v6
	v_lshlrev_b32_e32 v6, 28, v12
	v_and_b32_e32 v2, v2, v4
	v_cmp_gt_i64_e32 vcc, 0, v[5:6]
	v_not_b32_e32 v4, v6
	v_ashrrev_i32_e32 v4, 31, v4
	v_xor_b32_e32 v6, vcc_hi, v4
	;; [unrolled: 8-line block ×6, first 2 shown]
	v_xor_b32_e32 v28, vcc_lo, v2
	v_and_b32_e32 v2, v1, v6
	v_and_b32_e32 v1, v4, v28
	v_mbcnt_lo_u32_b32 v4, v1, 0
	v_mbcnt_hi_u32_b32 v6, v2, v4
	v_cmp_ne_u64_e32 vcc, 0, v[1:2]
	v_lshlrev_b32_sdwa v3, v15, v12 dst_sel:DWORD dst_unused:UNUSED_PAD src0_sel:DWORD src1_sel:BYTE_0
	v_cmp_eq_u32_e64 s[24:25], 0, v6
	s_and_b64 s[38:39], s[24:25], vcc
	v_add_u32_e32 v28, v27, v3
	ds_write2_b64 v20, v[9:10], v[7:8] offset0:1 offset1:2
	s_waitcnt lgkmcnt(0)
	s_barrier
	; wave barrier
	s_and_saveexec_b64 s[24:25], s[38:39]
; %bb.3:                                ;   in Loop: Header=BB153_2 Depth=1
	v_bcnt_u32_b32 v1, v1, 0
	v_bcnt_u32_b32 v1, v2, v1
	ds_write_b32 v28, v1 offset:8
; %bb.4:                                ;   in Loop: Header=BB153_2 Depth=1
	s_or_b64 exec, exec, s[24:25]
	; wave barrier
	s_waitcnt lgkmcnt(0)
	s_barrier
	ds_read2_b64 v[1:4], v20 offset0:1 offset1:2
	s_waitcnt lgkmcnt(0)
	v_add_u32_e32 v29, v2, v1
	v_add3_u32 v4, v29, v3, v4
	s_nop 1
	v_mov_b32_dpp v29, v4 row_shr:1 row_mask:0xf bank_mask:0xf
	v_cndmask_b32_e64 v29, v29, 0, s[10:11]
	v_add_u32_e32 v4, v29, v4
	s_nop 1
	v_mov_b32_dpp v29, v4 row_shr:2 row_mask:0xf bank_mask:0xf
	v_cndmask_b32_e64 v29, 0, v29, s[12:13]
	v_add_u32_e32 v4, v4, v29
	;; [unrolled: 4-line block ×4, first 2 shown]
	s_nop 1
	v_mov_b32_dpp v29, v4 row_bcast:15 row_mask:0xf bank_mask:0xf
	v_cndmask_b32_e64 v29, v29, 0, s[18:19]
	v_add_u32_e32 v4, v4, v29
	s_nop 1
	v_mov_b32_dpp v29, v4 row_bcast:31 row_mask:0xf bank_mask:0xf
	v_cndmask_b32_e64 v29, 0, v29, s[6:7]
	v_add_u32_e32 v4, v4, v29
	s_and_saveexec_b64 s[24:25], s[20:21]
; %bb.5:                                ;   in Loop: Header=BB153_2 Depth=1
	ds_write_b32 v21, v4
; %bb.6:                                ;   in Loop: Header=BB153_2 Depth=1
	s_or_b64 exec, exec, s[24:25]
	s_waitcnt lgkmcnt(0)
	s_barrier
	s_and_saveexec_b64 s[24:25], s[0:1]
	s_cbranch_execz .LBB153_8
; %bb.7:                                ;   in Loop: Header=BB153_2 Depth=1
	ds_read_b32 v29, v22
	s_waitcnt lgkmcnt(0)
	s_nop 0
	v_mov_b32_dpp v30, v29 row_shr:1 row_mask:0xf bank_mask:0xf
	v_cndmask_b32_e64 v30, v30, 0, s[22:23]
	v_add_u32_e32 v29, v30, v29
	ds_write_b32 v22, v29
.LBB153_8:                              ;   in Loop: Header=BB153_2 Depth=1
	s_or_b64 exec, exec, s[24:25]
	v_mov_b32_e32 v29, 0
	s_waitcnt lgkmcnt(0)
	s_barrier
	s_and_saveexec_b64 s[24:25], s[2:3]
; %bb.9:                                ;   in Loop: Header=BB153_2 Depth=1
	ds_read_b32 v29, v23
; %bb.10:                               ;   in Loop: Header=BB153_2 Depth=1
	s_or_b64 exec, exec, s[24:25]
	s_waitcnt lgkmcnt(0)
	v_add_u32_e32 v4, v29, v4
	ds_bpermute_b32 v4, v26, v4
	s_waitcnt lgkmcnt(0)
	v_cndmask_b32_e64 v4, v4, v29, s[8:9]
	v_cndmask_b32_e64 v29, v4, 0, s[4:5]
	v_add_u32_e32 v30, v29, v1
	v_add_u32_e32 v1, v30, v2
	;; [unrolled: 1-line block ×3, first 2 shown]
	ds_write2_b64 v20, v[29:30], v[1:2] offset0:1 offset1:2
	s_waitcnt lgkmcnt(0)
	s_barrier
	ds_read_b32 v1, v28 offset:8
	v_lshlrev_b32_e32 v2, 3, v6
	s_waitcnt lgkmcnt(0)
	s_barrier
	v_lshl_add_u32 v1, v1, 3, v2
	ds_write_b64 v1, v[11:12]
	s_waitcnt lgkmcnt(0)
	s_barrier
	ds_read_b64 v[11:12], v24
	s_waitcnt lgkmcnt(0)
	s_barrier
	ds_write_b64 v1, v[13:14]
	v_mov_b32_e32 v1, s30
	v_mov_b32_e32 v3, s34
	;; [unrolled: 1-line block ×4, first 2 shown]
	s_waitcnt lgkmcnt(0)
	s_barrier
	ds_read_b64 v[13:14], v24
	s_waitcnt lgkmcnt(0)
	s_barrier
	ds_write2_b64 v20, v[1:2], v[3:4] offset0:1 offset1:2
	v_lshrrev_b32_e32 v1, 8, v12
	v_and_b32_e32 v2, 1, v1
	v_add_co_u32_e32 v4, vcc, -1, v2
	v_addc_co_u32_e64 v6, s[24:25], 0, -1, vcc
	v_cmp_ne_u32_e32 vcc, 0, v2
	v_xor_b32_e32 v2, vcc_hi, v6
	v_lshlrev_b32_e32 v6, 30, v1
	v_xor_b32_e32 v4, vcc_lo, v4
	v_cmp_gt_i64_e32 vcc, 0, v[5:6]
	v_not_b32_e32 v6, v6
	v_ashrrev_i32_e32 v6, 31, v6
	v_and_b32_e32 v4, exec_lo, v4
	v_xor_b32_e32 v28, vcc_hi, v6
	v_xor_b32_e32 v6, vcc_lo, v6
	v_and_b32_e32 v4, v4, v6
	v_lshlrev_b32_e32 v6, 29, v1
	v_cmp_gt_i64_e32 vcc, 0, v[5:6]
	v_not_b32_e32 v6, v6
	v_and_b32_e32 v2, exec_hi, v2
	v_ashrrev_i32_e32 v6, 31, v6
	v_and_b32_e32 v2, v2, v28
	v_xor_b32_e32 v28, vcc_hi, v6
	v_xor_b32_e32 v6, vcc_lo, v6
	v_and_b32_e32 v4, v4, v6
	v_lshlrev_b32_e32 v6, 28, v1
	v_cmp_gt_i64_e32 vcc, 0, v[5:6]
	v_not_b32_e32 v6, v6
	v_ashrrev_i32_e32 v6, 31, v6
	v_and_b32_e32 v2, v2, v28
	v_xor_b32_e32 v28, vcc_hi, v6
	v_xor_b32_e32 v6, vcc_lo, v6
	v_and_b32_e32 v4, v4, v6
	v_lshlrev_b32_e32 v6, 27, v1
	v_cmp_gt_i64_e32 vcc, 0, v[5:6]
	v_not_b32_e32 v6, v6
	;; [unrolled: 8-line block ×4, first 2 shown]
	v_ashrrev_i32_e32 v6, 31, v6
	v_and_b32_e32 v2, v2, v28
	v_xor_b32_e32 v28, vcc_hi, v6
	v_xor_b32_e32 v6, vcc_lo, v6
	v_and_b32_e32 v4, v4, v6
	v_lshlrev_b32_e32 v6, 24, v1
	v_lshlrev_b32_sdwa v3, v15, v1 dst_sel:DWORD dst_unused:UNUSED_PAD src0_sel:DWORD src1_sel:BYTE_0
	v_cmp_gt_i64_e32 vcc, 0, v[5:6]
	v_not_b32_e32 v1, v6
	v_ashrrev_i32_e32 v1, 31, v1
	v_xor_b32_e32 v6, vcc_hi, v1
	v_xor_b32_e32 v1, vcc_lo, v1
	v_and_b32_e32 v2, v2, v28
	v_and_b32_e32 v1, v4, v1
	;; [unrolled: 1-line block ×3, first 2 shown]
	v_mbcnt_lo_u32_b32 v4, v1, 0
	v_mbcnt_hi_u32_b32 v6, v2, v4
	v_cmp_ne_u64_e32 vcc, 0, v[1:2]
	v_cmp_eq_u32_e64 s[24:25], 0, v6
	s_and_b64 s[38:39], s[24:25], vcc
	v_add_u32_e32 v28, v27, v3
	s_waitcnt lgkmcnt(0)
	s_barrier
	; wave barrier
	s_and_saveexec_b64 s[24:25], s[38:39]
; %bb.11:                               ;   in Loop: Header=BB153_2 Depth=1
	v_bcnt_u32_b32 v1, v1, 0
	v_bcnt_u32_b32 v1, v2, v1
	ds_write_b32 v28, v1 offset:8
; %bb.12:                               ;   in Loop: Header=BB153_2 Depth=1
	s_or_b64 exec, exec, s[24:25]
	; wave barrier
	s_waitcnt lgkmcnt(0)
	s_barrier
	ds_read2_b64 v[1:4], v20 offset0:1 offset1:2
	s_waitcnt lgkmcnt(0)
	v_add_u32_e32 v29, v2, v1
	v_add3_u32 v4, v29, v3, v4
	s_nop 1
	v_mov_b32_dpp v29, v4 row_shr:1 row_mask:0xf bank_mask:0xf
	v_cndmask_b32_e64 v29, v29, 0, s[10:11]
	v_add_u32_e32 v4, v29, v4
	s_nop 1
	v_mov_b32_dpp v29, v4 row_shr:2 row_mask:0xf bank_mask:0xf
	v_cndmask_b32_e64 v29, 0, v29, s[12:13]
	v_add_u32_e32 v4, v4, v29
	;; [unrolled: 4-line block ×4, first 2 shown]
	s_nop 1
	v_mov_b32_dpp v29, v4 row_bcast:15 row_mask:0xf bank_mask:0xf
	v_cndmask_b32_e64 v29, v29, 0, s[18:19]
	v_add_u32_e32 v4, v4, v29
	s_nop 1
	v_mov_b32_dpp v29, v4 row_bcast:31 row_mask:0xf bank_mask:0xf
	v_cndmask_b32_e64 v29, 0, v29, s[6:7]
	v_add_u32_e32 v4, v4, v29
	s_and_saveexec_b64 s[24:25], s[20:21]
; %bb.13:                               ;   in Loop: Header=BB153_2 Depth=1
	ds_write_b32 v21, v4
; %bb.14:                               ;   in Loop: Header=BB153_2 Depth=1
	s_or_b64 exec, exec, s[24:25]
	s_waitcnt lgkmcnt(0)
	s_barrier
	s_and_saveexec_b64 s[24:25], s[0:1]
	s_cbranch_execz .LBB153_16
; %bb.15:                               ;   in Loop: Header=BB153_2 Depth=1
	ds_read_b32 v29, v22
	s_waitcnt lgkmcnt(0)
	s_nop 0
	v_mov_b32_dpp v30, v29 row_shr:1 row_mask:0xf bank_mask:0xf
	v_cndmask_b32_e64 v30, v30, 0, s[22:23]
	v_add_u32_e32 v29, v30, v29
	ds_write_b32 v22, v29
.LBB153_16:                             ;   in Loop: Header=BB153_2 Depth=1
	s_or_b64 exec, exec, s[24:25]
	v_mov_b32_e32 v29, 0
	s_waitcnt lgkmcnt(0)
	s_barrier
	s_and_saveexec_b64 s[24:25], s[2:3]
; %bb.17:                               ;   in Loop: Header=BB153_2 Depth=1
	ds_read_b32 v29, v23
; %bb.18:                               ;   in Loop: Header=BB153_2 Depth=1
	s_or_b64 exec, exec, s[24:25]
	s_waitcnt lgkmcnt(0)
	v_add_u32_e32 v4, v29, v4
	ds_bpermute_b32 v4, v26, v4
	s_waitcnt lgkmcnt(0)
	v_cndmask_b32_e64 v4, v4, v29, s[8:9]
	v_cndmask_b32_e64 v29, v4, 0, s[4:5]
	v_add_u32_e32 v30, v29, v1
	v_add_u32_e32 v1, v30, v2
	;; [unrolled: 1-line block ×3, first 2 shown]
	ds_write2_b64 v20, v[29:30], v[1:2] offset0:1 offset1:2
	s_waitcnt lgkmcnt(0)
	s_barrier
	ds_read_b32 v1, v28 offset:8
	v_lshlrev_b32_e32 v2, 3, v6
	s_waitcnt lgkmcnt(0)
	s_barrier
	v_lshl_add_u32 v1, v1, 3, v2
	ds_write_b64 v1, v[11:12]
	s_waitcnt lgkmcnt(0)
	s_barrier
	ds_read_b64 v[11:12], v24
	s_waitcnt lgkmcnt(0)
	s_barrier
	ds_write_b64 v1, v[13:14]
	v_mov_b32_e32 v1, s30
	v_mov_b32_e32 v3, s34
	;; [unrolled: 1-line block ×4, first 2 shown]
	s_waitcnt lgkmcnt(0)
	s_barrier
	ds_read_b64 v[13:14], v24
	s_waitcnt lgkmcnt(0)
	s_barrier
	ds_write2_b64 v20, v[1:2], v[3:4] offset0:1 offset1:2
	v_and_b32_sdwa v1, v12, s33 dst_sel:DWORD dst_unused:UNUSED_PAD src0_sel:WORD_1 src1_sel:DWORD
	v_lshlrev_b32_e32 v3, 3, v1
	v_mov_b32_e32 v1, 1
	v_and_b32_sdwa v1, v12, v1 dst_sel:DWORD dst_unused:UNUSED_PAD src0_sel:WORD_1 src1_sel:DWORD
	v_add_co_u32_e32 v2, vcc, -1, v1
	v_addc_co_u32_e64 v4, s[24:25], 0, -1, vcc
	v_cmp_ne_u32_e32 vcc, 0, v1
	v_xor_b32_e32 v1, vcc_hi, v4
	v_mov_b32_e32 v4, 30
	v_lshlrev_b32_sdwa v6, v4, v12 dst_sel:DWORD dst_unused:UNUSED_PAD src0_sel:DWORD src1_sel:WORD_1
	v_xor_b32_e32 v2, vcc_lo, v2
	v_cmp_gt_i64_e32 vcc, 0, v[5:6]
	v_not_b32_e32 v4, v6
	v_ashrrev_i32_e32 v4, 31, v4
	v_and_b32_e32 v2, exec_lo, v2
	v_xor_b32_e32 v6, vcc_hi, v4
	v_xor_b32_e32 v4, vcc_lo, v4
	v_and_b32_e32 v1, exec_hi, v1
	v_and_b32_e32 v2, v2, v4
	v_mov_b32_e32 v4, 29
	v_and_b32_e32 v1, v1, v6
	v_lshlrev_b32_sdwa v6, v4, v12 dst_sel:DWORD dst_unused:UNUSED_PAD src0_sel:DWORD src1_sel:WORD_1
	v_cmp_gt_i64_e32 vcc, 0, v[5:6]
	v_not_b32_e32 v4, v6
	v_ashrrev_i32_e32 v4, 31, v4
	v_xor_b32_e32 v6, vcc_hi, v4
	v_xor_b32_e32 v4, vcc_lo, v4
	v_and_b32_e32 v2, v2, v4
	v_mov_b32_e32 v4, 28
	v_and_b32_e32 v1, v1, v6
	v_lshlrev_b32_sdwa v6, v4, v12 dst_sel:DWORD dst_unused:UNUSED_PAD src0_sel:DWORD src1_sel:WORD_1
	v_cmp_gt_i64_e32 vcc, 0, v[5:6]
	v_not_b32_e32 v4, v6
	v_ashrrev_i32_e32 v4, 31, v4
	v_xor_b32_e32 v6, vcc_hi, v4
	v_xor_b32_e32 v4, vcc_lo, v4
	v_and_b32_e32 v1, v1, v6
	v_lshlrev_b32_sdwa v6, v16, v12 dst_sel:DWORD dst_unused:UNUSED_PAD src0_sel:DWORD src1_sel:WORD_1
	v_and_b32_e32 v2, v2, v4
	v_cmp_gt_i64_e32 vcc, 0, v[5:6]
	v_not_b32_e32 v4, v6
	v_ashrrev_i32_e32 v4, 31, v4
	v_xor_b32_e32 v6, vcc_hi, v4
	v_xor_b32_e32 v4, vcc_lo, v4
	v_and_b32_e32 v1, v1, v6
	v_lshlrev_b32_sdwa v6, v17, v12 dst_sel:DWORD dst_unused:UNUSED_PAD src0_sel:DWORD src1_sel:WORD_1
	v_and_b32_e32 v2, v2, v4
	;; [unrolled: 8-line block ×4, first 2 shown]
	v_cmp_gt_i64_e32 vcc, 0, v[5:6]
	v_not_b32_e32 v2, v6
	v_ashrrev_i32_e32 v2, 31, v2
	v_xor_b32_e32 v6, vcc_hi, v2
	v_xor_b32_e32 v28, vcc_lo, v2
	v_and_b32_e32 v2, v1, v6
	v_and_b32_e32 v1, v4, v28
	v_mbcnt_lo_u32_b32 v4, v1, 0
	v_mbcnt_hi_u32_b32 v6, v2, v4
	v_cmp_ne_u64_e32 vcc, 0, v[1:2]
	v_cmp_eq_u32_e64 s[24:25], 0, v6
	s_and_b64 s[38:39], s[24:25], vcc
	v_add_u32_e32 v28, v27, v3
	s_waitcnt lgkmcnt(0)
	s_barrier
	; wave barrier
	s_and_saveexec_b64 s[24:25], s[38:39]
; %bb.19:                               ;   in Loop: Header=BB153_2 Depth=1
	v_bcnt_u32_b32 v1, v1, 0
	v_bcnt_u32_b32 v1, v2, v1
	ds_write_b32 v28, v1 offset:8
; %bb.20:                               ;   in Loop: Header=BB153_2 Depth=1
	s_or_b64 exec, exec, s[24:25]
	; wave barrier
	s_waitcnt lgkmcnt(0)
	s_barrier
	ds_read2_b64 v[1:4], v20 offset0:1 offset1:2
	s_waitcnt lgkmcnt(0)
	v_add_u32_e32 v29, v2, v1
	v_add3_u32 v4, v29, v3, v4
	s_nop 1
	v_mov_b32_dpp v29, v4 row_shr:1 row_mask:0xf bank_mask:0xf
	v_cndmask_b32_e64 v29, v29, 0, s[10:11]
	v_add_u32_e32 v4, v29, v4
	s_nop 1
	v_mov_b32_dpp v29, v4 row_shr:2 row_mask:0xf bank_mask:0xf
	v_cndmask_b32_e64 v29, 0, v29, s[12:13]
	v_add_u32_e32 v4, v4, v29
	;; [unrolled: 4-line block ×4, first 2 shown]
	s_nop 1
	v_mov_b32_dpp v29, v4 row_bcast:15 row_mask:0xf bank_mask:0xf
	v_cndmask_b32_e64 v29, v29, 0, s[18:19]
	v_add_u32_e32 v4, v4, v29
	s_nop 1
	v_mov_b32_dpp v29, v4 row_bcast:31 row_mask:0xf bank_mask:0xf
	v_cndmask_b32_e64 v29, 0, v29, s[6:7]
	v_add_u32_e32 v4, v4, v29
	s_and_saveexec_b64 s[24:25], s[20:21]
; %bb.21:                               ;   in Loop: Header=BB153_2 Depth=1
	ds_write_b32 v21, v4
; %bb.22:                               ;   in Loop: Header=BB153_2 Depth=1
	s_or_b64 exec, exec, s[24:25]
	s_waitcnt lgkmcnt(0)
	s_barrier
	s_and_saveexec_b64 s[24:25], s[0:1]
	s_cbranch_execz .LBB153_24
; %bb.23:                               ;   in Loop: Header=BB153_2 Depth=1
	ds_read_b32 v29, v22
	s_waitcnt lgkmcnt(0)
	s_nop 0
	v_mov_b32_dpp v30, v29 row_shr:1 row_mask:0xf bank_mask:0xf
	v_cndmask_b32_e64 v30, v30, 0, s[22:23]
	v_add_u32_e32 v29, v30, v29
	ds_write_b32 v22, v29
.LBB153_24:                             ;   in Loop: Header=BB153_2 Depth=1
	s_or_b64 exec, exec, s[24:25]
	v_mov_b32_e32 v29, 0
	s_waitcnt lgkmcnt(0)
	s_barrier
	s_and_saveexec_b64 s[24:25], s[2:3]
; %bb.25:                               ;   in Loop: Header=BB153_2 Depth=1
	ds_read_b32 v29, v23
; %bb.26:                               ;   in Loop: Header=BB153_2 Depth=1
	s_or_b64 exec, exec, s[24:25]
	s_waitcnt lgkmcnt(0)
	v_add_u32_e32 v4, v29, v4
	ds_bpermute_b32 v4, v26, v4
	s_mov_b32 s37, 24
	s_mov_b32 s38, 8
	s_waitcnt lgkmcnt(0)
	v_cndmask_b32_e64 v4, v4, v29, s[8:9]
	v_cndmask_b32_e64 v29, v4, 0, s[4:5]
	v_add_u32_e32 v30, v29, v1
	v_add_u32_e32 v1, v30, v2
	v_add_u32_e32 v2, v1, v3
	ds_write2_b64 v20, v[29:30], v[1:2] offset0:1 offset1:2
	s_waitcnt lgkmcnt(0)
	s_barrier
	ds_read_b32 v1, v28 offset:8
	v_lshlrev_b32_e32 v2, 3, v6
	s_waitcnt lgkmcnt(0)
	s_barrier
	v_lshl_add_u32 v1, v1, 3, v2
	ds_write_b64 v1, v[11:12]
	s_waitcnt lgkmcnt(0)
	s_barrier
	ds_read_b64 v[11:12], v24
	s_waitcnt lgkmcnt(0)
	s_barrier
	ds_write_b64 v1, v[13:14]
	s_waitcnt lgkmcnt(0)
	s_barrier
	ds_read_b64 v[13:14], v24
	s_waitcnt lgkmcnt(0)
	s_barrier
	s_branch .LBB153_28
.LBB153_27:                             ;   in Loop: Header=BB153_28 Depth=2
	s_barrier
	ds_write_b64 v6, v[3:4]
	s_waitcnt lgkmcnt(0)
	s_barrier
	ds_read_b64 v[11:12], v24
	s_waitcnt lgkmcnt(0)
	s_barrier
	ds_write_b64 v6, v[1:2]
	s_waitcnt lgkmcnt(0)
	s_barrier
	ds_read_b64 v[13:14], v24
	s_add_i32 s38, s38, -8
	s_add_i32 s37, s37, 8
	s_waitcnt lgkmcnt(0)
	s_barrier
	s_cbranch_execz .LBB153_1
.LBB153_28:                             ;   Parent Loop BB153_2 Depth=1
                                        ; =>  This Inner Loop Header: Depth=2
	s_cmp_lt_u32 s37, 32
	s_cselect_b64 vcc, -1, 0
	s_cmp_gt_u32 s37, 31
	s_cselect_b64 s[24:25], -1, 0
	s_max_i32 s39, s38, 0
	s_max_i32 s40, s37, 32
	s_sub_i32 s41, s40, 32
	s_sub_i32 s40, s40, s39
	;; [unrolled: 1-line block ×3, first 2 shown]
	s_min_i32 s40, s40, 32
	s_sub_i32 s40, s40, s41
	s_lshl_b32 s42, -1, s40
	v_mov_b32_e32 v1, s30
	v_mov_b32_e32 v3, s34
	s_not_b32 s42, s42
	v_mov_b32_e32 v2, s31
	v_mov_b32_e32 v4, s35
	s_cmp_lg_u32 s40, 32
	ds_write2_b64 v20, v[1:2], v[3:4] offset0:1 offset1:2
	s_cselect_b32 s40, s42, -1
	v_lshrrev_b32_e32 v2, s41, v11
	v_lshrrev_b32_e32 v1, s37, v12
	v_and_b32_e32 v2, s40, v2
	v_bfe_u32 v1, v1, 0, s38
	v_lshlrev_b32_e32 v2, s39, v2
	v_cndmask_b32_e32 v1, 0, v1, vcc
	v_cndmask_b32_e64 v2, 0, v2, s[24:25]
	v_or_b32_e32 v1, v1, v2
	v_and_b32_e32 v2, 1, v1
	v_add_co_u32_e32 v4, vcc, -1, v2
	v_addc_co_u32_e64 v6, s[24:25], 0, -1, vcc
	v_cmp_ne_u32_e32 vcc, 0, v2
	v_xor_b32_e32 v2, vcc_hi, v6
	v_lshlrev_b32_e32 v6, 30, v1
	v_xor_b32_e32 v4, vcc_lo, v4
	v_cmp_gt_i64_e32 vcc, 0, v[5:6]
	v_not_b32_e32 v6, v6
	v_ashrrev_i32_e32 v6, 31, v6
	v_and_b32_e32 v4, exec_lo, v4
	v_xor_b32_e32 v28, vcc_hi, v6
	v_xor_b32_e32 v6, vcc_lo, v6
	v_and_b32_e32 v4, v4, v6
	v_lshlrev_b32_e32 v6, 29, v1
	v_cmp_gt_i64_e32 vcc, 0, v[5:6]
	v_not_b32_e32 v6, v6
	v_and_b32_e32 v2, exec_hi, v2
	v_ashrrev_i32_e32 v6, 31, v6
	v_and_b32_e32 v2, v2, v28
	v_xor_b32_e32 v28, vcc_hi, v6
	v_xor_b32_e32 v6, vcc_lo, v6
	v_and_b32_e32 v4, v4, v6
	v_lshlrev_b32_e32 v6, 28, v1
	v_cmp_gt_i64_e32 vcc, 0, v[5:6]
	v_not_b32_e32 v6, v6
	v_ashrrev_i32_e32 v6, 31, v6
	v_and_b32_e32 v2, v2, v28
	v_xor_b32_e32 v28, vcc_hi, v6
	v_xor_b32_e32 v6, vcc_lo, v6
	v_and_b32_e32 v4, v4, v6
	v_lshlrev_b32_e32 v6, 27, v1
	v_cmp_gt_i64_e32 vcc, 0, v[5:6]
	v_not_b32_e32 v6, v6
	;; [unrolled: 8-line block ×4, first 2 shown]
	v_ashrrev_i32_e32 v6, 31, v6
	v_and_b32_e32 v2, v2, v28
	v_xor_b32_e32 v28, vcc_hi, v6
	v_xor_b32_e32 v6, vcc_lo, v6
	v_and_b32_e32 v4, v4, v6
	v_lshlrev_b32_e32 v6, 24, v1
	v_lshlrev_b32_e32 v3, 3, v1
	v_cmp_gt_i64_e32 vcc, 0, v[5:6]
	v_not_b32_e32 v1, v6
	v_ashrrev_i32_e32 v1, 31, v1
	v_xor_b32_e32 v6, vcc_hi, v1
	v_xor_b32_e32 v1, vcc_lo, v1
	v_and_b32_e32 v2, v2, v28
	v_and_b32_e32 v1, v4, v1
	;; [unrolled: 1-line block ×3, first 2 shown]
	v_mbcnt_lo_u32_b32 v4, v1, 0
	v_mbcnt_hi_u32_b32 v6, v2, v4
	v_cmp_ne_u64_e32 vcc, 0, v[1:2]
	v_cmp_eq_u32_e64 s[24:25], 0, v6
	s_and_b64 s[40:41], s[24:25], vcc
	v_add_u32_e32 v28, v27, v3
	s_waitcnt lgkmcnt(0)
	s_barrier
	; wave barrier
	s_and_saveexec_b64 s[24:25], s[40:41]
; %bb.29:                               ;   in Loop: Header=BB153_28 Depth=2
	v_bcnt_u32_b32 v1, v1, 0
	v_bcnt_u32_b32 v1, v2, v1
	ds_write_b32 v28, v1 offset:8
; %bb.30:                               ;   in Loop: Header=BB153_28 Depth=2
	s_or_b64 exec, exec, s[24:25]
	; wave barrier
	s_waitcnt lgkmcnt(0)
	s_barrier
	ds_read2_b64 v[1:4], v20 offset0:1 offset1:2
	s_waitcnt lgkmcnt(0)
	v_add_u32_e32 v29, v2, v1
	v_add3_u32 v4, v29, v3, v4
	s_nop 1
	v_mov_b32_dpp v29, v4 row_shr:1 row_mask:0xf bank_mask:0xf
	v_cndmask_b32_e64 v29, v29, 0, s[10:11]
	v_add_u32_e32 v4, v29, v4
	s_nop 1
	v_mov_b32_dpp v29, v4 row_shr:2 row_mask:0xf bank_mask:0xf
	v_cndmask_b32_e64 v29, 0, v29, s[12:13]
	v_add_u32_e32 v4, v4, v29
	;; [unrolled: 4-line block ×4, first 2 shown]
	s_nop 1
	v_mov_b32_dpp v29, v4 row_bcast:15 row_mask:0xf bank_mask:0xf
	v_cndmask_b32_e64 v29, v29, 0, s[18:19]
	v_add_u32_e32 v4, v4, v29
	s_nop 1
	v_mov_b32_dpp v29, v4 row_bcast:31 row_mask:0xf bank_mask:0xf
	v_cndmask_b32_e64 v29, 0, v29, s[6:7]
	v_add_u32_e32 v4, v4, v29
	s_and_saveexec_b64 s[24:25], s[20:21]
; %bb.31:                               ;   in Loop: Header=BB153_28 Depth=2
	ds_write_b32 v21, v4
; %bb.32:                               ;   in Loop: Header=BB153_28 Depth=2
	s_or_b64 exec, exec, s[24:25]
	s_waitcnt lgkmcnt(0)
	s_barrier
	s_and_saveexec_b64 s[24:25], s[0:1]
	s_cbranch_execz .LBB153_34
; %bb.33:                               ;   in Loop: Header=BB153_28 Depth=2
	ds_read_b32 v29, v22
	s_waitcnt lgkmcnt(0)
	s_nop 0
	v_mov_b32_dpp v30, v29 row_shr:1 row_mask:0xf bank_mask:0xf
	v_cndmask_b32_e64 v30, v30, 0, s[22:23]
	v_add_u32_e32 v29, v30, v29
	ds_write_b32 v22, v29
.LBB153_34:                             ;   in Loop: Header=BB153_28 Depth=2
	s_or_b64 exec, exec, s[24:25]
	v_mov_b32_e32 v29, 0
	s_waitcnt lgkmcnt(0)
	s_barrier
	s_and_saveexec_b64 s[24:25], s[2:3]
; %bb.35:                               ;   in Loop: Header=BB153_28 Depth=2
	ds_read_b32 v29, v23
; %bb.36:                               ;   in Loop: Header=BB153_28 Depth=2
	s_or_b64 exec, exec, s[24:25]
	s_waitcnt lgkmcnt(0)
	v_add_u32_e32 v4, v29, v4
	ds_bpermute_b32 v4, v26, v4
	s_cmp_gt_u32 s37, 55
	s_waitcnt lgkmcnt(0)
	v_cndmask_b32_e64 v4, v4, v29, s[8:9]
	v_cndmask_b32_e64 v29, v4, 0, s[4:5]
	v_add_u32_e32 v30, v29, v1
	v_add_u32_e32 v1, v30, v2
	;; [unrolled: 1-line block ×3, first 2 shown]
	ds_write2_b64 v20, v[29:30], v[1:2] offset0:1 offset1:2
	s_waitcnt lgkmcnt(0)
	s_barrier
	ds_read_b32 v1, v28 offset:8
	v_lshlrev_b32_e32 v2, 3, v6
	v_mov_b32_e32 v3, v11
	v_mov_b32_e32 v4, v12
	s_waitcnt lgkmcnt(0)
	v_lshl_add_u32 v6, v1, 3, v2
	v_mov_b32_e32 v1, v13
	v_mov_b32_e32 v2, v14
	s_cbranch_scc0 .LBB153_27
; %bb.37:                               ;   in Loop: Header=BB153_2 Depth=1
                                        ; implicit-def: $sgpr37
                                        ; implicit-def: $vgpr13
                                        ; implicit-def: $vgpr11
                                        ; implicit-def: $sgpr38
	s_branch .LBB153_1
.LBB153_38:
	s_brev_b32 s0, 1
	s_waitcnt lgkmcnt(0)
	v_add3_u32 v1, v13, v11, s0
	v_add3_u32 v2, v14, v12, s0
	s_add_u32 s0, s26, s28
	s_addc_u32 s1, s27, s29
	v_lshlrev_b32_e32 v0, 3, v0
	global_store_dwordx2 v0, v[1:2], s[0:1]
	s_endpgm
	.section	.rodata,"a",@progbits
	.p2align	6, 0x0
	.amdhsa_kernel _Z17sort_pairs_kernelI22helper_blocked_blockedN15benchmark_utils11custom_typeIiiEELj128ELj1ELj10EEvPKT0_PS4_
		.amdhsa_group_segment_fixed_size 2064
		.amdhsa_private_segment_fixed_size 0
		.amdhsa_kernarg_size 272
		.amdhsa_user_sgpr_count 6
		.amdhsa_user_sgpr_private_segment_buffer 1
		.amdhsa_user_sgpr_dispatch_ptr 0
		.amdhsa_user_sgpr_queue_ptr 0
		.amdhsa_user_sgpr_kernarg_segment_ptr 1
		.amdhsa_user_sgpr_dispatch_id 0
		.amdhsa_user_sgpr_flat_scratch_init 0
		.amdhsa_user_sgpr_private_segment_size 0
		.amdhsa_uses_dynamic_stack 0
		.amdhsa_system_sgpr_private_segment_wavefront_offset 0
		.amdhsa_system_sgpr_workgroup_id_x 1
		.amdhsa_system_sgpr_workgroup_id_y 0
		.amdhsa_system_sgpr_workgroup_id_z 0
		.amdhsa_system_sgpr_workgroup_info 0
		.amdhsa_system_vgpr_workitem_id 2
		.amdhsa_next_free_vgpr 31
		.amdhsa_next_free_sgpr 61
		.amdhsa_reserve_vcc 1
		.amdhsa_reserve_flat_scratch 0
		.amdhsa_float_round_mode_32 0
		.amdhsa_float_round_mode_16_64 0
		.amdhsa_float_denorm_mode_32 3
		.amdhsa_float_denorm_mode_16_64 3
		.amdhsa_dx10_clamp 1
		.amdhsa_ieee_mode 1
		.amdhsa_fp16_overflow 0
		.amdhsa_exception_fp_ieee_invalid_op 0
		.amdhsa_exception_fp_denorm_src 0
		.amdhsa_exception_fp_ieee_div_zero 0
		.amdhsa_exception_fp_ieee_overflow 0
		.amdhsa_exception_fp_ieee_underflow 0
		.amdhsa_exception_fp_ieee_inexact 0
		.amdhsa_exception_int_div_zero 0
	.end_amdhsa_kernel
	.section	.text._Z17sort_pairs_kernelI22helper_blocked_blockedN15benchmark_utils11custom_typeIiiEELj128ELj1ELj10EEvPKT0_PS4_,"axG",@progbits,_Z17sort_pairs_kernelI22helper_blocked_blockedN15benchmark_utils11custom_typeIiiEELj128ELj1ELj10EEvPKT0_PS4_,comdat
.Lfunc_end153:
	.size	_Z17sort_pairs_kernelI22helper_blocked_blockedN15benchmark_utils11custom_typeIiiEELj128ELj1ELj10EEvPKT0_PS4_, .Lfunc_end153-_Z17sort_pairs_kernelI22helper_blocked_blockedN15benchmark_utils11custom_typeIiiEELj128ELj1ELj10EEvPKT0_PS4_
                                        ; -- End function
	.set _Z17sort_pairs_kernelI22helper_blocked_blockedN15benchmark_utils11custom_typeIiiEELj128ELj1ELj10EEvPKT0_PS4_.num_vgpr, 31
	.set _Z17sort_pairs_kernelI22helper_blocked_blockedN15benchmark_utils11custom_typeIiiEELj128ELj1ELj10EEvPKT0_PS4_.num_agpr, 0
	.set _Z17sort_pairs_kernelI22helper_blocked_blockedN15benchmark_utils11custom_typeIiiEELj128ELj1ELj10EEvPKT0_PS4_.numbered_sgpr, 43
	.set _Z17sort_pairs_kernelI22helper_blocked_blockedN15benchmark_utils11custom_typeIiiEELj128ELj1ELj10EEvPKT0_PS4_.num_named_barrier, 0
	.set _Z17sort_pairs_kernelI22helper_blocked_blockedN15benchmark_utils11custom_typeIiiEELj128ELj1ELj10EEvPKT0_PS4_.private_seg_size, 0
	.set _Z17sort_pairs_kernelI22helper_blocked_blockedN15benchmark_utils11custom_typeIiiEELj128ELj1ELj10EEvPKT0_PS4_.uses_vcc, 1
	.set _Z17sort_pairs_kernelI22helper_blocked_blockedN15benchmark_utils11custom_typeIiiEELj128ELj1ELj10EEvPKT0_PS4_.uses_flat_scratch, 0
	.set _Z17sort_pairs_kernelI22helper_blocked_blockedN15benchmark_utils11custom_typeIiiEELj128ELj1ELj10EEvPKT0_PS4_.has_dyn_sized_stack, 0
	.set _Z17sort_pairs_kernelI22helper_blocked_blockedN15benchmark_utils11custom_typeIiiEELj128ELj1ELj10EEvPKT0_PS4_.has_recursion, 0
	.set _Z17sort_pairs_kernelI22helper_blocked_blockedN15benchmark_utils11custom_typeIiiEELj128ELj1ELj10EEvPKT0_PS4_.has_indirect_call, 0
	.section	.AMDGPU.csdata,"",@progbits
; Kernel info:
; codeLenInByte = 3916
; TotalNumSgprs: 47
; NumVgprs: 31
; ScratchSize: 0
; MemoryBound: 0
; FloatMode: 240
; IeeeMode: 1
; LDSByteSize: 2064 bytes/workgroup (compile time only)
; SGPRBlocks: 8
; VGPRBlocks: 7
; NumSGPRsForWavesPerEU: 65
; NumVGPRsForWavesPerEU: 31
; Occupancy: 8
; WaveLimiterHint : 0
; COMPUTE_PGM_RSRC2:SCRATCH_EN: 0
; COMPUTE_PGM_RSRC2:USER_SGPR: 6
; COMPUTE_PGM_RSRC2:TRAP_HANDLER: 0
; COMPUTE_PGM_RSRC2:TGID_X_EN: 1
; COMPUTE_PGM_RSRC2:TGID_Y_EN: 0
; COMPUTE_PGM_RSRC2:TGID_Z_EN: 0
; COMPUTE_PGM_RSRC2:TIDIG_COMP_CNT: 2
	.section	.text._Z16sort_keys_kernelI22helper_blocked_blockedN15benchmark_utils11custom_typeIiiEELj128ELj3ELj10EEvPKT0_PS4_,"axG",@progbits,_Z16sort_keys_kernelI22helper_blocked_blockedN15benchmark_utils11custom_typeIiiEELj128ELj3ELj10EEvPKT0_PS4_,comdat
	.protected	_Z16sort_keys_kernelI22helper_blocked_blockedN15benchmark_utils11custom_typeIiiEELj128ELj3ELj10EEvPKT0_PS4_ ; -- Begin function _Z16sort_keys_kernelI22helper_blocked_blockedN15benchmark_utils11custom_typeIiiEELj128ELj3ELj10EEvPKT0_PS4_
	.globl	_Z16sort_keys_kernelI22helper_blocked_blockedN15benchmark_utils11custom_typeIiiEELj128ELj3ELj10EEvPKT0_PS4_
	.p2align	8
	.type	_Z16sort_keys_kernelI22helper_blocked_blockedN15benchmark_utils11custom_typeIiiEELj128ELj3ELj10EEvPKT0_PS4_,@function
_Z16sort_keys_kernelI22helper_blocked_blockedN15benchmark_utils11custom_typeIiiEELj128ELj3ELj10EEvPKT0_PS4_: ; @_Z16sort_keys_kernelI22helper_blocked_blockedN15benchmark_utils11custom_typeIiiEELj128ELj3ELj10EEvPKT0_PS4_
; %bb.0:
	s_load_dwordx4 s[28:31], s[4:5], 0x0
	s_load_dword s2, s[4:5], 0x1c
	s_mul_i32 s34, s6, 0x180
	s_mov_b32 s35, 0
	s_lshl_b64 s[36:37], s[34:35], 3
	s_waitcnt lgkmcnt(0)
	s_add_u32 s0, s28, s36
	s_addc_u32 s1, s29, s37
	v_lshlrev_b32_e32 v5, 3, v0
	global_load_dwordx2 v[3:4], v5, s[0:1]
	global_load_dwordx2 v[6:7], v5, s[0:1] offset:1024
	global_load_dwordx2 v[8:9], v5, s[0:1] offset:2048
	v_mbcnt_lo_u32_b32 v10, -1, 0
	v_mbcnt_hi_u32_b32 v10, -1, v10
	s_lshr_b32 s0, s2, 16
	v_lshrrev_b32_e32 v11, 6, v0
	s_and_b32 s1, s2, 0xffff
	v_mad_u32_u24 v1, v2, s0, v1
	v_and_b32_e32 v2, 15, v10
	v_mul_u32_u24_e32 v12, 0xc0, v11
	v_mad_u32_u24 v1, v1, s1, v0
	v_cmp_eq_u32_e64 s[0:1], 0, v2
	v_cmp_lt_u32_e64 s[2:3], 1, v2
	v_cmp_lt_u32_e64 s[4:5], 3, v2
	v_cmp_lt_u32_e64 s[6:7], 7, v2
	v_and_b32_e32 v2, 16, v10
	v_lshlrev_b32_e32 v12, 3, v12
	v_lshlrev_b32_e32 v13, 3, v10
	v_cmp_eq_u32_e64 s[8:9], 0, v2
	v_and_b32_e32 v2, 64, v0
	v_mad_u32_u24 v15, v10, 24, v12
	v_add_u32_e32 v16, v13, v12
	v_or_b32_e32 v12, 63, v2
	v_cmp_eq_u32_e64 s[12:13], v0, v12
	v_subrev_co_u32_e64 v12, s[18:19], 1, v10
	v_and_b32_e32 v14, 64, v10
	v_lshlrev_b32_e32 v17, 4, v0
	v_cmp_lt_i32_e32 vcc, v12, v14
	v_lshrrev_b32_e32 v1, 4, v1
	v_cmp_lt_u32_e64 s[10:11], 31, v10
	v_cndmask_b32_e32 v12, v12, v10, vcc
	v_mad_i32_i24 v20, v0, -12, v17
	v_and_b32_e32 v10, 1, v10
	v_mul_u32_u24_e32 v2, 24, v2
	v_and_b32_e32 v21, 0xffffffc, v1
	v_mul_u32_u24_e32 v1, 20, v0
	v_mov_b32_e32 v5, 0
	v_cmp_gt_u32_e64 s[14:15], 2, v0
	v_cmp_lt_u32_e64 s[16:17], 63, v0
	v_lshlrev_b32_e32 v18, 2, v12
	v_cmp_eq_u32_e64 s[20:21], 0, v0
	v_lshlrev_b32_e32 v19, 2, v11
	v_cmp_eq_u32_e64 s[22:23], 0, v10
	s_mov_b32 s34, s35
	s_mov_b32 s38, s35
	;; [unrolled: 1-line block ×3, first 2 shown]
	v_add_u32_e32 v22, v13, v2
	v_add_u32_e32 v23, v20, v1
	s_mov_b32 s33, s35
	s_branch .LBB154_2
.LBB154_1:                              ;   in Loop: Header=BB154_2 Depth=1
	s_barrier
	ds_write_b64 v25, v[11:12]
	ds_write_b64 v24, v[9:10]
	;; [unrolled: 1-line block ×3, first 2 shown]
	s_waitcnt lgkmcnt(0)
	s_barrier
	ds_read2_b64 v[6:9], v23 offset1:1
	ds_read_b64 v[1:2], v23 offset:16
	s_add_i32 s33, s33, 1
	s_cmp_eq_u32 s33, 10
	s_waitcnt lgkmcnt(1)
	v_xor_b32_e32 v3, 0x80000000, v6
	v_xor_b32_e32 v4, 0x80000000, v7
	;; [unrolled: 1-line block ×4, first 2 shown]
	s_waitcnt lgkmcnt(0)
	v_xor_b32_e32 v8, 0x80000000, v1
	v_xor_b32_e32 v9, 0x80000000, v2
	s_cbranch_scc1 .LBB154_18
.LBB154_2:                              ; =>This Loop Header: Depth=1
                                        ;     Child Loop BB154_4 Depth 2
	s_waitcnt vmcnt(2)
	v_xor_b32_e32 v2, 0x80000000, v4
	v_xor_b32_e32 v1, 0x80000000, v3
	s_waitcnt vmcnt(1)
	v_xor_b32_e32 v4, 0x80000000, v7
	v_xor_b32_e32 v3, 0x80000000, v6
	s_waitcnt vmcnt(0)
	v_xor_b32_e32 v7, 0x80000000, v9
	v_xor_b32_e32 v6, 0x80000000, v8
	ds_write2_b64 v15, v[1:2], v[3:4] offset1:1
	ds_write_b64 v15, v[6:7] offset:16
	; wave barrier
	ds_read2st64_b64 v[1:4], v16 offset1:1
	ds_read_b64 v[13:14], v16 offset:1024
	s_mov_b32 s40, 8
	s_mov_b32 s41, 32
	;; [unrolled: 1-line block ×3, first 2 shown]
	s_waitcnt lgkmcnt(0)
	s_barrier
	; wave barrier
	s_barrier
	s_branch .LBB154_4
.LBB154_3:                              ;   in Loop: Header=BB154_4 Depth=2
	s_andn2_b64 vcc, exec, s[24:25]
	s_cbranch_vccz .LBB154_1
.LBB154_4:                              ;   Parent Loop BB154_2 Depth=1
                                        ; =>  This Inner Loop Header: Depth=2
	s_min_i32 s26, s40, 32
	s_cmp_lt_u32 s42, 32
	s_cselect_b64 s[24:25], -1, 0
	s_cmp_gt_u32 s42, 31
	s_cselect_b64 vcc, -1, 0
	s_sub_i32 s26, s26, 32
	s_add_i32 s27, s26, s41
	s_lshl_b32 s27, -1, s27
	s_not_b32 s27, s27
	s_cmp_lg_u32 s26, s42
	s_cselect_b32 s44, s27, -1
	s_max_i32 s43, s41, 0
	s_max_i32 s26, s42, 32
	s_sub_i32 s45, s26, 32
	s_sub_i32 s26, s26, s43
	;; [unrolled: 1-line block ×3, first 2 shown]
	s_min_i32 s26, s26, 32
	s_sub_i32 s26, s26, s45
	v_mov_b32_e32 v12, v2
	v_mov_b32_e32 v10, v4
	s_lshl_b32 s27, -1, s26
	v_mov_b32_e32 v11, v1
	v_mov_b32_e32 v9, v3
	v_mov_b32_e32 v1, s34
	v_mov_b32_e32 v3, s38
	s_not_b32 s27, s27
	v_mov_b32_e32 v2, s35
	v_mov_b32_e32 v4, s39
	s_cmp_lg_u32 s26, 32
	ds_write2_b64 v17, v[1:2], v[3:4] offset0:1 offset1:2
	s_cselect_b32 s46, s27, -1
	v_lshrrev_b32_e32 v2, s45, v11
	v_lshrrev_b32_e32 v1, s42, v12
	v_and_b32_e32 v2, s46, v2
	v_and_b32_e32 v1, s44, v1
	v_lshlrev_b32_e32 v2, s43, v2
	v_cndmask_b32_e64 v1, 0, v1, s[24:25]
	v_cndmask_b32_e32 v2, 0, v2, vcc
	v_or_b32_e32 v1, v1, v2
	v_and_b32_e32 v2, 1, v1
	v_add_co_u32_e64 v4, s[26:27], -1, v2
	v_addc_co_u32_e64 v6, s[26:27], 0, -1, s[26:27]
	v_cmp_ne_u32_e64 s[26:27], 0, v2
	v_xor_b32_e32 v2, s27, v6
	v_lshlrev_b32_e32 v6, 30, v1
	v_xor_b32_e32 v4, s26, v4
	v_cmp_gt_i64_e64 s[26:27], 0, v[5:6]
	v_not_b32_e32 v6, v6
	v_mov_b32_e32 v7, v13
	v_ashrrev_i32_e32 v6, 31, v6
	v_mov_b32_e32 v8, v14
	v_and_b32_e32 v4, exec_lo, v4
	v_xor_b32_e32 v13, s27, v6
	v_xor_b32_e32 v6, s26, v6
	v_and_b32_e32 v4, v4, v6
	v_lshlrev_b32_e32 v6, 29, v1
	v_cmp_gt_i64_e64 s[26:27], 0, v[5:6]
	v_not_b32_e32 v6, v6
	v_and_b32_e32 v2, exec_hi, v2
	v_ashrrev_i32_e32 v6, 31, v6
	v_and_b32_e32 v2, v2, v13
	v_xor_b32_e32 v13, s27, v6
	v_xor_b32_e32 v6, s26, v6
	v_and_b32_e32 v4, v4, v6
	v_lshlrev_b32_e32 v6, 28, v1
	v_cmp_gt_i64_e64 s[26:27], 0, v[5:6]
	v_not_b32_e32 v6, v6
	v_ashrrev_i32_e32 v6, 31, v6
	v_and_b32_e32 v2, v2, v13
	v_xor_b32_e32 v13, s27, v6
	v_xor_b32_e32 v6, s26, v6
	v_and_b32_e32 v4, v4, v6
	v_lshlrev_b32_e32 v6, 27, v1
	v_cmp_gt_i64_e64 s[26:27], 0, v[5:6]
	v_not_b32_e32 v6, v6
	;; [unrolled: 8-line block ×4, first 2 shown]
	v_ashrrev_i32_e32 v6, 31, v6
	v_and_b32_e32 v2, v2, v13
	v_xor_b32_e32 v13, s27, v6
	v_xor_b32_e32 v6, s26, v6
	v_and_b32_e32 v4, v4, v6
	v_lshlrev_b32_e32 v6, 24, v1
	v_lshlrev_b32_e32 v3, 3, v1
	v_cmp_gt_i64_e64 s[26:27], 0, v[5:6]
	v_not_b32_e32 v1, v6
	v_ashrrev_i32_e32 v1, 31, v1
	v_xor_b32_e32 v6, s27, v1
	v_xor_b32_e32 v1, s26, v1
	v_and_b32_e32 v2, v2, v13
	v_and_b32_e32 v1, v4, v1
	;; [unrolled: 1-line block ×3, first 2 shown]
	v_mbcnt_lo_u32_b32 v4, v1, 0
	v_mbcnt_hi_u32_b32 v13, v2, v4
	v_cmp_ne_u64_e64 s[26:27], 0, v[1:2]
	v_cmp_eq_u32_e64 s[28:29], 0, v13
	s_and_b64 s[28:29], s[28:29], s[26:27]
	v_add_u32_e32 v14, v21, v3
	s_waitcnt lgkmcnt(0)
	s_barrier
	; wave barrier
	s_and_saveexec_b64 s[26:27], s[28:29]
; %bb.5:                                ;   in Loop: Header=BB154_4 Depth=2
	v_bcnt_u32_b32 v1, v1, 0
	v_bcnt_u32_b32 v1, v2, v1
	ds_write_b32 v14, v1 offset:8
; %bb.6:                                ;   in Loop: Header=BB154_4 Depth=2
	s_or_b64 exec, exec, s[26:27]
	v_lshrrev_b32_e32 v2, s45, v9
	v_lshrrev_b32_e32 v1, s42, v10
	v_and_b32_e32 v2, s46, v2
	v_and_b32_e32 v1, s44, v1
	v_lshlrev_b32_e32 v2, s43, v2
	v_cndmask_b32_e64 v1, 0, v1, s[24:25]
	v_cndmask_b32_e32 v2, 0, v2, vcc
	v_or_b32_e32 v1, v1, v2
	v_lshlrev_b32_e32 v2, 3, v1
	v_add_u32_e32 v25, v21, v2
	v_and_b32_e32 v2, 1, v1
	v_add_co_u32_e64 v3, s[26:27], -1, v2
	v_addc_co_u32_e64 v4, s[26:27], 0, -1, s[26:27]
	v_cmp_ne_u32_e64 s[26:27], 0, v2
	v_lshlrev_b32_e32 v6, 30, v1
	v_xor_b32_e32 v2, s27, v4
	v_xor_b32_e32 v3, s26, v3
	v_cmp_gt_i64_e64 s[26:27], 0, v[5:6]
	v_not_b32_e32 v4, v6
	v_ashrrev_i32_e32 v4, 31, v4
	v_and_b32_e32 v2, exec_hi, v2
	v_xor_b32_e32 v6, s27, v4
	v_and_b32_e32 v3, exec_lo, v3
	v_xor_b32_e32 v4, s26, v4
	v_and_b32_e32 v2, v2, v6
	v_lshlrev_b32_e32 v6, 29, v1
	v_and_b32_e32 v3, v3, v4
	v_cmp_gt_i64_e64 s[26:27], 0, v[5:6]
	v_not_b32_e32 v4, v6
	v_ashrrev_i32_e32 v4, 31, v4
	v_xor_b32_e32 v6, s27, v4
	v_xor_b32_e32 v4, s26, v4
	v_and_b32_e32 v2, v2, v6
	v_lshlrev_b32_e32 v6, 28, v1
	v_and_b32_e32 v3, v3, v4
	v_cmp_gt_i64_e64 s[26:27], 0, v[5:6]
	v_not_b32_e32 v4, v6
	v_ashrrev_i32_e32 v4, 31, v4
	v_xor_b32_e32 v6, s27, v4
	;; [unrolled: 8-line block ×5, first 2 shown]
	v_and_b32_e32 v2, v2, v6
	v_lshlrev_b32_e32 v6, 24, v1
	v_xor_b32_e32 v4, s26, v4
	v_cmp_gt_i64_e64 s[26:27], 0, v[5:6]
	v_not_b32_e32 v1, v6
	v_ashrrev_i32_e32 v1, 31, v1
	v_and_b32_e32 v3, v3, v4
	v_xor_b32_e32 v4, s27, v1
	v_xor_b32_e32 v1, s26, v1
	; wave barrier
	ds_read_b32 v24, v25 offset:8
	v_and_b32_e32 v1, v3, v1
	v_and_b32_e32 v2, v2, v4
	v_mbcnt_lo_u32_b32 v3, v1, 0
	v_mbcnt_hi_u32_b32 v26, v2, v3
	v_cmp_ne_u64_e64 s[26:27], 0, v[1:2]
	v_cmp_eq_u32_e64 s[28:29], 0, v26
	s_and_b64 s[28:29], s[28:29], s[26:27]
	; wave barrier
	s_and_saveexec_b64 s[26:27], s[28:29]
	s_cbranch_execz .LBB154_8
; %bb.7:                                ;   in Loop: Header=BB154_4 Depth=2
	v_bcnt_u32_b32 v1, v1, 0
	v_bcnt_u32_b32 v1, v2, v1
	s_waitcnt lgkmcnt(0)
	v_add_u32_e32 v1, v24, v1
	ds_write_b32 v25, v1 offset:8
.LBB154_8:                              ;   in Loop: Header=BB154_4 Depth=2
	s_or_b64 exec, exec, s[26:27]
	v_lshrrev_b32_e32 v2, s45, v7
	v_lshrrev_b32_e32 v1, s42, v8
	v_and_b32_e32 v2, s46, v2
	v_and_b32_e32 v1, s44, v1
	v_lshlrev_b32_e32 v2, s43, v2
	v_cndmask_b32_e64 v1, 0, v1, s[24:25]
	v_cndmask_b32_e32 v2, 0, v2, vcc
	v_or_b32_e32 v1, v1, v2
	v_lshlrev_b32_e32 v2, 3, v1
	v_add_u32_e32 v28, v21, v2
	v_and_b32_e32 v2, 1, v1
	v_add_co_u32_e32 v3, vcc, -1, v2
	v_addc_co_u32_e64 v4, s[24:25], 0, -1, vcc
	v_cmp_ne_u32_e32 vcc, 0, v2
	v_lshlrev_b32_e32 v6, 30, v1
	v_xor_b32_e32 v2, vcc_hi, v4
	v_xor_b32_e32 v3, vcc_lo, v3
	v_cmp_gt_i64_e32 vcc, 0, v[5:6]
	v_not_b32_e32 v4, v6
	v_ashrrev_i32_e32 v4, 31, v4
	v_and_b32_e32 v2, exec_hi, v2
	v_xor_b32_e32 v6, vcc_hi, v4
	v_and_b32_e32 v3, exec_lo, v3
	v_xor_b32_e32 v4, vcc_lo, v4
	v_and_b32_e32 v2, v2, v6
	v_lshlrev_b32_e32 v6, 29, v1
	v_and_b32_e32 v3, v3, v4
	v_cmp_gt_i64_e32 vcc, 0, v[5:6]
	v_not_b32_e32 v4, v6
	v_ashrrev_i32_e32 v4, 31, v4
	v_xor_b32_e32 v6, vcc_hi, v4
	v_xor_b32_e32 v4, vcc_lo, v4
	v_and_b32_e32 v2, v2, v6
	v_lshlrev_b32_e32 v6, 28, v1
	v_and_b32_e32 v3, v3, v4
	v_cmp_gt_i64_e32 vcc, 0, v[5:6]
	v_not_b32_e32 v4, v6
	v_ashrrev_i32_e32 v4, 31, v4
	v_xor_b32_e32 v6, vcc_hi, v4
	;; [unrolled: 8-line block ×5, first 2 shown]
	v_and_b32_e32 v2, v2, v6
	v_lshlrev_b32_e32 v6, 24, v1
	v_xor_b32_e32 v4, vcc_lo, v4
	v_cmp_gt_i64_e32 vcc, 0, v[5:6]
	v_not_b32_e32 v1, v6
	v_ashrrev_i32_e32 v1, 31, v1
	v_and_b32_e32 v3, v3, v4
	v_xor_b32_e32 v4, vcc_hi, v1
	v_xor_b32_e32 v1, vcc_lo, v1
	; wave barrier
	ds_read_b32 v27, v28 offset:8
	v_and_b32_e32 v1, v3, v1
	v_and_b32_e32 v2, v2, v4
	v_mbcnt_lo_u32_b32 v3, v1, 0
	v_mbcnt_hi_u32_b32 v6, v2, v3
	v_cmp_ne_u64_e32 vcc, 0, v[1:2]
	v_cmp_eq_u32_e64 s[24:25], 0, v6
	s_and_b64 s[26:27], s[24:25], vcc
	; wave barrier
	s_and_saveexec_b64 s[24:25], s[26:27]
	s_cbranch_execz .LBB154_10
; %bb.9:                                ;   in Loop: Header=BB154_4 Depth=2
	v_bcnt_u32_b32 v1, v1, 0
	v_bcnt_u32_b32 v1, v2, v1
	s_waitcnt lgkmcnt(0)
	v_add_u32_e32 v1, v27, v1
	ds_write_b32 v28, v1 offset:8
.LBB154_10:                             ;   in Loop: Header=BB154_4 Depth=2
	s_or_b64 exec, exec, s[24:25]
	; wave barrier
	s_waitcnt lgkmcnt(0)
	s_barrier
	ds_read2_b64 v[1:4], v17 offset0:1 offset1:2
	s_waitcnt lgkmcnt(0)
	v_add_u32_e32 v29, v2, v1
	v_add3_u32 v4, v29, v3, v4
	s_nop 1
	v_mov_b32_dpp v29, v4 row_shr:1 row_mask:0xf bank_mask:0xf
	v_cndmask_b32_e64 v29, v29, 0, s[0:1]
	v_add_u32_e32 v4, v29, v4
	s_nop 1
	v_mov_b32_dpp v29, v4 row_shr:2 row_mask:0xf bank_mask:0xf
	v_cndmask_b32_e64 v29, 0, v29, s[2:3]
	v_add_u32_e32 v4, v4, v29
	;; [unrolled: 4-line block ×4, first 2 shown]
	s_nop 1
	v_mov_b32_dpp v29, v4 row_bcast:15 row_mask:0xf bank_mask:0xf
	v_cndmask_b32_e64 v29, v29, 0, s[8:9]
	v_add_u32_e32 v4, v4, v29
	s_nop 1
	v_mov_b32_dpp v29, v4 row_bcast:31 row_mask:0xf bank_mask:0xf
	v_cndmask_b32_e64 v29, 0, v29, s[10:11]
	v_add_u32_e32 v4, v4, v29
	s_and_saveexec_b64 s[24:25], s[12:13]
; %bb.11:                               ;   in Loop: Header=BB154_4 Depth=2
	ds_write_b32 v19, v4
; %bb.12:                               ;   in Loop: Header=BB154_4 Depth=2
	s_or_b64 exec, exec, s[24:25]
	s_waitcnt lgkmcnt(0)
	s_barrier
	s_and_saveexec_b64 s[24:25], s[14:15]
	s_cbranch_execz .LBB154_14
; %bb.13:                               ;   in Loop: Header=BB154_4 Depth=2
	ds_read_b32 v29, v20
	s_waitcnt lgkmcnt(0)
	s_nop 0
	v_mov_b32_dpp v30, v29 row_shr:1 row_mask:0xf bank_mask:0xf
	v_cndmask_b32_e64 v30, v30, 0, s[22:23]
	v_add_u32_e32 v29, v30, v29
	ds_write_b32 v20, v29
.LBB154_14:                             ;   in Loop: Header=BB154_4 Depth=2
	s_or_b64 exec, exec, s[24:25]
	v_mov_b32_e32 v29, 0
	s_waitcnt lgkmcnt(0)
	s_barrier
	s_and_saveexec_b64 s[24:25], s[16:17]
; %bb.15:                               ;   in Loop: Header=BB154_4 Depth=2
	v_add_u32_e32 v29, -4, v19
	ds_read_b32 v29, v29
; %bb.16:                               ;   in Loop: Header=BB154_4 Depth=2
	s_or_b64 exec, exec, s[24:25]
	s_waitcnt lgkmcnt(0)
	v_add_u32_e32 v4, v29, v4
	ds_bpermute_b32 v4, v18, v4
	s_cmp_gt_u32 s42, 55
	s_mov_b64 s[24:25], -1
	s_waitcnt lgkmcnt(0)
	v_cndmask_b32_e64 v4, v4, v29, s[18:19]
	v_cndmask_b32_e64 v29, v4, 0, s[20:21]
	v_add_u32_e32 v30, v29, v1
	v_add_u32_e32 v1, v30, v2
	;; [unrolled: 1-line block ×3, first 2 shown]
	ds_write2_b64 v17, v[29:30], v[1:2] offset0:1 offset1:2
	s_waitcnt lgkmcnt(0)
	s_barrier
	ds_read_b32 v1, v14 offset:8
	ds_read_b32 v2, v25 offset:8
	ds_read_b32 v3, v28 offset:8
	v_lshlrev_b32_e32 v4, 3, v13
	s_waitcnt lgkmcnt(0)
	v_lshl_add_u32 v25, v1, 3, v4
	v_lshlrev_b32_e32 v1, 3, v26
	v_lshlrev_b32_e32 v4, 3, v24
	;; [unrolled: 1-line block ×3, first 2 shown]
	v_add3_u32 v24, v1, v4, v2
	v_lshlrev_b32_e32 v1, 3, v6
	v_lshlrev_b32_e32 v2, 3, v27
	;; [unrolled: 1-line block ×3, first 2 shown]
	v_add3_u32 v6, v1, v2, v3
                                        ; implicit-def: $vgpr1_vgpr2
                                        ; implicit-def: $vgpr13_vgpr14
	s_cbranch_scc1 .LBB154_3
; %bb.17:                               ;   in Loop: Header=BB154_4 Depth=2
	s_barrier
	ds_write_b64 v25, v[11:12]
	ds_write_b64 v24, v[9:10]
	;; [unrolled: 1-line block ×3, first 2 shown]
	s_waitcnt lgkmcnt(0)
	s_barrier
	ds_read2st64_b64 v[1:4], v22 offset1:1
	ds_read_b64 v[13:14], v22 offset:1024
	s_add_i32 s41, s41, -8
	s_add_i32 s40, s40, 8
	s_add_i32 s42, s42, 8
	s_mov_b64 s[24:25], 0
	s_waitcnt lgkmcnt(0)
	s_barrier
	s_branch .LBB154_3
.LBB154_18:
	s_add_u32 s0, s30, s36
	s_addc_u32 s1, s31, s37
	v_lshlrev_b32_e32 v0, 3, v0
	global_store_dwordx2 v0, v[3:4], s[0:1]
	global_store_dwordx2 v0, v[6:7], s[0:1] offset:1024
	global_store_dwordx2 v0, v[8:9], s[0:1] offset:2048
	s_endpgm
	.section	.rodata,"a",@progbits
	.p2align	6, 0x0
	.amdhsa_kernel _Z16sort_keys_kernelI22helper_blocked_blockedN15benchmark_utils11custom_typeIiiEELj128ELj3ELj10EEvPKT0_PS4_
		.amdhsa_group_segment_fixed_size 3072
		.amdhsa_private_segment_fixed_size 0
		.amdhsa_kernarg_size 272
		.amdhsa_user_sgpr_count 6
		.amdhsa_user_sgpr_private_segment_buffer 1
		.amdhsa_user_sgpr_dispatch_ptr 0
		.amdhsa_user_sgpr_queue_ptr 0
		.amdhsa_user_sgpr_kernarg_segment_ptr 1
		.amdhsa_user_sgpr_dispatch_id 0
		.amdhsa_user_sgpr_flat_scratch_init 0
		.amdhsa_user_sgpr_private_segment_size 0
		.amdhsa_uses_dynamic_stack 0
		.amdhsa_system_sgpr_private_segment_wavefront_offset 0
		.amdhsa_system_sgpr_workgroup_id_x 1
		.amdhsa_system_sgpr_workgroup_id_y 0
		.amdhsa_system_sgpr_workgroup_id_z 0
		.amdhsa_system_sgpr_workgroup_info 0
		.amdhsa_system_vgpr_workitem_id 2
		.amdhsa_next_free_vgpr 31
		.amdhsa_next_free_sgpr 61
		.amdhsa_reserve_vcc 1
		.amdhsa_reserve_flat_scratch 0
		.amdhsa_float_round_mode_32 0
		.amdhsa_float_round_mode_16_64 0
		.amdhsa_float_denorm_mode_32 3
		.amdhsa_float_denorm_mode_16_64 3
		.amdhsa_dx10_clamp 1
		.amdhsa_ieee_mode 1
		.amdhsa_fp16_overflow 0
		.amdhsa_exception_fp_ieee_invalid_op 0
		.amdhsa_exception_fp_denorm_src 0
		.amdhsa_exception_fp_ieee_div_zero 0
		.amdhsa_exception_fp_ieee_overflow 0
		.amdhsa_exception_fp_ieee_underflow 0
		.amdhsa_exception_fp_ieee_inexact 0
		.amdhsa_exception_int_div_zero 0
	.end_amdhsa_kernel
	.section	.text._Z16sort_keys_kernelI22helper_blocked_blockedN15benchmark_utils11custom_typeIiiEELj128ELj3ELj10EEvPKT0_PS4_,"axG",@progbits,_Z16sort_keys_kernelI22helper_blocked_blockedN15benchmark_utils11custom_typeIiiEELj128ELj3ELj10EEvPKT0_PS4_,comdat
.Lfunc_end154:
	.size	_Z16sort_keys_kernelI22helper_blocked_blockedN15benchmark_utils11custom_typeIiiEELj128ELj3ELj10EEvPKT0_PS4_, .Lfunc_end154-_Z16sort_keys_kernelI22helper_blocked_blockedN15benchmark_utils11custom_typeIiiEELj128ELj3ELj10EEvPKT0_PS4_
                                        ; -- End function
	.set _Z16sort_keys_kernelI22helper_blocked_blockedN15benchmark_utils11custom_typeIiiEELj128ELj3ELj10EEvPKT0_PS4_.num_vgpr, 31
	.set _Z16sort_keys_kernelI22helper_blocked_blockedN15benchmark_utils11custom_typeIiiEELj128ELj3ELj10EEvPKT0_PS4_.num_agpr, 0
	.set _Z16sort_keys_kernelI22helper_blocked_blockedN15benchmark_utils11custom_typeIiiEELj128ELj3ELj10EEvPKT0_PS4_.numbered_sgpr, 47
	.set _Z16sort_keys_kernelI22helper_blocked_blockedN15benchmark_utils11custom_typeIiiEELj128ELj3ELj10EEvPKT0_PS4_.num_named_barrier, 0
	.set _Z16sort_keys_kernelI22helper_blocked_blockedN15benchmark_utils11custom_typeIiiEELj128ELj3ELj10EEvPKT0_PS4_.private_seg_size, 0
	.set _Z16sort_keys_kernelI22helper_blocked_blockedN15benchmark_utils11custom_typeIiiEELj128ELj3ELj10EEvPKT0_PS4_.uses_vcc, 1
	.set _Z16sort_keys_kernelI22helper_blocked_blockedN15benchmark_utils11custom_typeIiiEELj128ELj3ELj10EEvPKT0_PS4_.uses_flat_scratch, 0
	.set _Z16sort_keys_kernelI22helper_blocked_blockedN15benchmark_utils11custom_typeIiiEELj128ELj3ELj10EEvPKT0_PS4_.has_dyn_sized_stack, 0
	.set _Z16sort_keys_kernelI22helper_blocked_blockedN15benchmark_utils11custom_typeIiiEELj128ELj3ELj10EEvPKT0_PS4_.has_recursion, 0
	.set _Z16sort_keys_kernelI22helper_blocked_blockedN15benchmark_utils11custom_typeIiiEELj128ELj3ELj10EEvPKT0_PS4_.has_indirect_call, 0
	.section	.AMDGPU.csdata,"",@progbits
; Kernel info:
; codeLenInByte = 2528
; TotalNumSgprs: 51
; NumVgprs: 31
; ScratchSize: 0
; MemoryBound: 0
; FloatMode: 240
; IeeeMode: 1
; LDSByteSize: 3072 bytes/workgroup (compile time only)
; SGPRBlocks: 8
; VGPRBlocks: 7
; NumSGPRsForWavesPerEU: 65
; NumVGPRsForWavesPerEU: 31
; Occupancy: 8
; WaveLimiterHint : 1
; COMPUTE_PGM_RSRC2:SCRATCH_EN: 0
; COMPUTE_PGM_RSRC2:USER_SGPR: 6
; COMPUTE_PGM_RSRC2:TRAP_HANDLER: 0
; COMPUTE_PGM_RSRC2:TGID_X_EN: 1
; COMPUTE_PGM_RSRC2:TGID_Y_EN: 0
; COMPUTE_PGM_RSRC2:TGID_Z_EN: 0
; COMPUTE_PGM_RSRC2:TIDIG_COMP_CNT: 2
	.section	.text._Z17sort_pairs_kernelI22helper_blocked_blockedN15benchmark_utils11custom_typeIiiEELj128ELj3ELj10EEvPKT0_PS4_,"axG",@progbits,_Z17sort_pairs_kernelI22helper_blocked_blockedN15benchmark_utils11custom_typeIiiEELj128ELj3ELj10EEvPKT0_PS4_,comdat
	.protected	_Z17sort_pairs_kernelI22helper_blocked_blockedN15benchmark_utils11custom_typeIiiEELj128ELj3ELj10EEvPKT0_PS4_ ; -- Begin function _Z17sort_pairs_kernelI22helper_blocked_blockedN15benchmark_utils11custom_typeIiiEELj128ELj3ELj10EEvPKT0_PS4_
	.globl	_Z17sort_pairs_kernelI22helper_blocked_blockedN15benchmark_utils11custom_typeIiiEELj128ELj3ELj10EEvPKT0_PS4_
	.p2align	8
	.type	_Z17sort_pairs_kernelI22helper_blocked_blockedN15benchmark_utils11custom_typeIiiEELj128ELj3ELj10EEvPKT0_PS4_,@function
_Z17sort_pairs_kernelI22helper_blocked_blockedN15benchmark_utils11custom_typeIiiEELj128ELj3ELj10EEvPKT0_PS4_: ; @_Z17sort_pairs_kernelI22helper_blocked_blockedN15benchmark_utils11custom_typeIiiEELj128ELj3ELj10EEvPKT0_PS4_
; %bb.0:
	s_load_dwordx4 s[28:31], s[4:5], 0x0
	s_load_dword s24, s[4:5], 0x1c
	s_mul_i32 s36, s6, 0x180
	s_mov_b32 s37, 0
	s_lshl_b64 s[34:35], s[36:37], 3
	s_waitcnt lgkmcnt(0)
	s_add_u32 s0, s28, s34
	s_addc_u32 s1, s29, s35
	v_lshlrev_b32_e32 v5, 3, v0
	global_load_dwordx2 v[3:4], v5, s[0:1]
	global_load_dwordx2 v[10:11], v5, s[0:1] offset:1024
	global_load_dwordx2 v[12:13], v5, s[0:1] offset:2048
	v_mbcnt_lo_u32_b32 v5, -1, 0
	v_mbcnt_hi_u32_b32 v5, -1, v5
	s_lshr_b32 s25, s24, 16
	v_lshrrev_b32_e32 v6, 6, v0
	v_subrev_co_u32_e64 v19, s[8:9], 1, v5
	v_and_b32_e32 v20, 64, v5
	s_and_b32 s24, s24, 0xffff
	v_mad_u32_u24 v1, v2, s25, v1
	v_lshlrev_b32_e32 v27, 4, v0
	v_and_b32_e32 v7, 64, v0
	v_mul_u32_u24_e32 v14, 0xc0, v6
	v_and_b32_e32 v16, 15, v5
	v_cmp_lt_i32_e32 vcc, v19, v20
	v_mad_u32_u24 v1, v1, s24, v0
	v_mul_u32_u24_e32 v8, 20, v0
	v_lshlrev_b32_e32 v15, 3, v5
	v_and_b32_e32 v17, 16, v5
	v_or_b32_e32 v18, 63, v7
	v_lshlrev_b32_e32 v28, 2, v6
	v_mad_i32_i24 v29, v0, -12, v27
	v_and_b32_e32 v6, 1, v5
	v_mul_u32_u24_e32 v7, 24, v7
	v_lshlrev_b32_e32 v14, 3, v14
	v_cmp_eq_u32_e64 s[10:11], 0, v16
	v_cmp_lt_u32_e64 s[12:13], 1, v16
	v_cmp_lt_u32_e64 s[14:15], 3, v16
	;; [unrolled: 1-line block ×3, first 2 shown]
	v_cndmask_b32_e32 v16, v19, v5, vcc
	v_lshrrev_b32_e32 v1, 4, v1
	v_mov_b32_e32 v9, 0
	v_cmp_gt_u32_e64 s[0:1], 2, v0
	v_cmp_lt_u32_e64 s[2:3], 63, v0
	v_cmp_eq_u32_e64 s[4:5], 0, v0
	s_mov_b32 s38, s37
	s_mov_b32 s39, s37
	v_cmp_lt_u32_e64 s[6:7], 31, v5
	s_mov_b32 s36, s37
	v_cmp_eq_u32_e64 s[18:19], 0, v17
	v_cmp_eq_u32_e64 s[20:21], v0, v18
	;; [unrolled: 1-line block ×3, first 2 shown]
	v_add_u32_e32 v30, -4, v28
	v_add_u32_e32 v31, v15, v7
	v_add_u32_e32 v32, v29, v8
	v_mad_u32_u24 v33, v5, 24, v14
	v_add_u32_e32 v34, v15, v14
	v_lshlrev_b32_e32 v35, 2, v16
	v_and_b32_e32 v36, 0xffffffc, v1
	s_mov_b32 s33, s37
	s_waitcnt vmcnt(2)
	v_add_u32_e32 v6, 1, v4
	v_add_u32_e32 v5, 1, v3
	s_waitcnt vmcnt(1)
	v_add_u32_e32 v8, 1, v11
	v_add_u32_e32 v7, 1, v10
	;; [unrolled: 3-line block ×3, first 2 shown]
	s_branch .LBB155_2
.LBB155_1:                              ;   in Loop: Header=BB155_2 Depth=1
	s_barrier
	ds_write_b64 v37, v[21:22]
	ds_write_b64 v38, v[19:20]
	;; [unrolled: 1-line block ×3, first 2 shown]
	s_waitcnt lgkmcnt(0)
	s_barrier
	ds_read2_b64 v[17:20], v32 offset1:1
	ds_read_b64 v[1:2], v32 offset:16
	s_waitcnt lgkmcnt(0)
	s_barrier
	ds_write_b64 v37, v[15:16]
	ds_write_b64 v38, v[13:14]
	;; [unrolled: 1-line block ×3, first 2 shown]
	s_waitcnt lgkmcnt(0)
	s_barrier
	ds_read2_b64 v[5:8], v32 offset1:1
	ds_read_b64 v[14:15], v32 offset:16
	s_add_i32 s33, s33, 1
	v_xor_b32_e32 v3, 0x80000000, v17
	v_xor_b32_e32 v4, 0x80000000, v18
	;; [unrolled: 1-line block ×5, first 2 shown]
	s_cmp_lg_u32 s33, 10
	v_xor_b32_e32 v13, 0x80000000, v2
	s_cbranch_scc0 .LBB155_18
.LBB155_2:                              ; =>This Loop Header: Depth=1
                                        ;     Child Loop BB155_4 Depth 2
	v_xor_b32_e32 v2, 0x80000000, v4
	v_xor_b32_e32 v1, 0x80000000, v3
	;; [unrolled: 1-line block ×6, first 2 shown]
	ds_write2_b64 v33, v[1:2], v[3:4] offset1:1
	ds_write_b64 v33, v[10:11] offset:16
	; wave barrier
	ds_read2st64_b64 v[1:4], v34 offset1:1
	ds_read_b64 v[23:24], v34 offset:1024
	; wave barrier
	s_waitcnt lgkmcnt(5)
	ds_write2_b64 v33, v[5:6], v[7:8] offset1:1
	s_waitcnt lgkmcnt(5)
	ds_write_b64 v33, v[14:15] offset:16
	; wave barrier
	ds_read2st64_b64 v[5:8], v34 offset1:1
	ds_read_b64 v[25:26], v34 offset:1024
	s_mov_b32 s40, 8
	s_mov_b32 s41, 32
	;; [unrolled: 1-line block ×3, first 2 shown]
	s_waitcnt lgkmcnt(0)
	s_barrier
	s_branch .LBB155_4
.LBB155_3:                              ;   in Loop: Header=BB155_4 Depth=2
	s_andn2_b64 vcc, exec, s[24:25]
	s_cbranch_vccz .LBB155_1
.LBB155_4:                              ;   Parent Loop BB155_2 Depth=1
                                        ; =>  This Inner Loop Header: Depth=2
	s_min_i32 s26, s40, 32
	s_cmp_lt_u32 s42, 32
	s_cselect_b64 s[24:25], -1, 0
	s_cmp_gt_u32 s42, 31
	s_cselect_b64 vcc, -1, 0
	s_sub_i32 s26, s26, 32
	s_add_i32 s27, s26, s41
	s_lshl_b32 s27, -1, s27
	s_not_b32 s27, s27
	s_cmp_lg_u32 s26, s42
	s_cselect_b32 s44, s27, -1
	s_max_i32 s43, s41, 0
	s_max_i32 s26, s42, 32
	s_sub_i32 s45, s26, 32
	s_sub_i32 s26, s26, s43
	;; [unrolled: 1-line block ×3, first 2 shown]
	s_min_i32 s26, s26, 32
	s_sub_i32 s26, s26, s45
	v_mov_b32_e32 v22, v2
	v_mov_b32_e32 v20, v4
	s_lshl_b32 s27, -1, s26
	v_mov_b32_e32 v21, v1
	v_mov_b32_e32 v19, v3
	;; [unrolled: 1-line block ×4, first 2 shown]
	s_not_b32 s27, s27
	v_mov_b32_e32 v2, s37
	v_mov_b32_e32 v4, s39
	s_cmp_lg_u32 s26, 32
	ds_write2_b64 v27, v[1:2], v[3:4] offset0:1 offset1:2
	s_cselect_b32 s46, s27, -1
	v_lshrrev_b32_e32 v2, s45, v21
	v_lshrrev_b32_e32 v1, s42, v22
	v_and_b32_e32 v2, s46, v2
	v_and_b32_e32 v1, s44, v1
	v_lshlrev_b32_e32 v2, s43, v2
	v_cndmask_b32_e64 v1, 0, v1, s[24:25]
	v_cndmask_b32_e32 v2, 0, v2, vcc
	v_or_b32_e32 v1, v1, v2
	v_and_b32_e32 v2, 1, v1
	v_mov_b32_e32 v16, v6
	v_add_co_u32_e64 v4, s[26:27], -1, v2
	v_mov_b32_e32 v15, v5
	v_addc_co_u32_e64 v5, s[26:27], 0, -1, s[26:27]
	v_cmp_ne_u32_e64 s[26:27], 0, v2
	v_lshlrev_b32_e32 v10, 30, v1
	v_xor_b32_e32 v2, s27, v5
	v_xor_b32_e32 v4, s26, v4
	v_cmp_gt_i64_e64 s[26:27], 0, v[9:10]
	v_not_b32_e32 v5, v10
	v_ashrrev_i32_e32 v5, 31, v5
	v_and_b32_e32 v4, exec_lo, v4
	v_xor_b32_e32 v6, s27, v5
	v_xor_b32_e32 v5, s26, v5
	v_lshlrev_b32_e32 v10, 29, v1
	v_and_b32_e32 v4, v4, v5
	v_cmp_gt_i64_e64 s[26:27], 0, v[9:10]
	v_not_b32_e32 v5, v10
	v_and_b32_e32 v2, exec_hi, v2
	v_ashrrev_i32_e32 v5, 31, v5
	v_and_b32_e32 v2, v2, v6
	v_xor_b32_e32 v6, s27, v5
	v_xor_b32_e32 v5, s26, v5
	v_lshlrev_b32_e32 v10, 28, v1
	v_and_b32_e32 v4, v4, v5
	v_cmp_gt_i64_e64 s[26:27], 0, v[9:10]
	v_not_b32_e32 v5, v10
	v_ashrrev_i32_e32 v5, 31, v5
	v_and_b32_e32 v2, v2, v6
	v_xor_b32_e32 v6, s27, v5
	v_xor_b32_e32 v5, s26, v5
	v_lshlrev_b32_e32 v10, 27, v1
	v_and_b32_e32 v4, v4, v5
	v_cmp_gt_i64_e64 s[26:27], 0, v[9:10]
	v_not_b32_e32 v5, v10
	v_ashrrev_i32_e32 v5, 31, v5
	v_and_b32_e32 v2, v2, v6
	v_xor_b32_e32 v6, s27, v5
	v_xor_b32_e32 v5, s26, v5
	v_lshlrev_b32_e32 v10, 26, v1
	v_and_b32_e32 v4, v4, v5
	v_cmp_gt_i64_e64 s[26:27], 0, v[9:10]
	v_not_b32_e32 v5, v10
	v_ashrrev_i32_e32 v5, 31, v5
	v_and_b32_e32 v2, v2, v6
	v_xor_b32_e32 v6, s27, v5
	v_xor_b32_e32 v5, s26, v5
	v_lshlrev_b32_e32 v10, 25, v1
	v_and_b32_e32 v4, v4, v5
	v_cmp_gt_i64_e64 s[26:27], 0, v[9:10]
	v_not_b32_e32 v5, v10
	v_ashrrev_i32_e32 v5, 31, v5
	v_lshlrev_b32_e32 v10, 24, v1
	v_lshlrev_b32_e32 v3, 3, v1
	v_and_b32_e32 v2, v2, v6
	v_xor_b32_e32 v6, s27, v5
	v_xor_b32_e32 v5, s26, v5
	v_cmp_gt_i64_e64 s[26:27], 0, v[9:10]
	v_not_b32_e32 v1, v10
	v_ashrrev_i32_e32 v1, 31, v1
	v_and_b32_e32 v4, v4, v5
	v_xor_b32_e32 v5, s27, v1
	v_xor_b32_e32 v1, s26, v1
	v_and_b32_e32 v2, v2, v6
	v_and_b32_e32 v1, v4, v1
	;; [unrolled: 1-line block ×3, first 2 shown]
	v_mbcnt_lo_u32_b32 v4, v1, 0
	v_mbcnt_hi_u32_b32 v5, v2, v4
	v_cmp_ne_u64_e64 s[26:27], 0, v[1:2]
	v_mov_b32_e32 v14, v8
	v_mov_b32_e32 v11, v25
	;; [unrolled: 1-line block ×3, first 2 shown]
	v_cmp_eq_u32_e64 s[28:29], 0, v5
	v_mov_b32_e32 v13, v7
	v_mov_b32_e32 v12, v26
	;; [unrolled: 1-line block ×3, first 2 shown]
	s_and_b64 s[28:29], s[28:29], s[26:27]
	v_add_u32_e32 v6, v36, v3
	s_waitcnt lgkmcnt(0)
	s_barrier
	; wave barrier
	s_and_saveexec_b64 s[26:27], s[28:29]
; %bb.5:                                ;   in Loop: Header=BB155_4 Depth=2
	v_bcnt_u32_b32 v1, v1, 0
	v_bcnt_u32_b32 v1, v2, v1
	ds_write_b32 v6, v1 offset:8
; %bb.6:                                ;   in Loop: Header=BB155_4 Depth=2
	s_or_b64 exec, exec, s[26:27]
	v_lshrrev_b32_e32 v2, s45, v19
	v_lshrrev_b32_e32 v1, s42, v20
	v_and_b32_e32 v2, s46, v2
	v_and_b32_e32 v1, s44, v1
	v_lshlrev_b32_e32 v2, s43, v2
	v_cndmask_b32_e64 v1, 0, v1, s[24:25]
	v_cndmask_b32_e32 v2, 0, v2, vcc
	v_or_b32_e32 v1, v1, v2
	v_lshlrev_b32_e32 v2, 3, v1
	v_add_u32_e32 v8, v36, v2
	v_and_b32_e32 v2, 1, v1
	v_add_co_u32_e64 v3, s[26:27], -1, v2
	v_addc_co_u32_e64 v4, s[26:27], 0, -1, s[26:27]
	v_cmp_ne_u32_e64 s[26:27], 0, v2
	v_lshlrev_b32_e32 v10, 30, v1
	v_xor_b32_e32 v2, s27, v4
	v_xor_b32_e32 v3, s26, v3
	v_cmp_gt_i64_e64 s[26:27], 0, v[9:10]
	v_not_b32_e32 v4, v10
	v_ashrrev_i32_e32 v4, 31, v4
	v_and_b32_e32 v2, exec_hi, v2
	v_xor_b32_e32 v10, s27, v4
	v_and_b32_e32 v3, exec_lo, v3
	v_xor_b32_e32 v4, s26, v4
	v_and_b32_e32 v2, v2, v10
	v_lshlrev_b32_e32 v10, 29, v1
	v_and_b32_e32 v3, v3, v4
	v_cmp_gt_i64_e64 s[26:27], 0, v[9:10]
	v_not_b32_e32 v4, v10
	v_ashrrev_i32_e32 v4, 31, v4
	v_xor_b32_e32 v10, s27, v4
	v_xor_b32_e32 v4, s26, v4
	v_and_b32_e32 v2, v2, v10
	v_lshlrev_b32_e32 v10, 28, v1
	v_and_b32_e32 v3, v3, v4
	v_cmp_gt_i64_e64 s[26:27], 0, v[9:10]
	v_not_b32_e32 v4, v10
	v_ashrrev_i32_e32 v4, 31, v4
	v_xor_b32_e32 v10, s27, v4
	;; [unrolled: 8-line block ×5, first 2 shown]
	v_and_b32_e32 v2, v2, v10
	v_lshlrev_b32_e32 v10, 24, v1
	v_xor_b32_e32 v4, s26, v4
	v_cmp_gt_i64_e64 s[26:27], 0, v[9:10]
	v_not_b32_e32 v1, v10
	v_ashrrev_i32_e32 v1, 31, v1
	v_and_b32_e32 v3, v3, v4
	v_xor_b32_e32 v4, s27, v1
	v_xor_b32_e32 v1, s26, v1
	; wave barrier
	ds_read_b32 v7, v8 offset:8
	v_and_b32_e32 v1, v3, v1
	v_and_b32_e32 v2, v2, v4
	v_mbcnt_lo_u32_b32 v3, v1, 0
	v_mbcnt_hi_u32_b32 v23, v2, v3
	v_cmp_ne_u64_e64 s[26:27], 0, v[1:2]
	v_cmp_eq_u32_e64 s[28:29], 0, v23
	s_and_b64 s[28:29], s[28:29], s[26:27]
	; wave barrier
	s_and_saveexec_b64 s[26:27], s[28:29]
	s_cbranch_execz .LBB155_8
; %bb.7:                                ;   in Loop: Header=BB155_4 Depth=2
	v_bcnt_u32_b32 v1, v1, 0
	v_bcnt_u32_b32 v1, v2, v1
	s_waitcnt lgkmcnt(0)
	v_add_u32_e32 v1, v7, v1
	ds_write_b32 v8, v1 offset:8
.LBB155_8:                              ;   in Loop: Header=BB155_4 Depth=2
	s_or_b64 exec, exec, s[26:27]
	v_lshrrev_b32_e32 v2, s45, v17
	v_lshrrev_b32_e32 v1, s42, v18
	v_and_b32_e32 v2, s46, v2
	v_and_b32_e32 v1, s44, v1
	v_lshlrev_b32_e32 v2, s43, v2
	v_cndmask_b32_e64 v1, 0, v1, s[24:25]
	v_cndmask_b32_e32 v2, 0, v2, vcc
	v_or_b32_e32 v1, v1, v2
	v_lshlrev_b32_e32 v2, 3, v1
	v_add_u32_e32 v25, v36, v2
	v_and_b32_e32 v2, 1, v1
	v_add_co_u32_e32 v3, vcc, -1, v2
	v_addc_co_u32_e64 v4, s[24:25], 0, -1, vcc
	v_cmp_ne_u32_e32 vcc, 0, v2
	v_lshlrev_b32_e32 v10, 30, v1
	v_xor_b32_e32 v2, vcc_hi, v4
	v_xor_b32_e32 v3, vcc_lo, v3
	v_cmp_gt_i64_e32 vcc, 0, v[9:10]
	v_not_b32_e32 v4, v10
	v_ashrrev_i32_e32 v4, 31, v4
	v_and_b32_e32 v2, exec_hi, v2
	v_xor_b32_e32 v10, vcc_hi, v4
	v_and_b32_e32 v3, exec_lo, v3
	v_xor_b32_e32 v4, vcc_lo, v4
	v_and_b32_e32 v2, v2, v10
	v_lshlrev_b32_e32 v10, 29, v1
	v_and_b32_e32 v3, v3, v4
	v_cmp_gt_i64_e32 vcc, 0, v[9:10]
	v_not_b32_e32 v4, v10
	v_ashrrev_i32_e32 v4, 31, v4
	v_xor_b32_e32 v10, vcc_hi, v4
	v_xor_b32_e32 v4, vcc_lo, v4
	v_and_b32_e32 v2, v2, v10
	v_lshlrev_b32_e32 v10, 28, v1
	v_and_b32_e32 v3, v3, v4
	v_cmp_gt_i64_e32 vcc, 0, v[9:10]
	v_not_b32_e32 v4, v10
	v_ashrrev_i32_e32 v4, 31, v4
	v_xor_b32_e32 v10, vcc_hi, v4
	;; [unrolled: 8-line block ×5, first 2 shown]
	v_and_b32_e32 v2, v2, v10
	v_lshlrev_b32_e32 v10, 24, v1
	v_xor_b32_e32 v4, vcc_lo, v4
	v_cmp_gt_i64_e32 vcc, 0, v[9:10]
	v_not_b32_e32 v1, v10
	v_ashrrev_i32_e32 v1, 31, v1
	v_and_b32_e32 v3, v3, v4
	v_xor_b32_e32 v4, vcc_hi, v1
	v_xor_b32_e32 v1, vcc_lo, v1
	; wave barrier
	ds_read_b32 v24, v25 offset:8
	v_and_b32_e32 v1, v3, v1
	v_and_b32_e32 v2, v2, v4
	v_mbcnt_lo_u32_b32 v3, v1, 0
	v_mbcnt_hi_u32_b32 v10, v2, v3
	v_cmp_ne_u64_e32 vcc, 0, v[1:2]
	v_cmp_eq_u32_e64 s[24:25], 0, v10
	s_and_b64 s[26:27], s[24:25], vcc
	; wave barrier
	s_and_saveexec_b64 s[24:25], s[26:27]
	s_cbranch_execz .LBB155_10
; %bb.9:                                ;   in Loop: Header=BB155_4 Depth=2
	v_bcnt_u32_b32 v1, v1, 0
	v_bcnt_u32_b32 v1, v2, v1
	s_waitcnt lgkmcnt(0)
	v_add_u32_e32 v1, v24, v1
	ds_write_b32 v25, v1 offset:8
.LBB155_10:                             ;   in Loop: Header=BB155_4 Depth=2
	s_or_b64 exec, exec, s[24:25]
	; wave barrier
	s_waitcnt lgkmcnt(0)
	s_barrier
	ds_read2_b64 v[1:4], v27 offset0:1 offset1:2
	s_waitcnt lgkmcnt(0)
	v_add_u32_e32 v26, v2, v1
	v_add3_u32 v4, v26, v3, v4
	s_nop 1
	v_mov_b32_dpp v26, v4 row_shr:1 row_mask:0xf bank_mask:0xf
	v_cndmask_b32_e64 v26, v26, 0, s[10:11]
	v_add_u32_e32 v4, v26, v4
	s_nop 1
	v_mov_b32_dpp v26, v4 row_shr:2 row_mask:0xf bank_mask:0xf
	v_cndmask_b32_e64 v26, 0, v26, s[12:13]
	v_add_u32_e32 v4, v4, v26
	;; [unrolled: 4-line block ×4, first 2 shown]
	s_nop 1
	v_mov_b32_dpp v26, v4 row_bcast:15 row_mask:0xf bank_mask:0xf
	v_cndmask_b32_e64 v26, v26, 0, s[18:19]
	v_add_u32_e32 v4, v4, v26
	s_nop 1
	v_mov_b32_dpp v26, v4 row_bcast:31 row_mask:0xf bank_mask:0xf
	v_cndmask_b32_e64 v26, 0, v26, s[6:7]
	v_add_u32_e32 v4, v4, v26
	s_and_saveexec_b64 s[24:25], s[20:21]
; %bb.11:                               ;   in Loop: Header=BB155_4 Depth=2
	ds_write_b32 v28, v4
; %bb.12:                               ;   in Loop: Header=BB155_4 Depth=2
	s_or_b64 exec, exec, s[24:25]
	s_waitcnt lgkmcnt(0)
	s_barrier
	s_and_saveexec_b64 s[24:25], s[0:1]
	s_cbranch_execz .LBB155_14
; %bb.13:                               ;   in Loop: Header=BB155_4 Depth=2
	ds_read_b32 v26, v29
	s_waitcnt lgkmcnt(0)
	s_nop 0
	v_mov_b32_dpp v37, v26 row_shr:1 row_mask:0xf bank_mask:0xf
	v_cndmask_b32_e64 v37, v37, 0, s[22:23]
	v_add_u32_e32 v26, v37, v26
	ds_write_b32 v29, v26
.LBB155_14:                             ;   in Loop: Header=BB155_4 Depth=2
	s_or_b64 exec, exec, s[24:25]
	v_mov_b32_e32 v26, 0
	s_waitcnt lgkmcnt(0)
	s_barrier
	s_and_saveexec_b64 s[24:25], s[2:3]
; %bb.15:                               ;   in Loop: Header=BB155_4 Depth=2
	ds_read_b32 v26, v30
; %bb.16:                               ;   in Loop: Header=BB155_4 Depth=2
	s_or_b64 exec, exec, s[24:25]
	s_waitcnt lgkmcnt(0)
	v_add_u32_e32 v4, v26, v4
	ds_bpermute_b32 v4, v35, v4
	s_cmp_gt_u32 s42, 55
	s_mov_b64 s[24:25], -1
	s_waitcnt lgkmcnt(0)
	v_cndmask_b32_e64 v4, v4, v26, s[8:9]
	v_cndmask_b32_e64 v37, v4, 0, s[4:5]
	v_add_u32_e32 v38, v37, v1
	v_add_u32_e32 v1, v38, v2
	;; [unrolled: 1-line block ×3, first 2 shown]
	ds_write2_b64 v27, v[37:38], v[1:2] offset0:1 offset1:2
	s_waitcnt lgkmcnt(0)
	s_barrier
	ds_read_b32 v1, v6 offset:8
	ds_read_b32 v2, v8 offset:8
	ds_read_b32 v3, v25 offset:8
	v_lshlrev_b32_e32 v4, 3, v5
	s_waitcnt lgkmcnt(0)
	v_lshl_add_u32 v37, v1, 3, v4
	v_lshlrev_b32_e32 v1, 3, v23
	v_lshlrev_b32_e32 v4, 3, v7
	;; [unrolled: 1-line block ×3, first 2 shown]
	v_add3_u32 v38, v1, v4, v2
	v_lshlrev_b32_e32 v1, 3, v10
	v_lshlrev_b32_e32 v2, 3, v24
	;; [unrolled: 1-line block ×3, first 2 shown]
	v_add3_u32 v10, v1, v2, v3
                                        ; implicit-def: $vgpr5_vgpr6
                                        ; implicit-def: $vgpr25_vgpr26
                                        ; implicit-def: $vgpr1_vgpr2
                                        ; implicit-def: $vgpr23_vgpr24
	s_cbranch_scc1 .LBB155_3
; %bb.17:                               ;   in Loop: Header=BB155_4 Depth=2
	s_barrier
	ds_write_b64 v37, v[21:22]
	ds_write_b64 v38, v[19:20]
	;; [unrolled: 1-line block ×3, first 2 shown]
	s_waitcnt lgkmcnt(0)
	s_barrier
	ds_read2st64_b64 v[1:4], v31 offset1:1
	ds_read_b64 v[23:24], v31 offset:1024
	s_waitcnt lgkmcnt(0)
	s_barrier
	ds_write_b64 v37, v[15:16]
	ds_write_b64 v38, v[13:14]
	;; [unrolled: 1-line block ×3, first 2 shown]
	s_waitcnt lgkmcnt(0)
	s_barrier
	ds_read2st64_b64 v[5:8], v31 offset1:1
	ds_read_b64 v[25:26], v31 offset:1024
	s_add_i32 s41, s41, -8
	s_add_i32 s40, s40, 8
	s_add_i32 s42, s42, 8
	s_mov_b64 s[24:25], 0
	s_waitcnt lgkmcnt(0)
	s_barrier
	s_branch .LBB155_3
.LBB155_18:
	s_add_u32 s0, s30, s34
	s_waitcnt lgkmcnt(1)
	v_add_u32_e32 v1, v3, v5
	v_add_u32_e32 v2, v4, v6
	s_addc_u32 s1, s31, s35
	v_lshlrev_b32_e32 v0, 3, v0
	v_add_u32_e32 v3, v10, v7
	v_add_u32_e32 v4, v11, v8
	s_waitcnt lgkmcnt(0)
	v_add_u32_e32 v5, v12, v14
	v_add_u32_e32 v6, v13, v15
	global_store_dwordx2 v0, v[1:2], s[0:1]
	global_store_dwordx2 v0, v[3:4], s[0:1] offset:1024
	global_store_dwordx2 v0, v[5:6], s[0:1] offset:2048
	s_endpgm
	.section	.rodata,"a",@progbits
	.p2align	6, 0x0
	.amdhsa_kernel _Z17sort_pairs_kernelI22helper_blocked_blockedN15benchmark_utils11custom_typeIiiEELj128ELj3ELj10EEvPKT0_PS4_
		.amdhsa_group_segment_fixed_size 3072
		.amdhsa_private_segment_fixed_size 0
		.amdhsa_kernarg_size 272
		.amdhsa_user_sgpr_count 6
		.amdhsa_user_sgpr_private_segment_buffer 1
		.amdhsa_user_sgpr_dispatch_ptr 0
		.amdhsa_user_sgpr_queue_ptr 0
		.amdhsa_user_sgpr_kernarg_segment_ptr 1
		.amdhsa_user_sgpr_dispatch_id 0
		.amdhsa_user_sgpr_flat_scratch_init 0
		.amdhsa_user_sgpr_private_segment_size 0
		.amdhsa_uses_dynamic_stack 0
		.amdhsa_system_sgpr_private_segment_wavefront_offset 0
		.amdhsa_system_sgpr_workgroup_id_x 1
		.amdhsa_system_sgpr_workgroup_id_y 0
		.amdhsa_system_sgpr_workgroup_id_z 0
		.amdhsa_system_sgpr_workgroup_info 0
		.amdhsa_system_vgpr_workitem_id 2
		.amdhsa_next_free_vgpr 39
		.amdhsa_next_free_sgpr 61
		.amdhsa_reserve_vcc 1
		.amdhsa_reserve_flat_scratch 0
		.amdhsa_float_round_mode_32 0
		.amdhsa_float_round_mode_16_64 0
		.amdhsa_float_denorm_mode_32 3
		.amdhsa_float_denorm_mode_16_64 3
		.amdhsa_dx10_clamp 1
		.amdhsa_ieee_mode 1
		.amdhsa_fp16_overflow 0
		.amdhsa_exception_fp_ieee_invalid_op 0
		.amdhsa_exception_fp_denorm_src 0
		.amdhsa_exception_fp_ieee_div_zero 0
		.amdhsa_exception_fp_ieee_overflow 0
		.amdhsa_exception_fp_ieee_underflow 0
		.amdhsa_exception_fp_ieee_inexact 0
		.amdhsa_exception_int_div_zero 0
	.end_amdhsa_kernel
	.section	.text._Z17sort_pairs_kernelI22helper_blocked_blockedN15benchmark_utils11custom_typeIiiEELj128ELj3ELj10EEvPKT0_PS4_,"axG",@progbits,_Z17sort_pairs_kernelI22helper_blocked_blockedN15benchmark_utils11custom_typeIiiEELj128ELj3ELj10EEvPKT0_PS4_,comdat
.Lfunc_end155:
	.size	_Z17sort_pairs_kernelI22helper_blocked_blockedN15benchmark_utils11custom_typeIiiEELj128ELj3ELj10EEvPKT0_PS4_, .Lfunc_end155-_Z17sort_pairs_kernelI22helper_blocked_blockedN15benchmark_utils11custom_typeIiiEELj128ELj3ELj10EEvPKT0_PS4_
                                        ; -- End function
	.set _Z17sort_pairs_kernelI22helper_blocked_blockedN15benchmark_utils11custom_typeIiiEELj128ELj3ELj10EEvPKT0_PS4_.num_vgpr, 39
	.set _Z17sort_pairs_kernelI22helper_blocked_blockedN15benchmark_utils11custom_typeIiiEELj128ELj3ELj10EEvPKT0_PS4_.num_agpr, 0
	.set _Z17sort_pairs_kernelI22helper_blocked_blockedN15benchmark_utils11custom_typeIiiEELj128ELj3ELj10EEvPKT0_PS4_.numbered_sgpr, 47
	.set _Z17sort_pairs_kernelI22helper_blocked_blockedN15benchmark_utils11custom_typeIiiEELj128ELj3ELj10EEvPKT0_PS4_.num_named_barrier, 0
	.set _Z17sort_pairs_kernelI22helper_blocked_blockedN15benchmark_utils11custom_typeIiiEELj128ELj3ELj10EEvPKT0_PS4_.private_seg_size, 0
	.set _Z17sort_pairs_kernelI22helper_blocked_blockedN15benchmark_utils11custom_typeIiiEELj128ELj3ELj10EEvPKT0_PS4_.uses_vcc, 1
	.set _Z17sort_pairs_kernelI22helper_blocked_blockedN15benchmark_utils11custom_typeIiiEELj128ELj3ELj10EEvPKT0_PS4_.uses_flat_scratch, 0
	.set _Z17sort_pairs_kernelI22helper_blocked_blockedN15benchmark_utils11custom_typeIiiEELj128ELj3ELj10EEvPKT0_PS4_.has_dyn_sized_stack, 0
	.set _Z17sort_pairs_kernelI22helper_blocked_blockedN15benchmark_utils11custom_typeIiiEELj128ELj3ELj10EEvPKT0_PS4_.has_recursion, 0
	.set _Z17sort_pairs_kernelI22helper_blocked_blockedN15benchmark_utils11custom_typeIiiEELj128ELj3ELj10EEvPKT0_PS4_.has_indirect_call, 0
	.section	.AMDGPU.csdata,"",@progbits
; Kernel info:
; codeLenInByte = 2748
; TotalNumSgprs: 51
; NumVgprs: 39
; ScratchSize: 0
; MemoryBound: 0
; FloatMode: 240
; IeeeMode: 1
; LDSByteSize: 3072 bytes/workgroup (compile time only)
; SGPRBlocks: 8
; VGPRBlocks: 9
; NumSGPRsForWavesPerEU: 65
; NumVGPRsForWavesPerEU: 39
; Occupancy: 6
; WaveLimiterHint : 1
; COMPUTE_PGM_RSRC2:SCRATCH_EN: 0
; COMPUTE_PGM_RSRC2:USER_SGPR: 6
; COMPUTE_PGM_RSRC2:TRAP_HANDLER: 0
; COMPUTE_PGM_RSRC2:TGID_X_EN: 1
; COMPUTE_PGM_RSRC2:TGID_Y_EN: 0
; COMPUTE_PGM_RSRC2:TGID_Z_EN: 0
; COMPUTE_PGM_RSRC2:TIDIG_COMP_CNT: 2
	.section	.text._Z16sort_keys_kernelI22helper_blocked_blockedN15benchmark_utils11custom_typeIiiEELj128ELj4ELj10EEvPKT0_PS4_,"axG",@progbits,_Z16sort_keys_kernelI22helper_blocked_blockedN15benchmark_utils11custom_typeIiiEELj128ELj4ELj10EEvPKT0_PS4_,comdat
	.protected	_Z16sort_keys_kernelI22helper_blocked_blockedN15benchmark_utils11custom_typeIiiEELj128ELj4ELj10EEvPKT0_PS4_ ; -- Begin function _Z16sort_keys_kernelI22helper_blocked_blockedN15benchmark_utils11custom_typeIiiEELj128ELj4ELj10EEvPKT0_PS4_
	.globl	_Z16sort_keys_kernelI22helper_blocked_blockedN15benchmark_utils11custom_typeIiiEELj128ELj4ELj10EEvPKT0_PS4_
	.p2align	8
	.type	_Z16sort_keys_kernelI22helper_blocked_blockedN15benchmark_utils11custom_typeIiiEELj128ELj4ELj10EEvPKT0_PS4_,@function
_Z16sort_keys_kernelI22helper_blocked_blockedN15benchmark_utils11custom_typeIiiEELj128ELj4ELj10EEvPKT0_PS4_: ; @_Z16sort_keys_kernelI22helper_blocked_blockedN15benchmark_utils11custom_typeIiiEELj128ELj4ELj10EEvPKT0_PS4_
; %bb.0:
	s_load_dwordx4 s[40:43], s[4:5], 0x0
	s_load_dword s8, s[4:5], 0x1c
	s_lshl_b32 s44, s6, 9
	s_mov_b32 s45, 0
	s_lshl_b64 s[46:47], s[44:45], 3
	s_waitcnt lgkmcnt(0)
	s_add_u32 s0, s40, s46
	s_addc_u32 s1, s41, s47
	v_lshlrev_b32_e32 v9, 3, v0
	global_load_dwordx2 v[3:4], v9, s[0:1]
	global_load_dwordx2 v[15:16], v9, s[0:1] offset:1024
	global_load_dwordx2 v[5:6], v9, s[0:1] offset:2048
	;; [unrolled: 1-line block ×3, first 2 shown]
	v_mbcnt_lo_u32_b32 v10, -1, 0
	v_mbcnt_hi_u32_b32 v10, -1, v10
	s_lshr_b32 s9, s8, 16
	s_and_b32 s8, s8, 0xffff
	v_mad_u32_u24 v1, v2, s9, v1
	v_and_b32_e32 v2, 15, v10
	v_mad_u32_u24 v1, v1, s8, v0
	v_cmp_eq_u32_e64 s[8:9], 0, v2
	v_cmp_lt_u32_e64 s[10:11], 1, v2
	v_cmp_lt_u32_e64 s[12:13], 3, v2
	;; [unrolled: 1-line block ×3, first 2 shown]
	v_and_b32_e32 v2, 16, v10
	v_cmp_eq_u32_e64 s[16:17], 0, v2
	v_or_b32_e32 v2, 63, v0
	v_and_b32_e32 v13, 64, v10
	v_cmp_eq_u32_e64 s[20:21], v0, v2
	v_subrev_co_u32_e64 v2, s[26:27], 1, v10
	v_cmp_lt_i32_e32 vcc, v2, v13
	v_cndmask_b32_e32 v2, v2, v10, vcc
	v_lshrrev_b32_e32 v11, 2, v10
	v_lshlrev_b32_e32 v28, 2, v2
	v_lshrrev_b32_e32 v2, 4, v0
	v_or_b32_e32 v14, v11, v13
	v_add_u32_e32 v11, 48, v11
	v_and_b32_e32 v29, 4, v2
	v_and_b32_e32 v2, 1, v10
	;; [unrolled: 1-line block ×3, first 2 shown]
	v_and_or_b32 v11, v11, 63, v13
	v_lshlrev_b32_e32 v27, 4, v0
	v_cmp_eq_u32_e64 s[30:31], 0, v2
	v_lshlrev_b32_e32 v2, 5, v0
	v_lshrrev_b32_e32 v1, 4, v1
	s_mov_b32 s44, s45
	s_mov_b32 s34, s45
	v_lshlrev_b32_e32 v23, 2, v14
	v_cmp_eq_u32_e64 s[0:1], 0, v12
	v_cmp_eq_u32_e64 s[2:3], 1, v12
	;; [unrolled: 1-line block ×4, first 2 shown]
	v_lshlrev_b32_e32 v26, 2, v11
	v_mad_i32_i24 v30, v0, -12, v27
	v_and_b32_e32 v2, 0x800, v2
	v_and_b32_e32 v33, 0xffffffc, v1
	v_mul_u32_u24_e32 v1, 28, v0
	s_mov_b32 s35, s45
	v_mov_b32_e32 v11, s44
	v_mov_b32_e32 v13, s34
	;; [unrolled: 1-line block ×3, first 2 shown]
	v_add_u32_e32 v24, 64, v23
	v_or_b32_e32 v25, 0x80, v23
	v_cmp_lt_u32_e64 s[18:19], 31, v10
	v_cmp_gt_u32_e64 s[22:23], 2, v0
	v_cmp_lt_u32_e64 s[24:25], 63, v0
	v_cmp_eq_u32_e64 s[28:29], 0, v0
	v_add_u32_e32 v31, -4, v29
	v_lshl_or_b32 v32, v10, 3, v2
	v_mov_b32_e32 v12, s45
	v_mov_b32_e32 v14, s35
	v_add_u32_e32 v34, v30, v1
	s_branch .LBB156_2
.LBB156_1:                              ;   in Loop: Header=BB156_2 Depth=1
	s_barrier
	ds_write_b64 v37, v[21:22]
	ds_write_b64 v35, v[19:20]
	;; [unrolled: 1-line block ×4, first 2 shown]
	s_waitcnt lgkmcnt(0)
	s_barrier
	ds_read2_b64 v[3:6], v34 offset1:1
	ds_read2_b64 v[17:20], v34 offset0:2 offset1:3
	s_add_i32 s45, s45, 1
	s_cmp_eq_u32 s45, 10
	s_waitcnt lgkmcnt(1)
	v_xor_b32_e32 v3, 0x80000000, v3
	v_xor_b32_e32 v4, 0x80000000, v4
	;; [unrolled: 1-line block ×4, first 2 shown]
	s_waitcnt lgkmcnt(0)
	v_xor_b32_e32 v5, 0x80000000, v17
	v_xor_b32_e32 v6, 0x80000000, v18
	;; [unrolled: 1-line block ×4, first 2 shown]
	s_cbranch_scc1 .LBB156_20
.LBB156_2:                              ; =>This Loop Header: Depth=1
                                        ;     Child Loop BB156_4 Depth 2
	s_waitcnt vmcnt(3)
	v_xor_b32_e32 v17, 0x80000000, v4
	s_waitcnt vmcnt(2)
	v_xor_b32_e32 v16, 0x80000000, v16
	ds_bpermute_b32 v1, v23, v17
	v_xor_b32_e32 v10, 0x80000000, v3
	s_waitcnt vmcnt(1)
	v_xor_b32_e32 v19, 0x80000000, v6
	ds_bpermute_b32 v3, v23, v16
	v_xor_b32_e32 v18, 0x80000000, v5
	ds_bpermute_b32 v5, v23, v19
	;; [unrolled: 2-line block ×3, first 2 shown]
	s_waitcnt lgkmcnt(3)
	v_cndmask_b32_e64 v1, 0, v1, s[0:1]
	ds_bpermute_b32 v4, v23, v15
	s_waitcnt vmcnt(0)
	v_xor_b32_e32 v7, 0x80000000, v7
	v_xor_b32_e32 v8, 0x80000000, v8
	ds_bpermute_b32 v6, v23, v18
	s_waitcnt lgkmcnt(4)
	v_cndmask_b32_e64 v1, v1, v3, s[2:3]
	ds_bpermute_b32 v3, v23, v8
	s_waitcnt lgkmcnt(4)
	v_cndmask_b32_e64 v1, v1, v5, s[4:5]
	;; [unrolled: 3-line block ×3, first 2 shown]
	s_waitcnt lgkmcnt(3)
	v_cndmask_b32_e64 v2, v2, v4, s[2:3]
	s_waitcnt lgkmcnt(2)
	v_cndmask_b32_e64 v4, v2, v6, s[4:5]
	ds_bpermute_b32 v6, v24, v10
	s_waitcnt lgkmcnt(2)
	v_cndmask_b32_e64 v2, v1, v3, s[6:7]
	ds_bpermute_b32 v3, v24, v17
	;; [unrolled: 3-line block ×3, first 2 shown]
	ds_bpermute_b32 v20, v24, v16
	s_waitcnt lgkmcnt(3)
	v_cndmask_b32_e64 v5, 0, v6, s[0:1]
	s_waitcnt lgkmcnt(2)
	v_cndmask_b32_e64 v3, 0, v3, s[0:1]
	ds_bpermute_b32 v6, v24, v19
	s_waitcnt lgkmcnt(2)
	v_cndmask_b32_e64 v4, v5, v4, s[2:3]
	ds_bpermute_b32 v5, v24, v18
	;; [unrolled: 3-line block ×3, first 2 shown]
	ds_bpermute_b32 v21, v24, v7
	s_waitcnt lgkmcnt(3)
	v_cndmask_b32_e64 v3, v3, v6, s[4:5]
	ds_bpermute_b32 v6, v25, v17
	s_waitcnt lgkmcnt(3)
	v_cndmask_b32_e64 v5, v4, v5, s[4:5]
	;; [unrolled: 3-line block ×3, first 2 shown]
	s_waitcnt lgkmcnt(2)
	v_cndmask_b32_e64 v3, v5, v21, s[6:7]
	ds_bpermute_b32 v5, v25, v10
	ds_bpermute_b32 v20, v25, v16
	ds_bpermute_b32 v16, v26, v16
	ds_bpermute_b32 v21, v25, v15
	ds_bpermute_b32 v10, v26, v10
	s_waitcnt lgkmcnt(5)
	v_cndmask_b32_e64 v17, 0, v17, s[0:1]
	ds_bpermute_b32 v15, v26, v15
	v_cndmask_b32_e64 v6, 0, v6, s[0:1]
	ds_bpermute_b32 v22, v25, v19
	s_waitcnt lgkmcnt(6)
	v_cndmask_b32_e64 v5, 0, v5, s[0:1]
	ds_bpermute_b32 v35, v25, v18
	s_waitcnt lgkmcnt(5)
	v_cndmask_b32_e64 v16, v17, v16, s[2:3]
	ds_bpermute_b32 v17, v26, v19
	ds_bpermute_b32 v18, v26, v18
	v_cndmask_b32_e64 v6, v6, v20, s[2:3]
	s_waitcnt lgkmcnt(6)
	v_cndmask_b32_e64 v5, v5, v21, s[2:3]
	ds_bpermute_b32 v20, v25, v8
	ds_bpermute_b32 v21, v25, v7
	ds_bpermute_b32 v8, v26, v8
	ds_bpermute_b32 v7, v26, v7
	s_waitcnt lgkmcnt(9)
	v_cndmask_b32_e64 v10, 0, v10, s[0:1]
	s_waitcnt lgkmcnt(8)
	v_cndmask_b32_e64 v10, v10, v15, s[2:3]
	;; [unrolled: 2-line block ×10, first 2 shown]
	s_mov_b32 s33, 8
	s_mov_b32 s40, 32
	;; [unrolled: 1-line block ×3, first 2 shown]
	s_barrier
	s_branch .LBB156_4
.LBB156_3:                              ;   in Loop: Header=BB156_4 Depth=2
	s_andn2_b64 vcc, exec, s[34:35]
	s_cbranch_vccz .LBB156_1
.LBB156_4:                              ;   Parent Loop BB156_2 Depth=1
                                        ; =>  This Inner Loop Header: Depth=2
	s_min_i32 s36, s33, 32
	s_cmp_lt_u32 s41, 32
	s_cselect_b64 s[34:35], -1, 0
	s_cmp_gt_u32 s41, 31
	s_cselect_b64 vcc, -1, 0
	s_sub_i32 s36, s36, 32
	s_add_i32 s37, s36, s40
	s_lshl_b32 s37, -1, s37
	s_not_b32 s37, s37
	s_cmp_lg_u32 s36, s41
	s_cselect_b32 s48, s37, -1
	s_max_i32 s44, s40, 0
	s_max_i32 s36, s41, 32
	s_sub_i32 s49, s36, 32
	s_sub_i32 s36, s36, s44
	;; [unrolled: 1-line block ×3, first 2 shown]
	s_min_i32 s36, s36, 32
	s_sub_i32 s36, s36, s49
	s_lshl_b32 s37, -1, s36
	v_mov_b32_e32 v22, v2
	s_not_b32 s37, s37
	v_mov_b32_e32 v21, v1
	s_cmp_lg_u32 s36, 32
	s_cselect_b32 s50, s37, -1
	v_lshrrev_b32_e32 v2, s49, v21
	v_lshrrev_b32_e32 v1, s41, v22
	v_and_b32_e32 v2, s50, v2
	v_and_b32_e32 v1, s48, v1
	v_lshlrev_b32_e32 v2, s44, v2
	v_cndmask_b32_e64 v1, 0, v1, s[34:35]
	v_cndmask_b32_e32 v2, 0, v2, vcc
	v_or_b32_e32 v1, v1, v2
	v_mov_b32_e32 v20, v4
	v_and_b32_e32 v2, 1, v1
	v_mov_b32_e32 v19, v3
	v_mov_b32_e32 v18, v6
	v_add_co_u32_e64 v4, s[36:37], -1, v2
	v_mov_b32_e32 v17, v5
	v_addc_co_u32_e64 v5, s[36:37], 0, -1, s[36:37]
	v_cmp_ne_u32_e64 s[36:37], 0, v2
	v_lshlrev_b32_e32 v10, 30, v1
	v_xor_b32_e32 v2, s37, v5
	v_xor_b32_e32 v4, s36, v4
	v_cmp_gt_i64_e64 s[36:37], 0, v[9:10]
	v_not_b32_e32 v5, v10
	v_ashrrev_i32_e32 v5, 31, v5
	v_and_b32_e32 v4, exec_lo, v4
	v_xor_b32_e32 v6, s37, v5
	v_xor_b32_e32 v5, s36, v5
	v_lshlrev_b32_e32 v10, 29, v1
	v_and_b32_e32 v4, v4, v5
	v_cmp_gt_i64_e64 s[36:37], 0, v[9:10]
	v_not_b32_e32 v5, v10
	v_and_b32_e32 v2, exec_hi, v2
	v_ashrrev_i32_e32 v5, 31, v5
	v_and_b32_e32 v2, v2, v6
	v_xor_b32_e32 v6, s37, v5
	v_xor_b32_e32 v5, s36, v5
	v_lshlrev_b32_e32 v10, 28, v1
	v_and_b32_e32 v4, v4, v5
	v_cmp_gt_i64_e64 s[36:37], 0, v[9:10]
	v_not_b32_e32 v5, v10
	v_ashrrev_i32_e32 v5, 31, v5
	v_and_b32_e32 v2, v2, v6
	v_xor_b32_e32 v6, s37, v5
	v_xor_b32_e32 v5, s36, v5
	v_lshlrev_b32_e32 v10, 27, v1
	v_and_b32_e32 v4, v4, v5
	v_cmp_gt_i64_e64 s[36:37], 0, v[9:10]
	v_not_b32_e32 v5, v10
	;; [unrolled: 8-line block ×4, first 2 shown]
	v_ashrrev_i32_e32 v5, 31, v5
	v_lshlrev_b32_e32 v10, 24, v1
	v_lshlrev_b32_e32 v3, 3, v1
	v_and_b32_e32 v2, v2, v6
	v_xor_b32_e32 v6, s37, v5
	v_xor_b32_e32 v5, s36, v5
	v_cmp_gt_i64_e64 s[36:37], 0, v[9:10]
	v_not_b32_e32 v1, v10
	v_ashrrev_i32_e32 v1, 31, v1
	v_and_b32_e32 v4, v4, v5
	v_xor_b32_e32 v5, s37, v1
	v_xor_b32_e32 v1, s36, v1
	v_and_b32_e32 v2, v2, v6
	v_and_b32_e32 v1, v4, v1
	;; [unrolled: 1-line block ×3, first 2 shown]
	v_mbcnt_lo_u32_b32 v4, v1, 0
	v_mbcnt_hi_u32_b32 v5, v2, v4
	v_cmp_ne_u64_e64 s[36:37], 0, v[1:2]
	v_mov_b32_e32 v16, v8
	v_cmp_eq_u32_e64 s[38:39], 0, v5
	v_mov_b32_e32 v15, v7
	s_and_b64 s[38:39], s[38:39], s[36:37]
	v_add_u32_e32 v6, v33, v3
	ds_write2_b64 v27, v[11:12], v[13:14] offset0:1 offset1:2
	s_waitcnt lgkmcnt(0)
	s_barrier
	; wave barrier
	s_and_saveexec_b64 s[36:37], s[38:39]
; %bb.5:                                ;   in Loop: Header=BB156_4 Depth=2
	v_bcnt_u32_b32 v1, v1, 0
	v_bcnt_u32_b32 v1, v2, v1
	ds_write_b32 v6, v1 offset:8
; %bb.6:                                ;   in Loop: Header=BB156_4 Depth=2
	s_or_b64 exec, exec, s[36:37]
	v_lshrrev_b32_e32 v2, s49, v19
	v_lshrrev_b32_e32 v1, s41, v20
	v_and_b32_e32 v2, s50, v2
	v_and_b32_e32 v1, s48, v1
	v_lshlrev_b32_e32 v2, s44, v2
	v_cndmask_b32_e64 v1, 0, v1, s[34:35]
	v_cndmask_b32_e32 v2, 0, v2, vcc
	v_or_b32_e32 v1, v1, v2
	v_lshlrev_b32_e32 v2, 3, v1
	v_add_u32_e32 v8, v33, v2
	v_and_b32_e32 v2, 1, v1
	v_add_co_u32_e64 v3, s[36:37], -1, v2
	v_addc_co_u32_e64 v4, s[36:37], 0, -1, s[36:37]
	v_cmp_ne_u32_e64 s[36:37], 0, v2
	v_lshlrev_b32_e32 v10, 30, v1
	v_xor_b32_e32 v2, s37, v4
	v_xor_b32_e32 v3, s36, v3
	v_cmp_gt_i64_e64 s[36:37], 0, v[9:10]
	v_not_b32_e32 v4, v10
	v_ashrrev_i32_e32 v4, 31, v4
	v_and_b32_e32 v2, exec_hi, v2
	v_xor_b32_e32 v10, s37, v4
	v_and_b32_e32 v3, exec_lo, v3
	v_xor_b32_e32 v4, s36, v4
	v_and_b32_e32 v2, v2, v10
	v_lshlrev_b32_e32 v10, 29, v1
	v_and_b32_e32 v3, v3, v4
	v_cmp_gt_i64_e64 s[36:37], 0, v[9:10]
	v_not_b32_e32 v4, v10
	v_ashrrev_i32_e32 v4, 31, v4
	v_xor_b32_e32 v10, s37, v4
	v_xor_b32_e32 v4, s36, v4
	v_and_b32_e32 v2, v2, v10
	v_lshlrev_b32_e32 v10, 28, v1
	v_and_b32_e32 v3, v3, v4
	v_cmp_gt_i64_e64 s[36:37], 0, v[9:10]
	v_not_b32_e32 v4, v10
	v_ashrrev_i32_e32 v4, 31, v4
	v_xor_b32_e32 v10, s37, v4
	;; [unrolled: 8-line block ×5, first 2 shown]
	v_and_b32_e32 v2, v2, v10
	v_lshlrev_b32_e32 v10, 24, v1
	v_xor_b32_e32 v4, s36, v4
	v_cmp_gt_i64_e64 s[36:37], 0, v[9:10]
	v_not_b32_e32 v1, v10
	v_ashrrev_i32_e32 v1, 31, v1
	v_and_b32_e32 v3, v3, v4
	v_xor_b32_e32 v4, s37, v1
	v_xor_b32_e32 v1, s36, v1
	; wave barrier
	ds_read_b32 v7, v8 offset:8
	v_and_b32_e32 v1, v3, v1
	v_and_b32_e32 v2, v2, v4
	v_mbcnt_lo_u32_b32 v3, v1, 0
	v_mbcnt_hi_u32_b32 v35, v2, v3
	v_cmp_ne_u64_e64 s[36:37], 0, v[1:2]
	v_cmp_eq_u32_e64 s[38:39], 0, v35
	s_and_b64 s[38:39], s[38:39], s[36:37]
	; wave barrier
	s_and_saveexec_b64 s[36:37], s[38:39]
	s_cbranch_execz .LBB156_8
; %bb.7:                                ;   in Loop: Header=BB156_4 Depth=2
	v_bcnt_u32_b32 v1, v1, 0
	v_bcnt_u32_b32 v1, v2, v1
	s_waitcnt lgkmcnt(0)
	v_add_u32_e32 v1, v7, v1
	ds_write_b32 v8, v1 offset:8
.LBB156_8:                              ;   in Loop: Header=BB156_4 Depth=2
	s_or_b64 exec, exec, s[36:37]
	v_lshrrev_b32_e32 v2, s49, v17
	v_lshrrev_b32_e32 v1, s41, v18
	v_and_b32_e32 v2, s50, v2
	v_and_b32_e32 v1, s48, v1
	v_lshlrev_b32_e32 v2, s44, v2
	v_cndmask_b32_e64 v1, 0, v1, s[34:35]
	v_cndmask_b32_e32 v2, 0, v2, vcc
	v_or_b32_e32 v1, v1, v2
	v_lshlrev_b32_e32 v2, 3, v1
	v_add_u32_e32 v37, v33, v2
	v_and_b32_e32 v2, 1, v1
	v_add_co_u32_e64 v3, s[36:37], -1, v2
	v_addc_co_u32_e64 v4, s[36:37], 0, -1, s[36:37]
	v_cmp_ne_u32_e64 s[36:37], 0, v2
	v_lshlrev_b32_e32 v10, 30, v1
	v_xor_b32_e32 v2, s37, v4
	v_xor_b32_e32 v3, s36, v3
	v_cmp_gt_i64_e64 s[36:37], 0, v[9:10]
	v_not_b32_e32 v4, v10
	v_ashrrev_i32_e32 v4, 31, v4
	v_and_b32_e32 v2, exec_hi, v2
	v_xor_b32_e32 v10, s37, v4
	v_and_b32_e32 v3, exec_lo, v3
	v_xor_b32_e32 v4, s36, v4
	v_and_b32_e32 v2, v2, v10
	v_lshlrev_b32_e32 v10, 29, v1
	v_and_b32_e32 v3, v3, v4
	v_cmp_gt_i64_e64 s[36:37], 0, v[9:10]
	v_not_b32_e32 v4, v10
	v_ashrrev_i32_e32 v4, 31, v4
	v_xor_b32_e32 v10, s37, v4
	v_xor_b32_e32 v4, s36, v4
	v_and_b32_e32 v2, v2, v10
	v_lshlrev_b32_e32 v10, 28, v1
	v_and_b32_e32 v3, v3, v4
	v_cmp_gt_i64_e64 s[36:37], 0, v[9:10]
	v_not_b32_e32 v4, v10
	v_ashrrev_i32_e32 v4, 31, v4
	v_xor_b32_e32 v10, s37, v4
	;; [unrolled: 8-line block ×5, first 2 shown]
	v_and_b32_e32 v2, v2, v10
	v_lshlrev_b32_e32 v10, 24, v1
	v_xor_b32_e32 v4, s36, v4
	v_cmp_gt_i64_e64 s[36:37], 0, v[9:10]
	v_not_b32_e32 v1, v10
	v_ashrrev_i32_e32 v1, 31, v1
	v_and_b32_e32 v3, v3, v4
	v_xor_b32_e32 v4, s37, v1
	v_xor_b32_e32 v1, s36, v1
	; wave barrier
	ds_read_b32 v36, v37 offset:8
	v_and_b32_e32 v1, v3, v1
	v_and_b32_e32 v2, v2, v4
	v_mbcnt_lo_u32_b32 v3, v1, 0
	v_mbcnt_hi_u32_b32 v38, v2, v3
	v_cmp_ne_u64_e64 s[36:37], 0, v[1:2]
	v_cmp_eq_u32_e64 s[38:39], 0, v38
	s_and_b64 s[38:39], s[38:39], s[36:37]
	; wave barrier
	s_and_saveexec_b64 s[36:37], s[38:39]
	s_cbranch_execz .LBB156_10
; %bb.9:                                ;   in Loop: Header=BB156_4 Depth=2
	v_bcnt_u32_b32 v1, v1, 0
	v_bcnt_u32_b32 v1, v2, v1
	s_waitcnt lgkmcnt(0)
	v_add_u32_e32 v1, v36, v1
	ds_write_b32 v37, v1 offset:8
.LBB156_10:                             ;   in Loop: Header=BB156_4 Depth=2
	s_or_b64 exec, exec, s[36:37]
	v_lshrrev_b32_e32 v2, s49, v15
	v_lshrrev_b32_e32 v1, s41, v16
	v_and_b32_e32 v2, s50, v2
	v_and_b32_e32 v1, s48, v1
	v_lshlrev_b32_e32 v2, s44, v2
	v_cndmask_b32_e64 v1, 0, v1, s[34:35]
	v_cndmask_b32_e32 v2, 0, v2, vcc
	v_or_b32_e32 v1, v1, v2
	v_lshlrev_b32_e32 v2, 3, v1
	v_add_u32_e32 v40, v33, v2
	v_and_b32_e32 v2, 1, v1
	v_add_co_u32_e32 v3, vcc, -1, v2
	v_addc_co_u32_e64 v4, s[34:35], 0, -1, vcc
	v_cmp_ne_u32_e32 vcc, 0, v2
	v_lshlrev_b32_e32 v10, 30, v1
	v_xor_b32_e32 v2, vcc_hi, v4
	v_xor_b32_e32 v3, vcc_lo, v3
	v_cmp_gt_i64_e32 vcc, 0, v[9:10]
	v_not_b32_e32 v4, v10
	v_ashrrev_i32_e32 v4, 31, v4
	v_and_b32_e32 v2, exec_hi, v2
	v_xor_b32_e32 v10, vcc_hi, v4
	v_and_b32_e32 v3, exec_lo, v3
	v_xor_b32_e32 v4, vcc_lo, v4
	v_and_b32_e32 v2, v2, v10
	v_lshlrev_b32_e32 v10, 29, v1
	v_and_b32_e32 v3, v3, v4
	v_cmp_gt_i64_e32 vcc, 0, v[9:10]
	v_not_b32_e32 v4, v10
	v_ashrrev_i32_e32 v4, 31, v4
	v_xor_b32_e32 v10, vcc_hi, v4
	v_xor_b32_e32 v4, vcc_lo, v4
	v_and_b32_e32 v2, v2, v10
	v_lshlrev_b32_e32 v10, 28, v1
	v_and_b32_e32 v3, v3, v4
	v_cmp_gt_i64_e32 vcc, 0, v[9:10]
	v_not_b32_e32 v4, v10
	v_ashrrev_i32_e32 v4, 31, v4
	v_xor_b32_e32 v10, vcc_hi, v4
	;; [unrolled: 8-line block ×5, first 2 shown]
	v_and_b32_e32 v2, v2, v10
	v_lshlrev_b32_e32 v10, 24, v1
	v_xor_b32_e32 v4, vcc_lo, v4
	v_cmp_gt_i64_e32 vcc, 0, v[9:10]
	v_not_b32_e32 v1, v10
	v_ashrrev_i32_e32 v1, 31, v1
	v_and_b32_e32 v3, v3, v4
	v_xor_b32_e32 v4, vcc_hi, v1
	v_xor_b32_e32 v1, vcc_lo, v1
	; wave barrier
	ds_read_b32 v39, v40 offset:8
	v_and_b32_e32 v1, v3, v1
	v_and_b32_e32 v2, v2, v4
	v_mbcnt_lo_u32_b32 v3, v1, 0
	v_mbcnt_hi_u32_b32 v10, v2, v3
	v_cmp_ne_u64_e32 vcc, 0, v[1:2]
	v_cmp_eq_u32_e64 s[34:35], 0, v10
	s_and_b64 s[36:37], s[34:35], vcc
	; wave barrier
	s_and_saveexec_b64 s[34:35], s[36:37]
	s_cbranch_execz .LBB156_12
; %bb.11:                               ;   in Loop: Header=BB156_4 Depth=2
	v_bcnt_u32_b32 v1, v1, 0
	v_bcnt_u32_b32 v1, v2, v1
	s_waitcnt lgkmcnt(0)
	v_add_u32_e32 v1, v39, v1
	ds_write_b32 v40, v1 offset:8
.LBB156_12:                             ;   in Loop: Header=BB156_4 Depth=2
	s_or_b64 exec, exec, s[34:35]
	; wave barrier
	s_waitcnt lgkmcnt(0)
	s_barrier
	ds_read2_b64 v[1:4], v27 offset0:1 offset1:2
	s_waitcnt lgkmcnt(0)
	v_add_u32_e32 v41, v2, v1
	v_add3_u32 v4, v41, v3, v4
	s_nop 1
	v_mov_b32_dpp v41, v4 row_shr:1 row_mask:0xf bank_mask:0xf
	v_cndmask_b32_e64 v41, v41, 0, s[8:9]
	v_add_u32_e32 v4, v41, v4
	s_nop 1
	v_mov_b32_dpp v41, v4 row_shr:2 row_mask:0xf bank_mask:0xf
	v_cndmask_b32_e64 v41, 0, v41, s[10:11]
	v_add_u32_e32 v4, v4, v41
	;; [unrolled: 4-line block ×4, first 2 shown]
	s_nop 1
	v_mov_b32_dpp v41, v4 row_bcast:15 row_mask:0xf bank_mask:0xf
	v_cndmask_b32_e64 v41, v41, 0, s[16:17]
	v_add_u32_e32 v4, v4, v41
	s_nop 1
	v_mov_b32_dpp v41, v4 row_bcast:31 row_mask:0xf bank_mask:0xf
	v_cndmask_b32_e64 v41, 0, v41, s[18:19]
	v_add_u32_e32 v4, v4, v41
	s_and_saveexec_b64 s[34:35], s[20:21]
; %bb.13:                               ;   in Loop: Header=BB156_4 Depth=2
	ds_write_b32 v29, v4
; %bb.14:                               ;   in Loop: Header=BB156_4 Depth=2
	s_or_b64 exec, exec, s[34:35]
	s_waitcnt lgkmcnt(0)
	s_barrier
	s_and_saveexec_b64 s[34:35], s[22:23]
	s_cbranch_execz .LBB156_16
; %bb.15:                               ;   in Loop: Header=BB156_4 Depth=2
	ds_read_b32 v41, v30
	s_waitcnt lgkmcnt(0)
	s_nop 0
	v_mov_b32_dpp v42, v41 row_shr:1 row_mask:0xf bank_mask:0xf
	v_cndmask_b32_e64 v42, v42, 0, s[30:31]
	v_add_u32_e32 v41, v42, v41
	ds_write_b32 v30, v41
.LBB156_16:                             ;   in Loop: Header=BB156_4 Depth=2
	s_or_b64 exec, exec, s[34:35]
	v_mov_b32_e32 v41, 0
	s_waitcnt lgkmcnt(0)
	s_barrier
	s_and_saveexec_b64 s[34:35], s[24:25]
; %bb.17:                               ;   in Loop: Header=BB156_4 Depth=2
	ds_read_b32 v41, v31
; %bb.18:                               ;   in Loop: Header=BB156_4 Depth=2
	s_or_b64 exec, exec, s[34:35]
	s_waitcnt lgkmcnt(0)
	v_add_u32_e32 v4, v41, v4
	ds_bpermute_b32 v4, v28, v4
	v_lshlrev_b32_e32 v5, 3, v5
	s_cmp_gt_u32 s41, 55
	s_mov_b64 s[34:35], -1
	s_waitcnt lgkmcnt(0)
	v_cndmask_b32_e64 v4, v4, v41, s[26:27]
	v_cndmask_b32_e64 v41, v4, 0, s[28:29]
	v_add_u32_e32 v42, v41, v1
	v_add_u32_e32 v1, v42, v2
	;; [unrolled: 1-line block ×3, first 2 shown]
	ds_write2_b64 v27, v[41:42], v[1:2] offset0:1 offset1:2
	s_waitcnt lgkmcnt(0)
	s_barrier
	ds_read_b32 v1, v6 offset:8
	ds_read_b32 v2, v8 offset:8
	;; [unrolled: 1-line block ×4, first 2 shown]
	s_waitcnt lgkmcnt(0)
	v_lshl_add_u32 v37, v1, 3, v5
	v_lshlrev_b32_e32 v1, 3, v35
	v_lshlrev_b32_e32 v5, 3, v7
	v_lshlrev_b32_e32 v2, 3, v2
	v_add3_u32 v35, v1, v5, v2
	v_lshlrev_b32_e32 v1, 3, v38
	v_lshlrev_b32_e32 v2, 3, v36
	v_lshlrev_b32_e32 v3, 3, v3
	v_add3_u32 v36, v1, v2, v3
	;; [unrolled: 4-line block ×3, first 2 shown]
                                        ; implicit-def: $vgpr1_vgpr2
                                        ; implicit-def: $vgpr5_vgpr6
	s_cbranch_scc1 .LBB156_3
; %bb.19:                               ;   in Loop: Header=BB156_4 Depth=2
	s_barrier
	ds_write_b64 v37, v[21:22]
	ds_write_b64 v35, v[19:20]
	;; [unrolled: 1-line block ×4, first 2 shown]
	s_waitcnt lgkmcnt(0)
	s_barrier
	ds_read2st64_b64 v[1:4], v32 offset1:1
	ds_read2st64_b64 v[5:8], v32 offset0:2 offset1:3
	s_add_i32 s40, s40, -8
	s_add_i32 s33, s33, 8
	s_add_i32 s41, s41, 8
	s_mov_b64 s[34:35], 0
	s_waitcnt lgkmcnt(0)
	s_barrier
	s_branch .LBB156_3
.LBB156_20:
	s_add_u32 s0, s42, s46
	s_addc_u32 s1, s43, s47
	v_lshlrev_b32_e32 v0, 3, v0
	global_store_dwordx2 v0, v[3:4], s[0:1]
	global_store_dwordx2 v0, v[15:16], s[0:1] offset:1024
	global_store_dwordx2 v0, v[5:6], s[0:1] offset:2048
	;; [unrolled: 1-line block ×3, first 2 shown]
	s_endpgm
	.section	.rodata,"a",@progbits
	.p2align	6, 0x0
	.amdhsa_kernel _Z16sort_keys_kernelI22helper_blocked_blockedN15benchmark_utils11custom_typeIiiEELj128ELj4ELj10EEvPKT0_PS4_
		.amdhsa_group_segment_fixed_size 4096
		.amdhsa_private_segment_fixed_size 0
		.amdhsa_kernarg_size 272
		.amdhsa_user_sgpr_count 6
		.amdhsa_user_sgpr_private_segment_buffer 1
		.amdhsa_user_sgpr_dispatch_ptr 0
		.amdhsa_user_sgpr_queue_ptr 0
		.amdhsa_user_sgpr_kernarg_segment_ptr 1
		.amdhsa_user_sgpr_dispatch_id 0
		.amdhsa_user_sgpr_flat_scratch_init 0
		.amdhsa_user_sgpr_private_segment_size 0
		.amdhsa_uses_dynamic_stack 0
		.amdhsa_system_sgpr_private_segment_wavefront_offset 0
		.amdhsa_system_sgpr_workgroup_id_x 1
		.amdhsa_system_sgpr_workgroup_id_y 0
		.amdhsa_system_sgpr_workgroup_id_z 0
		.amdhsa_system_sgpr_workgroup_info 0
		.amdhsa_system_vgpr_workitem_id 2
		.amdhsa_next_free_vgpr 43
		.amdhsa_next_free_sgpr 61
		.amdhsa_reserve_vcc 1
		.amdhsa_reserve_flat_scratch 0
		.amdhsa_float_round_mode_32 0
		.amdhsa_float_round_mode_16_64 0
		.amdhsa_float_denorm_mode_32 3
		.amdhsa_float_denorm_mode_16_64 3
		.amdhsa_dx10_clamp 1
		.amdhsa_ieee_mode 1
		.amdhsa_fp16_overflow 0
		.amdhsa_exception_fp_ieee_invalid_op 0
		.amdhsa_exception_fp_denorm_src 0
		.amdhsa_exception_fp_ieee_div_zero 0
		.amdhsa_exception_fp_ieee_overflow 0
		.amdhsa_exception_fp_ieee_underflow 0
		.amdhsa_exception_fp_ieee_inexact 0
		.amdhsa_exception_int_div_zero 0
	.end_amdhsa_kernel
	.section	.text._Z16sort_keys_kernelI22helper_blocked_blockedN15benchmark_utils11custom_typeIiiEELj128ELj4ELj10EEvPKT0_PS4_,"axG",@progbits,_Z16sort_keys_kernelI22helper_blocked_blockedN15benchmark_utils11custom_typeIiiEELj128ELj4ELj10EEvPKT0_PS4_,comdat
.Lfunc_end156:
	.size	_Z16sort_keys_kernelI22helper_blocked_blockedN15benchmark_utils11custom_typeIiiEELj128ELj4ELj10EEvPKT0_PS4_, .Lfunc_end156-_Z16sort_keys_kernelI22helper_blocked_blockedN15benchmark_utils11custom_typeIiiEELj128ELj4ELj10EEvPKT0_PS4_
                                        ; -- End function
	.set _Z16sort_keys_kernelI22helper_blocked_blockedN15benchmark_utils11custom_typeIiiEELj128ELj4ELj10EEvPKT0_PS4_.num_vgpr, 43
	.set _Z16sort_keys_kernelI22helper_blocked_blockedN15benchmark_utils11custom_typeIiiEELj128ELj4ELj10EEvPKT0_PS4_.num_agpr, 0
	.set _Z16sort_keys_kernelI22helper_blocked_blockedN15benchmark_utils11custom_typeIiiEELj128ELj4ELj10EEvPKT0_PS4_.numbered_sgpr, 51
	.set _Z16sort_keys_kernelI22helper_blocked_blockedN15benchmark_utils11custom_typeIiiEELj128ELj4ELj10EEvPKT0_PS4_.num_named_barrier, 0
	.set _Z16sort_keys_kernelI22helper_blocked_blockedN15benchmark_utils11custom_typeIiiEELj128ELj4ELj10EEvPKT0_PS4_.private_seg_size, 0
	.set _Z16sort_keys_kernelI22helper_blocked_blockedN15benchmark_utils11custom_typeIiiEELj128ELj4ELj10EEvPKT0_PS4_.uses_vcc, 1
	.set _Z16sort_keys_kernelI22helper_blocked_blockedN15benchmark_utils11custom_typeIiiEELj128ELj4ELj10EEvPKT0_PS4_.uses_flat_scratch, 0
	.set _Z16sort_keys_kernelI22helper_blocked_blockedN15benchmark_utils11custom_typeIiiEELj128ELj4ELj10EEvPKT0_PS4_.has_dyn_sized_stack, 0
	.set _Z16sort_keys_kernelI22helper_blocked_blockedN15benchmark_utils11custom_typeIiiEELj128ELj4ELj10EEvPKT0_PS4_.has_recursion, 0
	.set _Z16sort_keys_kernelI22helper_blocked_blockedN15benchmark_utils11custom_typeIiiEELj128ELj4ELj10EEvPKT0_PS4_.has_indirect_call, 0
	.section	.AMDGPU.csdata,"",@progbits
; Kernel info:
; codeLenInByte = 3700
; TotalNumSgprs: 55
; NumVgprs: 43
; ScratchSize: 0
; MemoryBound: 0
; FloatMode: 240
; IeeeMode: 1
; LDSByteSize: 4096 bytes/workgroup (compile time only)
; SGPRBlocks: 8
; VGPRBlocks: 10
; NumSGPRsForWavesPerEU: 65
; NumVGPRsForWavesPerEU: 43
; Occupancy: 5
; WaveLimiterHint : 1
; COMPUTE_PGM_RSRC2:SCRATCH_EN: 0
; COMPUTE_PGM_RSRC2:USER_SGPR: 6
; COMPUTE_PGM_RSRC2:TRAP_HANDLER: 0
; COMPUTE_PGM_RSRC2:TGID_X_EN: 1
; COMPUTE_PGM_RSRC2:TGID_Y_EN: 0
; COMPUTE_PGM_RSRC2:TGID_Z_EN: 0
; COMPUTE_PGM_RSRC2:TIDIG_COMP_CNT: 2
	.section	.text._Z17sort_pairs_kernelI22helper_blocked_blockedN15benchmark_utils11custom_typeIiiEELj128ELj4ELj10EEvPKT0_PS4_,"axG",@progbits,_Z17sort_pairs_kernelI22helper_blocked_blockedN15benchmark_utils11custom_typeIiiEELj128ELj4ELj10EEvPKT0_PS4_,comdat
	.protected	_Z17sort_pairs_kernelI22helper_blocked_blockedN15benchmark_utils11custom_typeIiiEELj128ELj4ELj10EEvPKT0_PS4_ ; -- Begin function _Z17sort_pairs_kernelI22helper_blocked_blockedN15benchmark_utils11custom_typeIiiEELj128ELj4ELj10EEvPKT0_PS4_
	.globl	_Z17sort_pairs_kernelI22helper_blocked_blockedN15benchmark_utils11custom_typeIiiEELj128ELj4ELj10EEvPKT0_PS4_
	.p2align	8
	.type	_Z17sort_pairs_kernelI22helper_blocked_blockedN15benchmark_utils11custom_typeIiiEELj128ELj4ELj10EEvPKT0_PS4_,@function
_Z17sort_pairs_kernelI22helper_blocked_blockedN15benchmark_utils11custom_typeIiiEELj128ELj4ELj10EEvPKT0_PS4_: ; @_Z17sort_pairs_kernelI22helper_blocked_blockedN15benchmark_utils11custom_typeIiiEELj128ELj4ELj10EEvPKT0_PS4_
; %bb.0:
	s_load_dwordx4 s[40:43], s[4:5], 0x0
	s_load_dword s34, s[4:5], 0x1c
	s_lshl_b32 s46, s6, 9
	s_mov_b32 s47, 0
	s_lshl_b64 s[44:45], s[46:47], 3
	s_waitcnt lgkmcnt(0)
	s_add_u32 s0, s40, s44
	s_addc_u32 s1, s41, s45
	v_lshlrev_b32_e32 v3, 3, v0
	global_load_dwordx2 v[9:10], v3, s[0:1]
	global_load_dwordx2 v[11:12], v3, s[0:1] offset:1024
	global_load_dwordx2 v[13:14], v3, s[0:1] offset:2048
	;; [unrolled: 1-line block ×3, first 2 shown]
	v_mbcnt_lo_u32_b32 v3, -1, 0
	v_mbcnt_hi_u32_b32 v3, -1, v3
	v_or_b32_e32 v4, 63, v0
	s_lshr_b32 s35, s34, 16
	v_lshlrev_b32_e32 v6, 5, v0
	v_lshrrev_b32_e32 v8, 2, v3
	v_and_b32_e32 v18, 64, v3
	v_cmp_eq_u32_e64 s[8:9], v0, v4
	v_subrev_co_u32_e64 v4, s[10:11], 1, v3
	s_and_b32 s34, s34, 0xffff
	v_mad_u32_u24 v1, v2, s35, v1
	v_lshlrev_b32_e32 v35, 4, v0
	v_lshrrev_b32_e32 v5, 4, v0
	v_and_b32_e32 v6, 0x800, v6
	v_or_b32_e32 v21, v8, v18
	v_add_u32_e32 v8, 48, v8
	v_cmp_lt_i32_e32 vcc, v4, v18
	v_mad_u32_u24 v1, v1, s34, v0
	v_mul_u32_u24_e32 v7, 28, v0
	v_and_b32_e32 v17, 3, v3
	v_and_b32_e32 v19, 15, v3
	;; [unrolled: 1-line block ×3, first 2 shown]
	v_cmp_lt_u32_e64 s[6:7], 31, v3
	v_and_b32_e32 v36, 4, v5
	v_mad_i32_i24 v37, v0, -12, v35
	v_and_b32_e32 v5, 1, v3
	v_cndmask_b32_e32 v4, v4, v3, vcc
	v_lshl_or_b32 v39, v3, 3, v6
	v_lshlrev_b32_e32 v41, 2, v21
	v_and_or_b32 v3, v8, 63, v18
	v_lshrrev_b32_e32 v1, 4, v1
	v_cmp_gt_u32_e64 s[0:1], 2, v0
	v_cmp_lt_u32_e64 s[2:3], 63, v0
	v_cmp_eq_u32_e64 s[4:5], 0, v0
	s_mov_b32 s40, s47
	s_mov_b32 s41, s47
	;; [unrolled: 1-line block ×4, first 2 shown]
	v_cmp_eq_u32_e64 s[12:13], 0, v17
	v_cmp_eq_u32_e64 s[14:15], 1, v17
	;; [unrolled: 1-line block ×5, first 2 shown]
	v_cmp_lt_u32_e64 s[22:23], 1, v19
	v_cmp_lt_u32_e64 s[24:25], 3, v19
	;; [unrolled: 1-line block ×3, first 2 shown]
	v_cmp_eq_u32_e64 s[28:29], 0, v20
	v_cmp_eq_u32_e64 s[30:31], 0, v5
	v_add_u32_e32 v38, -4, v36
	v_add_u32_e32 v40, v37, v7
	v_lshlrev_b32_e32 v42, 2, v4
	v_add_u32_e32 v43, 64, v41
	v_lshlrev_b32_e32 v44, 2, v3
	v_or_b32_e32 v45, 0x80, v41
	v_and_b32_e32 v46, 0xffffffc, v1
	v_mov_b32_e32 v17, 0
	s_waitcnt vmcnt(3)
	v_add_u32_e32 v6, 1, v10
	v_add_u32_e32 v5, 1, v9
	s_waitcnt vmcnt(2)
	v_add_u32_e32 v8, 1, v12
	v_add_u32_e32 v7, 1, v11
	;; [unrolled: 3-line block ×4, first 2 shown]
	s_branch .LBB157_2
.LBB157_1:                              ;   in Loop: Header=BB157_2 Depth=1
	s_barrier
	ds_write_b64 v18, v[33:34]
	ds_write_b64 v47, v[31:32]
	;; [unrolled: 1-line block ×4, first 2 shown]
	s_waitcnt lgkmcnt(0)
	s_barrier
	ds_read2_b64 v[9:12], v40 offset1:1
	ds_read2_b64 v[13:16], v40 offset0:2 offset1:3
	s_waitcnt lgkmcnt(0)
	s_barrier
	ds_write_b64 v18, v[25:26]
	ds_write_b64 v47, v[23:24]
	;; [unrolled: 1-line block ×4, first 2 shown]
	s_waitcnt lgkmcnt(0)
	s_barrier
	ds_read2_b64 v[5:8], v40 offset1:1
	ds_read2_b64 v[1:4], v40 offset0:2 offset1:3
	s_add_i32 s33, s33, 1
	v_xor_b32_e32 v9, 0x80000000, v9
	v_xor_b32_e32 v10, 0x80000000, v10
	;; [unrolled: 1-line block ×7, first 2 shown]
	s_cmp_lg_u32 s33, 10
	v_xor_b32_e32 v16, 0x80000000, v16
	s_cbranch_scc0 .LBB157_20
.LBB157_2:                              ; =>This Loop Header: Depth=1
                                        ;     Child Loop BB157_4 Depth 2
	s_waitcnt lgkmcnt(1)
	ds_bpermute_b32 v21, v41, v8
	ds_bpermute_b32 v25, v43, v8
	;; [unrolled: 1-line block ×4, first 2 shown]
	v_xor_b32_e32 v8, 0x80000000, v10
	s_waitcnt lgkmcnt(4)
	ds_bpermute_b32 v34, v41, v1
	ds_bpermute_b32 v50, v43, v1
	;; [unrolled: 1-line block ×4, first 2 shown]
	v_xor_b32_e32 v10, 0x80000000, v12
	ds_bpermute_b32 v1, v41, v8
	ds_bpermute_b32 v47, v41, v2
	;; [unrolled: 1-line block ×10, first 2 shown]
	v_xor_b32_e32 v7, 0x80000000, v9
	s_waitcnt lgkmcnt(9)
	v_cndmask_b32_e64 v1, 0, v1, s[12:13]
	v_xor_b32_e32 v9, 0x80000000, v11
	s_waitcnt lgkmcnt(4)
	v_cndmask_b32_e64 v1, v1, v2, s[14:15]
	ds_bpermute_b32 v2, v41, v7
	ds_bpermute_b32 v48, v41, v3
	;; [unrolled: 1-line block ×6, first 2 shown]
	v_xor_b32_e32 v12, 0x80000000, v14
	s_waitcnt lgkmcnt(5)
	v_cndmask_b32_e64 v2, 0, v2, s[12:13]
	v_xor_b32_e32 v11, 0x80000000, v13
	v_xor_b32_e32 v13, 0x80000000, v15
	s_waitcnt lgkmcnt(0)
	v_cndmask_b32_e64 v2, v2, v3, s[14:15]
	ds_bpermute_b32 v3, v41, v12
	v_xor_b32_e32 v14, 0x80000000, v16
	ds_bpermute_b32 v49, v41, v4
	ds_bpermute_b32 v53, v43, v4
	;; [unrolled: 1-line block ×3, first 2 shown]
	s_waitcnt lgkmcnt(3)
	v_cndmask_b32_e64 v1, v1, v3, s[16:17]
	ds_bpermute_b32 v3, v41, v11
	ds_bpermute_b32 v61, v44, v4
	;; [unrolled: 1-line block ×5, first 2 shown]
	s_waitcnt lgkmcnt(4)
	v_cndmask_b32_e64 v3, v2, v3, s[16:17]
	ds_bpermute_b32 v2, v41, v14
	ds_bpermute_b32 v26, v45, v5
	;; [unrolled: 1-line block ×5, first 2 shown]
	s_waitcnt lgkmcnt(4)
	v_cndmask_b32_e64 v2, v1, v2, s[18:19]
	v_cndmask_b32_e64 v1, v3, v4, s[18:19]
	ds_bpermute_b32 v3, v43, v8
	ds_bpermute_b32 v4, v43, v10
	;; [unrolled: 1-line block ×5, first 2 shown]
	s_waitcnt lgkmcnt(4)
	v_cndmask_b32_e64 v3, 0, v3, s[12:13]
	s_waitcnt lgkmcnt(3)
	v_cndmask_b32_e64 v3, v3, v4, s[14:15]
	ds_bpermute_b32 v4, v43, v12
	ds_bpermute_b32 v6, v45, v10
	;; [unrolled: 1-line block ×5, first 2 shown]
	s_waitcnt lgkmcnt(4)
	v_cndmask_b32_e64 v3, v3, v4, s[16:17]
	ds_bpermute_b32 v4, v43, v14
	ds_bpermute_b32 v16, v45, v13
	s_mov_b32 s48, 8
	s_mov_b32 s49, 32
	;; [unrolled: 1-line block ×3, first 2 shown]
	s_waitcnt lgkmcnt(1)
	v_cndmask_b32_e64 v4, v3, v4, s[18:19]
	ds_bpermute_b32 v3, v43, v7
	s_waitcnt lgkmcnt(0)
	s_barrier
	v_cndmask_b32_e64 v3, 0, v3, s[12:13]
	v_cndmask_b32_e64 v3, v3, v5, s[14:15]
	ds_bpermute_b32 v5, v43, v11
	s_waitcnt lgkmcnt(0)
	v_cndmask_b32_e64 v3, v3, v5, s[16:17]
	ds_bpermute_b32 v5, v43, v13
	s_waitcnt lgkmcnt(0)
	v_cndmask_b32_e64 v3, v3, v5, s[18:19]
	ds_bpermute_b32 v5, v45, v8
	ds_bpermute_b32 v8, v44, v8
	s_waitcnt lgkmcnt(1)
	v_cndmask_b32_e64 v5, 0, v5, s[12:13]
	v_cndmask_b32_e64 v5, v5, v6, s[14:15]
	ds_bpermute_b32 v6, v45, v7
	ds_bpermute_b32 v7, v44, v7
	s_waitcnt lgkmcnt(2)
	v_cndmask_b32_e64 v8, 0, v8, s[12:13]
	v_cndmask_b32_e64 v8, v8, v10, s[14:15]
	ds_bpermute_b32 v10, v44, v12
	s_waitcnt lgkmcnt(2)
	v_cndmask_b32_e64 v6, 0, v6, s[12:13]
	s_waitcnt lgkmcnt(1)
	v_cndmask_b32_e64 v7, 0, v7, s[12:13]
	v_cndmask_b32_e64 v6, v6, v15, s[14:15]
	ds_bpermute_b32 v15, v45, v12
	v_cndmask_b32_e64 v7, v7, v9, s[14:15]
	ds_bpermute_b32 v9, v44, v11
	s_waitcnt lgkmcnt(2)
	v_cndmask_b32_e64 v8, v8, v10, s[16:17]
	ds_bpermute_b32 v10, v44, v14
	s_waitcnt lgkmcnt(2)
	;; [unrolled: 3-line block ×4, first 2 shown]
	v_cndmask_b32_e64 v8, v8, v10, s[18:19]
	v_cndmask_b32_e64 v10, 0, v18, s[12:13]
	s_waitcnt lgkmcnt(1)
	v_cndmask_b32_e64 v15, v6, v15, s[16:17]
	ds_bpermute_b32 v6, v45, v14
	s_waitcnt lgkmcnt(1)
	v_cndmask_b32_e64 v7, v7, v9, s[18:19]
	v_cndmask_b32_e64 v9, 0, v19, s[12:13]
	;; [unrolled: 1-line block ×14, first 2 shown]
	s_waitcnt lgkmcnt(0)
	v_cndmask_b32_e64 v6, v5, v6, s[18:19]
	v_cndmask_b32_e64 v5, v15, v16, s[18:19]
	v_cndmask_b32_e64 v11, v11, v51, s[16:17]
	v_cndmask_b32_e64 v13, v13, v55, s[16:17]
	v_cndmask_b32_e64 v15, v14, v54, s[16:17]
	v_cndmask_b32_e64 v12, v11, v53, s[18:19]
	v_cndmask_b32_e64 v11, 0, v22, s[12:13]
	v_cndmask_b32_e64 v14, v13, v57, s[18:19]
	v_cndmask_b32_e64 v13, v15, v56, s[18:19]
	v_cndmask_b32_e64 v15, 0, v31, s[12:13]
	v_cndmask_b32_e64 v16, 0, v30, s[12:13]
	v_cndmask_b32_e64 v11, v11, v24, s[14:15]
	v_cndmask_b32_e64 v15, v15, v33, s[14:15]
	v_cndmask_b32_e64 v16, v16, v32, s[14:15]
	v_cndmask_b32_e64 v11, v11, v50, s[16:17]
	v_cndmask_b32_e64 v15, v15, v59, s[16:17]
	v_cndmask_b32_e64 v18, v16, v58, s[16:17]
	v_cndmask_b32_e64 v11, v11, v52, s[18:19]
	v_cndmask_b32_e64 v16, v15, v61, s[18:19]
	v_cndmask_b32_e64 v15, v18, v60, s[18:19]
	s_branch .LBB157_4
.LBB157_3:                              ;   in Loop: Header=BB157_4 Depth=2
	s_andn2_b64 vcc, exec, s[34:35]
	s_cbranch_vccz .LBB157_1
.LBB157_4:                              ;   Parent Loop BB157_2 Depth=1
                                        ; =>  This Inner Loop Header: Depth=2
	s_min_i32 s36, s48, 32
	s_cmp_lt_u32 s50, 32
	s_cselect_b64 s[34:35], -1, 0
	s_cmp_gt_u32 s50, 31
	s_cselect_b64 vcc, -1, 0
	s_sub_i32 s36, s36, 32
	s_add_i32 s37, s36, s49
	s_lshl_b32 s37, -1, s37
	s_not_b32 s37, s37
	s_cmp_lg_u32 s36, s50
	s_cselect_b32 s52, s37, -1
	s_max_i32 s51, s49, 0
	s_max_i32 s36, s50, 32
	s_sub_i32 s53, s36, 32
	s_sub_i32 s36, s36, s51
	;; [unrolled: 1-line block ×3, first 2 shown]
	s_min_i32 s36, s36, 32
	s_sub_i32 s36, s36, s53
	v_mov_b32_e32 v34, v2
	v_mov_b32_e32 v32, v4
	s_lshl_b32 s37, -1, s36
	v_mov_b32_e32 v33, v1
	v_mov_b32_e32 v31, v3
	;; [unrolled: 1-line block ×4, first 2 shown]
	s_not_b32 s37, s37
	v_mov_b32_e32 v2, s47
	v_mov_b32_e32 v4, s41
	s_cmp_lg_u32 s36, 32
	ds_write2_b64 v35, v[1:2], v[3:4] offset0:1 offset1:2
	s_cselect_b32 s54, s37, -1
	v_lshrrev_b32_e32 v2, s53, v33
	v_lshrrev_b32_e32 v1, s50, v34
	v_and_b32_e32 v2, s54, v2
	v_and_b32_e32 v1, s52, v1
	v_lshlrev_b32_e32 v2, s51, v2
	v_cndmask_b32_e64 v1, 0, v1, s[34:35]
	v_cndmask_b32_e32 v2, 0, v2, vcc
	v_or_b32_e32 v1, v1, v2
	v_and_b32_e32 v2, 1, v1
	v_mov_b32_e32 v30, v6
	v_add_co_u32_e64 v4, s[36:37], -1, v2
	v_mov_b32_e32 v29, v5
	v_addc_co_u32_e64 v5, s[36:37], 0, -1, s[36:37]
	v_cmp_ne_u32_e64 s[36:37], 0, v2
	v_lshlrev_b32_e32 v18, 30, v1
	v_xor_b32_e32 v2, s37, v5
	v_xor_b32_e32 v4, s36, v4
	v_cmp_gt_i64_e64 s[36:37], 0, v[17:18]
	v_not_b32_e32 v5, v18
	v_ashrrev_i32_e32 v5, 31, v5
	v_and_b32_e32 v4, exec_lo, v4
	v_xor_b32_e32 v6, s37, v5
	v_xor_b32_e32 v5, s36, v5
	v_lshlrev_b32_e32 v18, 29, v1
	v_and_b32_e32 v4, v4, v5
	v_cmp_gt_i64_e64 s[36:37], 0, v[17:18]
	v_not_b32_e32 v5, v18
	v_and_b32_e32 v2, exec_hi, v2
	v_ashrrev_i32_e32 v5, 31, v5
	v_and_b32_e32 v2, v2, v6
	v_xor_b32_e32 v6, s37, v5
	v_xor_b32_e32 v5, s36, v5
	v_lshlrev_b32_e32 v18, 28, v1
	v_and_b32_e32 v4, v4, v5
	v_cmp_gt_i64_e64 s[36:37], 0, v[17:18]
	v_not_b32_e32 v5, v18
	v_ashrrev_i32_e32 v5, 31, v5
	v_and_b32_e32 v2, v2, v6
	v_xor_b32_e32 v6, s37, v5
	v_xor_b32_e32 v5, s36, v5
	v_lshlrev_b32_e32 v18, 27, v1
	v_and_b32_e32 v4, v4, v5
	v_cmp_gt_i64_e64 s[36:37], 0, v[17:18]
	v_not_b32_e32 v5, v18
	;; [unrolled: 8-line block ×4, first 2 shown]
	v_ashrrev_i32_e32 v5, 31, v5
	v_lshlrev_b32_e32 v18, 24, v1
	v_lshlrev_b32_e32 v3, 3, v1
	v_and_b32_e32 v2, v2, v6
	v_xor_b32_e32 v6, s37, v5
	v_xor_b32_e32 v5, s36, v5
	v_cmp_gt_i64_e64 s[36:37], 0, v[17:18]
	v_not_b32_e32 v1, v18
	v_ashrrev_i32_e32 v1, 31, v1
	v_and_b32_e32 v4, v4, v5
	v_xor_b32_e32 v5, s37, v1
	v_xor_b32_e32 v1, s36, v1
	v_and_b32_e32 v2, v2, v6
	v_and_b32_e32 v1, v4, v1
	;; [unrolled: 1-line block ×3, first 2 shown]
	v_mbcnt_lo_u32_b32 v4, v1, 0
	v_mbcnt_hi_u32_b32 v5, v2, v4
	v_cmp_ne_u64_e64 s[36:37], 0, v[1:2]
	v_mov_b32_e32 v26, v10
	v_mov_b32_e32 v24, v12
	v_mov_b32_e32 v22, v14
	v_mov_b32_e32 v20, v16
	v_mov_b32_e32 v28, v8
	v_cmp_eq_u32_e64 s[38:39], 0, v5
	v_mov_b32_e32 v25, v9
	v_mov_b32_e32 v23, v11
	v_mov_b32_e32 v21, v13
	v_mov_b32_e32 v19, v15
	v_mov_b32_e32 v27, v7
	s_and_b64 s[38:39], s[38:39], s[36:37]
	v_add_u32_e32 v6, v46, v3
	s_waitcnt lgkmcnt(0)
	s_barrier
	; wave barrier
	s_and_saveexec_b64 s[36:37], s[38:39]
; %bb.5:                                ;   in Loop: Header=BB157_4 Depth=2
	v_bcnt_u32_b32 v1, v1, 0
	v_bcnt_u32_b32 v1, v2, v1
	ds_write_b32 v6, v1 offset:8
; %bb.6:                                ;   in Loop: Header=BB157_4 Depth=2
	s_or_b64 exec, exec, s[36:37]
	v_lshrrev_b32_e32 v2, s53, v31
	v_lshrrev_b32_e32 v1, s50, v32
	v_and_b32_e32 v2, s54, v2
	v_and_b32_e32 v1, s52, v1
	v_lshlrev_b32_e32 v2, s51, v2
	v_cndmask_b32_e64 v1, 0, v1, s[34:35]
	v_cndmask_b32_e32 v2, 0, v2, vcc
	v_or_b32_e32 v1, v1, v2
	v_lshlrev_b32_e32 v2, 3, v1
	v_add_u32_e32 v8, v46, v2
	v_and_b32_e32 v2, 1, v1
	v_add_co_u32_e64 v3, s[36:37], -1, v2
	v_addc_co_u32_e64 v4, s[36:37], 0, -1, s[36:37]
	v_cmp_ne_u32_e64 s[36:37], 0, v2
	v_lshlrev_b32_e32 v18, 30, v1
	v_xor_b32_e32 v2, s37, v4
	v_xor_b32_e32 v3, s36, v3
	v_cmp_gt_i64_e64 s[36:37], 0, v[17:18]
	v_not_b32_e32 v4, v18
	v_ashrrev_i32_e32 v4, 31, v4
	v_and_b32_e32 v3, exec_lo, v3
	v_xor_b32_e32 v9, s37, v4
	v_xor_b32_e32 v4, s36, v4
	v_lshlrev_b32_e32 v18, 29, v1
	v_and_b32_e32 v3, v3, v4
	v_cmp_gt_i64_e64 s[36:37], 0, v[17:18]
	v_not_b32_e32 v4, v18
	v_and_b32_e32 v2, exec_hi, v2
	v_ashrrev_i32_e32 v4, 31, v4
	v_and_b32_e32 v2, v2, v9
	v_xor_b32_e32 v9, s37, v4
	v_xor_b32_e32 v4, s36, v4
	v_lshlrev_b32_e32 v18, 28, v1
	v_and_b32_e32 v3, v3, v4
	v_cmp_gt_i64_e64 s[36:37], 0, v[17:18]
	v_not_b32_e32 v4, v18
	v_ashrrev_i32_e32 v4, 31, v4
	v_and_b32_e32 v2, v2, v9
	v_xor_b32_e32 v9, s37, v4
	v_xor_b32_e32 v4, s36, v4
	v_lshlrev_b32_e32 v18, 27, v1
	v_and_b32_e32 v3, v3, v4
	v_cmp_gt_i64_e64 s[36:37], 0, v[17:18]
	v_not_b32_e32 v4, v18
	;; [unrolled: 8-line block ×4, first 2 shown]
	v_ashrrev_i32_e32 v4, 31, v4
	v_lshlrev_b32_e32 v18, 24, v1
	v_and_b32_e32 v2, v2, v9
	v_xor_b32_e32 v9, s37, v4
	v_xor_b32_e32 v4, s36, v4
	v_cmp_gt_i64_e64 s[36:37], 0, v[17:18]
	v_not_b32_e32 v1, v18
	v_ashrrev_i32_e32 v1, 31, v1
	v_and_b32_e32 v3, v3, v4
	v_xor_b32_e32 v4, s37, v1
	v_xor_b32_e32 v1, s36, v1
	; wave barrier
	ds_read_b32 v7, v8 offset:8
	v_and_b32_e32 v2, v2, v9
	v_and_b32_e32 v1, v3, v1
	;; [unrolled: 1-line block ×3, first 2 shown]
	v_mbcnt_lo_u32_b32 v3, v1, 0
	v_mbcnt_hi_u32_b32 v9, v2, v3
	v_cmp_ne_u64_e64 s[36:37], 0, v[1:2]
	v_cmp_eq_u32_e64 s[38:39], 0, v9
	s_and_b64 s[38:39], s[38:39], s[36:37]
	; wave barrier
	s_and_saveexec_b64 s[36:37], s[38:39]
	s_cbranch_execz .LBB157_8
; %bb.7:                                ;   in Loop: Header=BB157_4 Depth=2
	v_bcnt_u32_b32 v1, v1, 0
	v_bcnt_u32_b32 v1, v2, v1
	s_waitcnt lgkmcnt(0)
	v_add_u32_e32 v1, v7, v1
	ds_write_b32 v8, v1 offset:8
.LBB157_8:                              ;   in Loop: Header=BB157_4 Depth=2
	s_or_b64 exec, exec, s[36:37]
	v_lshrrev_b32_e32 v2, s53, v29
	v_lshrrev_b32_e32 v1, s50, v30
	v_and_b32_e32 v2, s54, v2
	v_and_b32_e32 v1, s52, v1
	v_lshlrev_b32_e32 v2, s51, v2
	v_cndmask_b32_e64 v1, 0, v1, s[34:35]
	v_cndmask_b32_e32 v2, 0, v2, vcc
	v_or_b32_e32 v1, v1, v2
	v_lshlrev_b32_e32 v2, 3, v1
	v_add_u32_e32 v11, v46, v2
	v_and_b32_e32 v2, 1, v1
	v_add_co_u32_e64 v3, s[36:37], -1, v2
	v_addc_co_u32_e64 v4, s[36:37], 0, -1, s[36:37]
	v_cmp_ne_u32_e64 s[36:37], 0, v2
	v_lshlrev_b32_e32 v18, 30, v1
	v_xor_b32_e32 v2, s37, v4
	v_xor_b32_e32 v3, s36, v3
	v_cmp_gt_i64_e64 s[36:37], 0, v[17:18]
	v_not_b32_e32 v4, v18
	v_ashrrev_i32_e32 v4, 31, v4
	v_and_b32_e32 v3, exec_lo, v3
	v_xor_b32_e32 v12, s37, v4
	v_xor_b32_e32 v4, s36, v4
	v_lshlrev_b32_e32 v18, 29, v1
	v_and_b32_e32 v3, v3, v4
	v_cmp_gt_i64_e64 s[36:37], 0, v[17:18]
	v_not_b32_e32 v4, v18
	v_and_b32_e32 v2, exec_hi, v2
	v_ashrrev_i32_e32 v4, 31, v4
	v_and_b32_e32 v2, v2, v12
	v_xor_b32_e32 v12, s37, v4
	v_xor_b32_e32 v4, s36, v4
	v_lshlrev_b32_e32 v18, 28, v1
	v_and_b32_e32 v3, v3, v4
	v_cmp_gt_i64_e64 s[36:37], 0, v[17:18]
	v_not_b32_e32 v4, v18
	v_ashrrev_i32_e32 v4, 31, v4
	v_and_b32_e32 v2, v2, v12
	v_xor_b32_e32 v12, s37, v4
	v_xor_b32_e32 v4, s36, v4
	v_lshlrev_b32_e32 v18, 27, v1
	v_and_b32_e32 v3, v3, v4
	v_cmp_gt_i64_e64 s[36:37], 0, v[17:18]
	v_not_b32_e32 v4, v18
	;; [unrolled: 8-line block ×4, first 2 shown]
	v_ashrrev_i32_e32 v4, 31, v4
	v_lshlrev_b32_e32 v18, 24, v1
	v_and_b32_e32 v2, v2, v12
	v_xor_b32_e32 v12, s37, v4
	v_xor_b32_e32 v4, s36, v4
	v_cmp_gt_i64_e64 s[36:37], 0, v[17:18]
	v_not_b32_e32 v1, v18
	v_ashrrev_i32_e32 v1, 31, v1
	v_and_b32_e32 v3, v3, v4
	v_xor_b32_e32 v4, s37, v1
	v_xor_b32_e32 v1, s36, v1
	; wave barrier
	ds_read_b32 v10, v11 offset:8
	v_and_b32_e32 v2, v2, v12
	v_and_b32_e32 v1, v3, v1
	;; [unrolled: 1-line block ×3, first 2 shown]
	v_mbcnt_lo_u32_b32 v3, v1, 0
	v_mbcnt_hi_u32_b32 v12, v2, v3
	v_cmp_ne_u64_e64 s[36:37], 0, v[1:2]
	v_cmp_eq_u32_e64 s[38:39], 0, v12
	s_and_b64 s[38:39], s[38:39], s[36:37]
	; wave barrier
	s_and_saveexec_b64 s[36:37], s[38:39]
	s_cbranch_execz .LBB157_10
; %bb.9:                                ;   in Loop: Header=BB157_4 Depth=2
	v_bcnt_u32_b32 v1, v1, 0
	v_bcnt_u32_b32 v1, v2, v1
	s_waitcnt lgkmcnt(0)
	v_add_u32_e32 v1, v10, v1
	ds_write_b32 v11, v1 offset:8
.LBB157_10:                             ;   in Loop: Header=BB157_4 Depth=2
	s_or_b64 exec, exec, s[36:37]
	v_lshrrev_b32_e32 v2, s53, v27
	v_lshrrev_b32_e32 v1, s50, v28
	v_and_b32_e32 v2, s54, v2
	v_and_b32_e32 v1, s52, v1
	v_lshlrev_b32_e32 v2, s51, v2
	v_cndmask_b32_e64 v1, 0, v1, s[34:35]
	v_cndmask_b32_e32 v2, 0, v2, vcc
	v_or_b32_e32 v1, v1, v2
	v_lshlrev_b32_e32 v2, 3, v1
	v_add_u32_e32 v14, v46, v2
	v_and_b32_e32 v2, 1, v1
	v_add_co_u32_e32 v3, vcc, -1, v2
	v_addc_co_u32_e64 v4, s[34:35], 0, -1, vcc
	v_cmp_ne_u32_e32 vcc, 0, v2
	v_lshlrev_b32_e32 v18, 30, v1
	v_xor_b32_e32 v2, vcc_hi, v4
	v_xor_b32_e32 v3, vcc_lo, v3
	v_cmp_gt_i64_e32 vcc, 0, v[17:18]
	v_not_b32_e32 v4, v18
	v_ashrrev_i32_e32 v4, 31, v4
	v_and_b32_e32 v3, exec_lo, v3
	v_xor_b32_e32 v15, vcc_hi, v4
	v_xor_b32_e32 v4, vcc_lo, v4
	v_lshlrev_b32_e32 v18, 29, v1
	v_and_b32_e32 v3, v3, v4
	v_cmp_gt_i64_e32 vcc, 0, v[17:18]
	v_not_b32_e32 v4, v18
	v_and_b32_e32 v2, exec_hi, v2
	v_ashrrev_i32_e32 v4, 31, v4
	v_and_b32_e32 v2, v2, v15
	v_xor_b32_e32 v15, vcc_hi, v4
	v_xor_b32_e32 v4, vcc_lo, v4
	v_lshlrev_b32_e32 v18, 28, v1
	v_and_b32_e32 v3, v3, v4
	v_cmp_gt_i64_e32 vcc, 0, v[17:18]
	v_not_b32_e32 v4, v18
	v_ashrrev_i32_e32 v4, 31, v4
	v_and_b32_e32 v2, v2, v15
	v_xor_b32_e32 v15, vcc_hi, v4
	v_xor_b32_e32 v4, vcc_lo, v4
	v_lshlrev_b32_e32 v18, 27, v1
	v_and_b32_e32 v3, v3, v4
	v_cmp_gt_i64_e32 vcc, 0, v[17:18]
	v_not_b32_e32 v4, v18
	v_ashrrev_i32_e32 v4, 31, v4
	v_and_b32_e32 v2, v2, v15
	v_xor_b32_e32 v15, vcc_hi, v4
	v_xor_b32_e32 v4, vcc_lo, v4
	v_lshlrev_b32_e32 v18, 26, v1
	v_and_b32_e32 v3, v3, v4
	v_cmp_gt_i64_e32 vcc, 0, v[17:18]
	v_not_b32_e32 v4, v18
	v_ashrrev_i32_e32 v4, 31, v4
	v_and_b32_e32 v2, v2, v15
	v_xor_b32_e32 v15, vcc_hi, v4
	v_xor_b32_e32 v4, vcc_lo, v4
	v_lshlrev_b32_e32 v18, 25, v1
	v_and_b32_e32 v3, v3, v4
	v_cmp_gt_i64_e32 vcc, 0, v[17:18]
	v_not_b32_e32 v4, v18
	v_ashrrev_i32_e32 v4, 31, v4
	v_lshlrev_b32_e32 v18, 24, v1
	v_and_b32_e32 v2, v2, v15
	v_xor_b32_e32 v15, vcc_hi, v4
	v_xor_b32_e32 v4, vcc_lo, v4
	v_cmp_gt_i64_e32 vcc, 0, v[17:18]
	v_not_b32_e32 v1, v18
	v_ashrrev_i32_e32 v1, 31, v1
	v_and_b32_e32 v3, v3, v4
	v_xor_b32_e32 v4, vcc_hi, v1
	v_xor_b32_e32 v1, vcc_lo, v1
	; wave barrier
	ds_read_b32 v13, v14 offset:8
	v_and_b32_e32 v2, v2, v15
	v_and_b32_e32 v1, v3, v1
	;; [unrolled: 1-line block ×3, first 2 shown]
	v_mbcnt_lo_u32_b32 v3, v1, 0
	v_mbcnt_hi_u32_b32 v15, v2, v3
	v_cmp_ne_u64_e32 vcc, 0, v[1:2]
	v_cmp_eq_u32_e64 s[34:35], 0, v15
	s_and_b64 s[36:37], s[34:35], vcc
	; wave barrier
	s_and_saveexec_b64 s[34:35], s[36:37]
	s_cbranch_execz .LBB157_12
; %bb.11:                               ;   in Loop: Header=BB157_4 Depth=2
	v_bcnt_u32_b32 v1, v1, 0
	v_bcnt_u32_b32 v1, v2, v1
	s_waitcnt lgkmcnt(0)
	v_add_u32_e32 v1, v13, v1
	ds_write_b32 v14, v1 offset:8
.LBB157_12:                             ;   in Loop: Header=BB157_4 Depth=2
	s_or_b64 exec, exec, s[34:35]
	; wave barrier
	s_waitcnt lgkmcnt(0)
	s_barrier
	ds_read2_b64 v[1:4], v35 offset0:1 offset1:2
	s_waitcnt lgkmcnt(0)
	v_add_u32_e32 v16, v2, v1
	v_add3_u32 v4, v16, v3, v4
	s_nop 1
	v_mov_b32_dpp v16, v4 row_shr:1 row_mask:0xf bank_mask:0xf
	v_cndmask_b32_e64 v16, v16, 0, s[20:21]
	v_add_u32_e32 v4, v16, v4
	s_nop 1
	v_mov_b32_dpp v16, v4 row_shr:2 row_mask:0xf bank_mask:0xf
	v_cndmask_b32_e64 v16, 0, v16, s[22:23]
	v_add_u32_e32 v4, v4, v16
	;; [unrolled: 4-line block ×4, first 2 shown]
	s_nop 1
	v_mov_b32_dpp v16, v4 row_bcast:15 row_mask:0xf bank_mask:0xf
	v_cndmask_b32_e64 v16, v16, 0, s[28:29]
	v_add_u32_e32 v4, v4, v16
	s_nop 1
	v_mov_b32_dpp v16, v4 row_bcast:31 row_mask:0xf bank_mask:0xf
	v_cndmask_b32_e64 v16, 0, v16, s[6:7]
	v_add_u32_e32 v4, v4, v16
	s_and_saveexec_b64 s[34:35], s[8:9]
; %bb.13:                               ;   in Loop: Header=BB157_4 Depth=2
	ds_write_b32 v36, v4
; %bb.14:                               ;   in Loop: Header=BB157_4 Depth=2
	s_or_b64 exec, exec, s[34:35]
	s_waitcnt lgkmcnt(0)
	s_barrier
	s_and_saveexec_b64 s[34:35], s[0:1]
	s_cbranch_execz .LBB157_16
; %bb.15:                               ;   in Loop: Header=BB157_4 Depth=2
	ds_read_b32 v16, v37
	s_waitcnt lgkmcnt(0)
	s_nop 0
	v_mov_b32_dpp v18, v16 row_shr:1 row_mask:0xf bank_mask:0xf
	v_cndmask_b32_e64 v18, v18, 0, s[30:31]
	v_add_u32_e32 v16, v18, v16
	ds_write_b32 v37, v16
.LBB157_16:                             ;   in Loop: Header=BB157_4 Depth=2
	s_or_b64 exec, exec, s[34:35]
	v_mov_b32_e32 v16, 0
	s_waitcnt lgkmcnt(0)
	s_barrier
	s_and_saveexec_b64 s[34:35], s[2:3]
; %bb.17:                               ;   in Loop: Header=BB157_4 Depth=2
	ds_read_b32 v16, v38
; %bb.18:                               ;   in Loop: Header=BB157_4 Depth=2
	s_or_b64 exec, exec, s[34:35]
	s_waitcnt lgkmcnt(0)
	v_add_u32_e32 v4, v16, v4
	ds_bpermute_b32 v4, v42, v4
	v_lshlrev_b32_e32 v5, 3, v5
	s_cmp_gt_u32 s50, 55
	s_mov_b64 s[34:35], -1
	s_waitcnt lgkmcnt(0)
	v_cndmask_b32_e64 v4, v4, v16, s[10:11]
	v_cndmask_b32_e64 v47, v4, 0, s[4:5]
	v_add_u32_e32 v48, v47, v1
	v_add_u32_e32 v1, v48, v2
	v_add_u32_e32 v2, v1, v3
	ds_write2_b64 v35, v[47:48], v[1:2] offset0:1 offset1:2
	s_waitcnt lgkmcnt(0)
	s_barrier
	ds_read_b32 v1, v6 offset:8
	ds_read_b32 v2, v8 offset:8
	;; [unrolled: 1-line block ×4, first 2 shown]
	s_waitcnt lgkmcnt(0)
	v_lshl_add_u32 v18, v1, 3, v5
	v_lshlrev_b32_e32 v1, 3, v9
	v_lshlrev_b32_e32 v5, 3, v7
	v_lshlrev_b32_e32 v2, 3, v2
	v_add3_u32 v47, v1, v5, v2
	v_lshlrev_b32_e32 v1, 3, v12
	v_lshlrev_b32_e32 v2, 3, v10
	v_lshlrev_b32_e32 v3, 3, v3
	v_add3_u32 v48, v1, v2, v3
	;; [unrolled: 4-line block ×3, first 2 shown]
                                        ; implicit-def: $vgpr9_vgpr10
                                        ; implicit-def: $vgpr13_vgpr14
                                        ; implicit-def: $vgpr1_vgpr2
                                        ; implicit-def: $vgpr5_vgpr6
	s_cbranch_scc1 .LBB157_3
; %bb.19:                               ;   in Loop: Header=BB157_4 Depth=2
	s_barrier
	ds_write_b64 v18, v[33:34]
	ds_write_b64 v47, v[31:32]
	;; [unrolled: 1-line block ×4, first 2 shown]
	s_waitcnt lgkmcnt(0)
	s_barrier
	ds_read2st64_b64 v[1:4], v39 offset1:1
	ds_read2st64_b64 v[5:8], v39 offset0:2 offset1:3
	s_waitcnt lgkmcnt(0)
	s_barrier
	ds_write_b64 v18, v[25:26]
	ds_write_b64 v47, v[23:24]
	;; [unrolled: 1-line block ×4, first 2 shown]
	s_waitcnt lgkmcnt(0)
	s_barrier
	ds_read2st64_b64 v[9:12], v39 offset1:1
	ds_read2st64_b64 v[13:16], v39 offset0:2 offset1:3
	s_add_i32 s49, s49, -8
	s_add_i32 s48, s48, 8
	s_add_i32 s50, s50, 8
	s_mov_b64 s[34:35], 0
	s_waitcnt lgkmcnt(0)
	s_barrier
	s_branch .LBB157_3
.LBB157_20:
	s_add_u32 s0, s42, s44
	s_waitcnt lgkmcnt(1)
	v_add_u32_e32 v5, v9, v5
	v_add_u32_e32 v6, v10, v6
	s_addc_u32 s1, s43, s45
	v_lshlrev_b32_e32 v0, 3, v0
	v_add_u32_e32 v7, v11, v7
	v_add_u32_e32 v8, v12, v8
	s_waitcnt lgkmcnt(0)
	v_add_u32_e32 v1, v13, v1
	v_add_u32_e32 v2, v14, v2
	;; [unrolled: 1-line block ×4, first 2 shown]
	global_store_dwordx2 v0, v[5:6], s[0:1]
	global_store_dwordx2 v0, v[7:8], s[0:1] offset:1024
	global_store_dwordx2 v0, v[1:2], s[0:1] offset:2048
	;; [unrolled: 1-line block ×3, first 2 shown]
	s_endpgm
	.section	.rodata,"a",@progbits
	.p2align	6, 0x0
	.amdhsa_kernel _Z17sort_pairs_kernelI22helper_blocked_blockedN15benchmark_utils11custom_typeIiiEELj128ELj4ELj10EEvPKT0_PS4_
		.amdhsa_group_segment_fixed_size 4096
		.amdhsa_private_segment_fixed_size 0
		.amdhsa_kernarg_size 272
		.amdhsa_user_sgpr_count 6
		.amdhsa_user_sgpr_private_segment_buffer 1
		.amdhsa_user_sgpr_dispatch_ptr 0
		.amdhsa_user_sgpr_queue_ptr 0
		.amdhsa_user_sgpr_kernarg_segment_ptr 1
		.amdhsa_user_sgpr_dispatch_id 0
		.amdhsa_user_sgpr_flat_scratch_init 0
		.amdhsa_user_sgpr_private_segment_size 0
		.amdhsa_uses_dynamic_stack 0
		.amdhsa_system_sgpr_private_segment_wavefront_offset 0
		.amdhsa_system_sgpr_workgroup_id_x 1
		.amdhsa_system_sgpr_workgroup_id_y 0
		.amdhsa_system_sgpr_workgroup_id_z 0
		.amdhsa_system_sgpr_workgroup_info 0
		.amdhsa_system_vgpr_workitem_id 2
		.amdhsa_next_free_vgpr 62
		.amdhsa_next_free_sgpr 61
		.amdhsa_reserve_vcc 1
		.amdhsa_reserve_flat_scratch 0
		.amdhsa_float_round_mode_32 0
		.amdhsa_float_round_mode_16_64 0
		.amdhsa_float_denorm_mode_32 3
		.amdhsa_float_denorm_mode_16_64 3
		.amdhsa_dx10_clamp 1
		.amdhsa_ieee_mode 1
		.amdhsa_fp16_overflow 0
		.amdhsa_exception_fp_ieee_invalid_op 0
		.amdhsa_exception_fp_denorm_src 0
		.amdhsa_exception_fp_ieee_div_zero 0
		.amdhsa_exception_fp_ieee_overflow 0
		.amdhsa_exception_fp_ieee_underflow 0
		.amdhsa_exception_fp_ieee_inexact 0
		.amdhsa_exception_int_div_zero 0
	.end_amdhsa_kernel
	.section	.text._Z17sort_pairs_kernelI22helper_blocked_blockedN15benchmark_utils11custom_typeIiiEELj128ELj4ELj10EEvPKT0_PS4_,"axG",@progbits,_Z17sort_pairs_kernelI22helper_blocked_blockedN15benchmark_utils11custom_typeIiiEELj128ELj4ELj10EEvPKT0_PS4_,comdat
.Lfunc_end157:
	.size	_Z17sort_pairs_kernelI22helper_blocked_blockedN15benchmark_utils11custom_typeIiiEELj128ELj4ELj10EEvPKT0_PS4_, .Lfunc_end157-_Z17sort_pairs_kernelI22helper_blocked_blockedN15benchmark_utils11custom_typeIiiEELj128ELj4ELj10EEvPKT0_PS4_
                                        ; -- End function
	.set _Z17sort_pairs_kernelI22helper_blocked_blockedN15benchmark_utils11custom_typeIiiEELj128ELj4ELj10EEvPKT0_PS4_.num_vgpr, 62
	.set _Z17sort_pairs_kernelI22helper_blocked_blockedN15benchmark_utils11custom_typeIiiEELj128ELj4ELj10EEvPKT0_PS4_.num_agpr, 0
	.set _Z17sort_pairs_kernelI22helper_blocked_blockedN15benchmark_utils11custom_typeIiiEELj128ELj4ELj10EEvPKT0_PS4_.numbered_sgpr, 55
	.set _Z17sort_pairs_kernelI22helper_blocked_blockedN15benchmark_utils11custom_typeIiiEELj128ELj4ELj10EEvPKT0_PS4_.num_named_barrier, 0
	.set _Z17sort_pairs_kernelI22helper_blocked_blockedN15benchmark_utils11custom_typeIiiEELj128ELj4ELj10EEvPKT0_PS4_.private_seg_size, 0
	.set _Z17sort_pairs_kernelI22helper_blocked_blockedN15benchmark_utils11custom_typeIiiEELj128ELj4ELj10EEvPKT0_PS4_.uses_vcc, 1
	.set _Z17sort_pairs_kernelI22helper_blocked_blockedN15benchmark_utils11custom_typeIiiEELj128ELj4ELj10EEvPKT0_PS4_.uses_flat_scratch, 0
	.set _Z17sort_pairs_kernelI22helper_blocked_blockedN15benchmark_utils11custom_typeIiiEELj128ELj4ELj10EEvPKT0_PS4_.has_dyn_sized_stack, 0
	.set _Z17sort_pairs_kernelI22helper_blocked_blockedN15benchmark_utils11custom_typeIiiEELj128ELj4ELj10EEvPKT0_PS4_.has_recursion, 0
	.set _Z17sort_pairs_kernelI22helper_blocked_blockedN15benchmark_utils11custom_typeIiiEELj128ELj4ELj10EEvPKT0_PS4_.has_indirect_call, 0
	.section	.AMDGPU.csdata,"",@progbits
; Kernel info:
; codeLenInByte = 4428
; TotalNumSgprs: 59
; NumVgprs: 62
; ScratchSize: 0
; MemoryBound: 0
; FloatMode: 240
; IeeeMode: 1
; LDSByteSize: 4096 bytes/workgroup (compile time only)
; SGPRBlocks: 8
; VGPRBlocks: 15
; NumSGPRsForWavesPerEU: 65
; NumVGPRsForWavesPerEU: 62
; Occupancy: 4
; WaveLimiterHint : 1
; COMPUTE_PGM_RSRC2:SCRATCH_EN: 0
; COMPUTE_PGM_RSRC2:USER_SGPR: 6
; COMPUTE_PGM_RSRC2:TRAP_HANDLER: 0
; COMPUTE_PGM_RSRC2:TGID_X_EN: 1
; COMPUTE_PGM_RSRC2:TGID_Y_EN: 0
; COMPUTE_PGM_RSRC2:TGID_Z_EN: 0
; COMPUTE_PGM_RSRC2:TIDIG_COMP_CNT: 2
	.section	.text._Z16sort_keys_kernelI22helper_blocked_blockedN15benchmark_utils11custom_typeIiiEELj128ELj8ELj10EEvPKT0_PS4_,"axG",@progbits,_Z16sort_keys_kernelI22helper_blocked_blockedN15benchmark_utils11custom_typeIiiEELj128ELj8ELj10EEvPKT0_PS4_,comdat
	.protected	_Z16sort_keys_kernelI22helper_blocked_blockedN15benchmark_utils11custom_typeIiiEELj128ELj8ELj10EEvPKT0_PS4_ ; -- Begin function _Z16sort_keys_kernelI22helper_blocked_blockedN15benchmark_utils11custom_typeIiiEELj128ELj8ELj10EEvPKT0_PS4_
	.globl	_Z16sort_keys_kernelI22helper_blocked_blockedN15benchmark_utils11custom_typeIiiEELj128ELj8ELj10EEvPKT0_PS4_
	.p2align	8
	.type	_Z16sort_keys_kernelI22helper_blocked_blockedN15benchmark_utils11custom_typeIiiEELj128ELj8ELj10EEvPKT0_PS4_,@function
_Z16sort_keys_kernelI22helper_blocked_blockedN15benchmark_utils11custom_typeIiiEELj128ELj8ELj10EEvPKT0_PS4_: ; @_Z16sort_keys_kernelI22helper_blocked_blockedN15benchmark_utils11custom_typeIiiEELj128ELj8ELj10EEvPKT0_PS4_
; %bb.0:
	s_load_dwordx4 s[28:31], s[4:5], 0x0
	s_load_dword s2, s[4:5], 0x1c
	s_lshl_b32 s34, s6, 10
	s_mov_b32 s35, 0
	s_lshl_b64 s[36:37], s[34:35], 3
	s_waitcnt lgkmcnt(0)
	s_add_u32 s0, s28, s36
	s_addc_u32 s1, s29, s37
	v_lshlrev_b32_e32 v11, 3, v0
	v_mov_b32_e32 v3, s1
	v_add_co_u32_e32 v12, vcc, s0, v11
	v_addc_co_u32_e32 v13, vcc, 0, v3, vcc
	global_load_dwordx2 v[3:4], v11, s[0:1]
	global_load_dwordx2 v[5:6], v11, s[0:1] offset:1024
	global_load_dwordx2 v[7:8], v11, s[0:1] offset:2048
	;; [unrolled: 1-line block ×3, first 2 shown]
	s_movk_i32 s0, 0x1000
	v_add_co_u32_e32 v17, vcc, s0, v12
	v_addc_co_u32_e32 v18, vcc, 0, v13, vcc
	global_load_dwordx2 v[11:12], v[17:18], off
	global_load_dwordx2 v[13:14], v[17:18], off offset:1024
	global_load_dwordx2 v[15:16], v[17:18], off offset:2048
	;; [unrolled: 1-line block ×3, first 2 shown]
	v_mbcnt_lo_u32_b32 v18, -1, 0
	v_mbcnt_hi_u32_b32 v18, -1, v18
	s_lshr_b32 s0, s2, 16
	s_and_b32 s1, s2, 0xffff
	v_mad_u32_u24 v1, v2, s0, v1
	v_and_b32_e32 v2, 15, v18
	v_and_b32_e32 v19, 64, v0
	v_mad_u32_u24 v1, v1, s1, v0
	v_cmp_eq_u32_e64 s[0:1], 0, v2
	v_cmp_lt_u32_e64 s[2:3], 1, v2
	v_cmp_lt_u32_e64 s[4:5], 3, v2
	;; [unrolled: 1-line block ×3, first 2 shown]
	v_and_b32_e32 v2, 16, v18
	v_cmp_eq_u32_e64 s[8:9], 0, v2
	v_or_b32_e32 v2, 63, v19
	v_add_lshl_u32 v39, v18, v19, 6
	v_cmp_eq_u32_e64 s[12:13], v0, v2
	v_subrev_co_u32_e64 v2, s[18:19], 1, v18
	v_and_b32_e32 v19, 64, v18
	v_cmp_lt_i32_e32 vcc, v2, v19
	v_lshlrev_b32_e32 v20, 6, v0
	v_cndmask_b32_e32 v2, v2, v18, vcc
	v_and_b32_e32 v20, 0x1000, v20
	v_lshlrev_b32_e32 v41, 4, v0
	v_lshlrev_b32_e32 v42, 2, v2
	v_lshrrev_b32_e32 v2, 4, v0
	v_lshrrev_b32_e32 v1, 4, v1
	s_mov_b32 s34, s35
	s_mov_b32 s24, s35
	v_lshl_or_b32 v40, v18, 3, v20
	v_and_b32_e32 v43, 4, v2
	v_mad_i32_i24 v44, v0, -12, v41
	v_and_b32_e32 v2, 1, v18
	v_and_b32_e32 v46, 0xffffffc, v1
	v_mul_u32_u24_e32 v1, 60, v0
	s_mov_b32 s25, s35
	v_mov_b32_e32 v19, s34
	v_mov_b32_e32 v21, s24
	v_mov_b32_e32 v17, 0
	v_cmp_lt_u32_e64 s[10:11], 31, v18
	v_cmp_gt_u32_e64 s[14:15], 2, v0
	v_cmp_lt_u32_e64 s[16:17], 63, v0
	v_cmp_eq_u32_e64 s[20:21], 0, v0
	v_cmp_eq_u32_e64 s[22:23], 0, v2
	v_add_u32_e32 v45, -4, v43
	v_add_u32_e32 v47, v44, v1
	v_mov_b32_e32 v20, s35
	v_mov_b32_e32 v22, s25
	s_branch .LBB158_2
.LBB158_1:                              ;   in Loop: Header=BB158_2 Depth=1
	s_barrier
	ds_write_b64 v48, v[37:38]
	ds_write_b64 v51, v[35:36]
	;; [unrolled: 1-line block ×8, first 2 shown]
	s_waitcnt lgkmcnt(0)
	s_barrier
	ds_read2_b64 v[3:6], v47 offset1:1
	ds_read2_b64 v[7:10], v47 offset0:2 offset1:3
	ds_read2_b64 v[11:14], v47 offset0:4 offset1:5
	;; [unrolled: 1-line block ×3, first 2 shown]
	s_add_i32 s35, s35, 1
	s_waitcnt lgkmcnt(3)
	v_xor_b32_e32 v3, 0x80000000, v3
	v_xor_b32_e32 v4, 0x80000000, v4
	v_xor_b32_e32 v5, 0x80000000, v5
	v_xor_b32_e32 v6, 0x80000000, v6
	s_waitcnt lgkmcnt(2)
	v_xor_b32_e32 v7, 0x80000000, v7
	v_xor_b32_e32 v8, 0x80000000, v8
	v_xor_b32_e32 v9, 0x80000000, v9
	v_xor_b32_e32 v10, 0x80000000, v10
	;; [unrolled: 5-line block ×3, first 2 shown]
	s_waitcnt lgkmcnt(0)
	v_xor_b32_e32 v15, 0x80000000, v23
	v_xor_b32_e32 v16, 0x80000000, v24
	;; [unrolled: 1-line block ×3, first 2 shown]
	s_cmp_eq_u32 s35, 10
	v_xor_b32_e32 v24, 0x80000000, v26
	s_cbranch_scc1 .LBB158_28
.LBB158_2:                              ; =>This Loop Header: Depth=1
                                        ;     Child Loop BB158_4 Depth 2
	s_waitcnt vmcnt(7)
	v_xor_b32_e32 v2, 0x80000000, v4
	v_xor_b32_e32 v1, 0x80000000, v3
	s_waitcnt vmcnt(6)
	v_xor_b32_e32 v4, 0x80000000, v6
	v_xor_b32_e32 v3, 0x80000000, v5
	;; [unrolled: 3-line block ×8, first 2 shown]
	ds_write2_b64 v39, v[1:2], v[3:4] offset1:1
	ds_write2_b64 v39, v[5:6], v[7:8] offset0:2 offset1:3
	ds_write2_b64 v39, v[9:10], v[11:12] offset0:4 offset1:5
	;; [unrolled: 1-line block ×3, first 2 shown]
	; wave barrier
	ds_read2st64_b64 v[1:4], v40 offset1:1
	ds_read2st64_b64 v[5:8], v40 offset0:2 offset1:3
	ds_read2st64_b64 v[9:12], v40 offset0:4 offset1:5
	;; [unrolled: 1-line block ×3, first 2 shown]
	s_mov_b32 s33, 8
	s_mov_b32 s34, 32
	;; [unrolled: 1-line block ×3, first 2 shown]
	s_waitcnt lgkmcnt(0)
	s_barrier
	; wave barrier
	s_barrier
	s_branch .LBB158_4
.LBB158_3:                              ;   in Loop: Header=BB158_4 Depth=2
	s_andn2_b64 vcc, exec, s[24:25]
	s_cbranch_vccz .LBB158_1
.LBB158_4:                              ;   Parent Loop BB158_2 Depth=1
                                        ; =>  This Inner Loop Header: Depth=2
	s_min_i32 s26, s33, 32
	s_cmp_lt_u32 s38, 32
	s_cselect_b64 s[24:25], -1, 0
	s_cmp_gt_u32 s38, 31
	s_cselect_b64 vcc, -1, 0
	s_sub_i32 s26, s26, 32
	s_add_i32 s27, s26, s34
	s_lshl_b32 s27, -1, s27
	s_not_b32 s27, s27
	s_cmp_lg_u32 s26, s38
	s_cselect_b32 s40, s27, -1
	s_max_i32 s39, s34, 0
	s_max_i32 s26, s38, 32
	s_sub_i32 s41, s26, 32
	s_sub_i32 s26, s26, s39
	;; [unrolled: 1-line block ×3, first 2 shown]
	s_min_i32 s26, s26, 32
	s_sub_i32 s26, s26, s41
	s_lshl_b32 s27, -1, s26
	v_mov_b32_e32 v38, v2
	s_not_b32 s27, s27
	v_mov_b32_e32 v37, v1
	s_cmp_lg_u32 s26, 32
	s_cselect_b32 s42, s27, -1
	v_lshrrev_b32_e32 v2, s41, v37
	v_lshrrev_b32_e32 v1, s38, v38
	v_and_b32_e32 v2, s42, v2
	v_and_b32_e32 v1, s40, v1
	v_lshlrev_b32_e32 v2, s39, v2
	v_cndmask_b32_e64 v1, 0, v1, s[24:25]
	v_cndmask_b32_e32 v2, 0, v2, vcc
	v_or_b32_e32 v1, v1, v2
	v_mov_b32_e32 v36, v4
	v_and_b32_e32 v2, 1, v1
	v_mov_b32_e32 v35, v3
	v_mov_b32_e32 v34, v6
	v_add_co_u32_e64 v4, s[26:27], -1, v2
	v_mov_b32_e32 v33, v5
	v_addc_co_u32_e64 v5, s[26:27], 0, -1, s[26:27]
	v_cmp_ne_u32_e64 s[26:27], 0, v2
	v_lshlrev_b32_e32 v18, 30, v1
	v_xor_b32_e32 v2, s27, v5
	v_xor_b32_e32 v4, s26, v4
	v_cmp_gt_i64_e64 s[26:27], 0, v[17:18]
	v_not_b32_e32 v5, v18
	v_ashrrev_i32_e32 v5, 31, v5
	v_and_b32_e32 v4, exec_lo, v4
	v_xor_b32_e32 v6, s27, v5
	v_xor_b32_e32 v5, s26, v5
	v_lshlrev_b32_e32 v18, 29, v1
	v_and_b32_e32 v4, v4, v5
	v_cmp_gt_i64_e64 s[26:27], 0, v[17:18]
	v_not_b32_e32 v5, v18
	v_and_b32_e32 v2, exec_hi, v2
	v_ashrrev_i32_e32 v5, 31, v5
	v_and_b32_e32 v2, v2, v6
	v_xor_b32_e32 v6, s27, v5
	v_xor_b32_e32 v5, s26, v5
	v_lshlrev_b32_e32 v18, 28, v1
	v_and_b32_e32 v4, v4, v5
	v_cmp_gt_i64_e64 s[26:27], 0, v[17:18]
	v_not_b32_e32 v5, v18
	v_ashrrev_i32_e32 v5, 31, v5
	v_and_b32_e32 v2, v2, v6
	v_xor_b32_e32 v6, s27, v5
	v_xor_b32_e32 v5, s26, v5
	v_lshlrev_b32_e32 v18, 27, v1
	v_and_b32_e32 v4, v4, v5
	v_cmp_gt_i64_e64 s[26:27], 0, v[17:18]
	v_not_b32_e32 v5, v18
	;; [unrolled: 8-line block ×4, first 2 shown]
	v_ashrrev_i32_e32 v5, 31, v5
	v_lshlrev_b32_e32 v18, 24, v1
	v_lshlrev_b32_e32 v3, 3, v1
	v_and_b32_e32 v2, v2, v6
	v_xor_b32_e32 v6, s27, v5
	v_xor_b32_e32 v5, s26, v5
	v_cmp_gt_i64_e64 s[26:27], 0, v[17:18]
	v_not_b32_e32 v1, v18
	v_ashrrev_i32_e32 v1, 31, v1
	v_and_b32_e32 v4, v4, v5
	v_xor_b32_e32 v5, s27, v1
	v_xor_b32_e32 v1, s26, v1
	v_and_b32_e32 v2, v2, v6
	v_and_b32_e32 v1, v4, v1
	;; [unrolled: 1-line block ×3, first 2 shown]
	v_mbcnt_lo_u32_b32 v4, v1, 0
	v_mbcnt_hi_u32_b32 v5, v2, v4
	v_cmp_ne_u64_e64 s[26:27], 0, v[1:2]
	v_mov_b32_e32 v32, v8
	v_mov_b32_e32 v30, v10
	;; [unrolled: 1-line block ×5, first 2 shown]
	v_cmp_eq_u32_e64 s[28:29], 0, v5
	v_mov_b32_e32 v31, v7
	v_mov_b32_e32 v29, v9
	;; [unrolled: 1-line block ×5, first 2 shown]
	s_and_b64 s[28:29], s[28:29], s[26:27]
	v_add_u32_e32 v6, v46, v3
	ds_write2_b64 v41, v[19:20], v[21:22] offset0:1 offset1:2
	s_waitcnt lgkmcnt(0)
	s_barrier
	; wave barrier
	s_and_saveexec_b64 s[26:27], s[28:29]
; %bb.5:                                ;   in Loop: Header=BB158_4 Depth=2
	v_bcnt_u32_b32 v1, v1, 0
	v_bcnt_u32_b32 v1, v2, v1
	ds_write_b32 v6, v1 offset:8
; %bb.6:                                ;   in Loop: Header=BB158_4 Depth=2
	s_or_b64 exec, exec, s[26:27]
	v_lshrrev_b32_e32 v2, s41, v35
	v_lshrrev_b32_e32 v1, s38, v36
	v_and_b32_e32 v2, s42, v2
	v_and_b32_e32 v1, s40, v1
	v_lshlrev_b32_e32 v2, s39, v2
	v_cndmask_b32_e64 v1, 0, v1, s[24:25]
	v_cndmask_b32_e32 v2, 0, v2, vcc
	v_or_b32_e32 v1, v1, v2
	v_lshlrev_b32_e32 v2, 3, v1
	v_add_u32_e32 v8, v46, v2
	v_and_b32_e32 v2, 1, v1
	v_add_co_u32_e64 v3, s[26:27], -1, v2
	v_addc_co_u32_e64 v4, s[26:27], 0, -1, s[26:27]
	v_cmp_ne_u32_e64 s[26:27], 0, v2
	v_lshlrev_b32_e32 v18, 30, v1
	v_xor_b32_e32 v2, s27, v4
	v_xor_b32_e32 v3, s26, v3
	v_cmp_gt_i64_e64 s[26:27], 0, v[17:18]
	v_not_b32_e32 v4, v18
	v_ashrrev_i32_e32 v4, 31, v4
	v_and_b32_e32 v3, exec_lo, v3
	v_xor_b32_e32 v9, s27, v4
	v_xor_b32_e32 v4, s26, v4
	v_lshlrev_b32_e32 v18, 29, v1
	v_and_b32_e32 v3, v3, v4
	v_cmp_gt_i64_e64 s[26:27], 0, v[17:18]
	v_not_b32_e32 v4, v18
	v_and_b32_e32 v2, exec_hi, v2
	v_ashrrev_i32_e32 v4, 31, v4
	v_and_b32_e32 v2, v2, v9
	v_xor_b32_e32 v9, s27, v4
	v_xor_b32_e32 v4, s26, v4
	v_lshlrev_b32_e32 v18, 28, v1
	v_and_b32_e32 v3, v3, v4
	v_cmp_gt_i64_e64 s[26:27], 0, v[17:18]
	v_not_b32_e32 v4, v18
	v_ashrrev_i32_e32 v4, 31, v4
	v_and_b32_e32 v2, v2, v9
	v_xor_b32_e32 v9, s27, v4
	v_xor_b32_e32 v4, s26, v4
	v_lshlrev_b32_e32 v18, 27, v1
	v_and_b32_e32 v3, v3, v4
	v_cmp_gt_i64_e64 s[26:27], 0, v[17:18]
	v_not_b32_e32 v4, v18
	;; [unrolled: 8-line block ×4, first 2 shown]
	v_ashrrev_i32_e32 v4, 31, v4
	v_lshlrev_b32_e32 v18, 24, v1
	v_and_b32_e32 v2, v2, v9
	v_xor_b32_e32 v9, s27, v4
	v_xor_b32_e32 v4, s26, v4
	v_cmp_gt_i64_e64 s[26:27], 0, v[17:18]
	v_not_b32_e32 v1, v18
	v_ashrrev_i32_e32 v1, 31, v1
	v_and_b32_e32 v3, v3, v4
	v_xor_b32_e32 v4, s27, v1
	v_xor_b32_e32 v1, s26, v1
	; wave barrier
	ds_read_b32 v7, v8 offset:8
	v_and_b32_e32 v2, v2, v9
	v_and_b32_e32 v1, v3, v1
	v_and_b32_e32 v2, v2, v4
	v_mbcnt_lo_u32_b32 v3, v1, 0
	v_mbcnt_hi_u32_b32 v9, v2, v3
	v_cmp_ne_u64_e64 s[26:27], 0, v[1:2]
	v_cmp_eq_u32_e64 s[28:29], 0, v9
	s_and_b64 s[28:29], s[28:29], s[26:27]
	; wave barrier
	s_and_saveexec_b64 s[26:27], s[28:29]
	s_cbranch_execz .LBB158_8
; %bb.7:                                ;   in Loop: Header=BB158_4 Depth=2
	v_bcnt_u32_b32 v1, v1, 0
	v_bcnt_u32_b32 v1, v2, v1
	s_waitcnt lgkmcnt(0)
	v_add_u32_e32 v1, v7, v1
	ds_write_b32 v8, v1 offset:8
.LBB158_8:                              ;   in Loop: Header=BB158_4 Depth=2
	s_or_b64 exec, exec, s[26:27]
	v_lshrrev_b32_e32 v2, s41, v33
	v_lshrrev_b32_e32 v1, s38, v34
	v_and_b32_e32 v2, s42, v2
	v_and_b32_e32 v1, s40, v1
	v_lshlrev_b32_e32 v2, s39, v2
	v_cndmask_b32_e64 v1, 0, v1, s[24:25]
	v_cndmask_b32_e32 v2, 0, v2, vcc
	v_or_b32_e32 v1, v1, v2
	v_lshlrev_b32_e32 v2, 3, v1
	v_add_u32_e32 v11, v46, v2
	v_and_b32_e32 v2, 1, v1
	v_add_co_u32_e64 v3, s[26:27], -1, v2
	v_addc_co_u32_e64 v4, s[26:27], 0, -1, s[26:27]
	v_cmp_ne_u32_e64 s[26:27], 0, v2
	v_lshlrev_b32_e32 v18, 30, v1
	v_xor_b32_e32 v2, s27, v4
	v_xor_b32_e32 v3, s26, v3
	v_cmp_gt_i64_e64 s[26:27], 0, v[17:18]
	v_not_b32_e32 v4, v18
	v_ashrrev_i32_e32 v4, 31, v4
	v_and_b32_e32 v3, exec_lo, v3
	v_xor_b32_e32 v12, s27, v4
	v_xor_b32_e32 v4, s26, v4
	v_lshlrev_b32_e32 v18, 29, v1
	v_and_b32_e32 v3, v3, v4
	v_cmp_gt_i64_e64 s[26:27], 0, v[17:18]
	v_not_b32_e32 v4, v18
	v_and_b32_e32 v2, exec_hi, v2
	v_ashrrev_i32_e32 v4, 31, v4
	v_and_b32_e32 v2, v2, v12
	v_xor_b32_e32 v12, s27, v4
	v_xor_b32_e32 v4, s26, v4
	v_lshlrev_b32_e32 v18, 28, v1
	v_and_b32_e32 v3, v3, v4
	v_cmp_gt_i64_e64 s[26:27], 0, v[17:18]
	v_not_b32_e32 v4, v18
	v_ashrrev_i32_e32 v4, 31, v4
	v_and_b32_e32 v2, v2, v12
	v_xor_b32_e32 v12, s27, v4
	v_xor_b32_e32 v4, s26, v4
	v_lshlrev_b32_e32 v18, 27, v1
	v_and_b32_e32 v3, v3, v4
	v_cmp_gt_i64_e64 s[26:27], 0, v[17:18]
	v_not_b32_e32 v4, v18
	;; [unrolled: 8-line block ×4, first 2 shown]
	v_ashrrev_i32_e32 v4, 31, v4
	v_lshlrev_b32_e32 v18, 24, v1
	v_and_b32_e32 v2, v2, v12
	v_xor_b32_e32 v12, s27, v4
	v_xor_b32_e32 v4, s26, v4
	v_cmp_gt_i64_e64 s[26:27], 0, v[17:18]
	v_not_b32_e32 v1, v18
	v_ashrrev_i32_e32 v1, 31, v1
	v_and_b32_e32 v3, v3, v4
	v_xor_b32_e32 v4, s27, v1
	v_xor_b32_e32 v1, s26, v1
	; wave barrier
	ds_read_b32 v10, v11 offset:8
	v_and_b32_e32 v2, v2, v12
	v_and_b32_e32 v1, v3, v1
	;; [unrolled: 1-line block ×3, first 2 shown]
	v_mbcnt_lo_u32_b32 v3, v1, 0
	v_mbcnt_hi_u32_b32 v12, v2, v3
	v_cmp_ne_u64_e64 s[26:27], 0, v[1:2]
	v_cmp_eq_u32_e64 s[28:29], 0, v12
	s_and_b64 s[28:29], s[28:29], s[26:27]
	; wave barrier
	s_and_saveexec_b64 s[26:27], s[28:29]
	s_cbranch_execz .LBB158_10
; %bb.9:                                ;   in Loop: Header=BB158_4 Depth=2
	v_bcnt_u32_b32 v1, v1, 0
	v_bcnt_u32_b32 v1, v2, v1
	s_waitcnt lgkmcnt(0)
	v_add_u32_e32 v1, v10, v1
	ds_write_b32 v11, v1 offset:8
.LBB158_10:                             ;   in Loop: Header=BB158_4 Depth=2
	s_or_b64 exec, exec, s[26:27]
	v_lshrrev_b32_e32 v2, s41, v31
	v_lshrrev_b32_e32 v1, s38, v32
	v_and_b32_e32 v2, s42, v2
	v_and_b32_e32 v1, s40, v1
	v_lshlrev_b32_e32 v2, s39, v2
	v_cndmask_b32_e64 v1, 0, v1, s[24:25]
	v_cndmask_b32_e32 v2, 0, v2, vcc
	v_or_b32_e32 v1, v1, v2
	v_lshlrev_b32_e32 v2, 3, v1
	v_add_u32_e32 v14, v46, v2
	v_and_b32_e32 v2, 1, v1
	v_add_co_u32_e64 v3, s[26:27], -1, v2
	v_addc_co_u32_e64 v4, s[26:27], 0, -1, s[26:27]
	v_cmp_ne_u32_e64 s[26:27], 0, v2
	v_lshlrev_b32_e32 v18, 30, v1
	v_xor_b32_e32 v2, s27, v4
	v_xor_b32_e32 v3, s26, v3
	v_cmp_gt_i64_e64 s[26:27], 0, v[17:18]
	v_not_b32_e32 v4, v18
	v_ashrrev_i32_e32 v4, 31, v4
	v_and_b32_e32 v3, exec_lo, v3
	v_xor_b32_e32 v15, s27, v4
	v_xor_b32_e32 v4, s26, v4
	v_lshlrev_b32_e32 v18, 29, v1
	v_and_b32_e32 v3, v3, v4
	v_cmp_gt_i64_e64 s[26:27], 0, v[17:18]
	v_not_b32_e32 v4, v18
	v_and_b32_e32 v2, exec_hi, v2
	v_ashrrev_i32_e32 v4, 31, v4
	v_and_b32_e32 v2, v2, v15
	v_xor_b32_e32 v15, s27, v4
	v_xor_b32_e32 v4, s26, v4
	v_lshlrev_b32_e32 v18, 28, v1
	v_and_b32_e32 v3, v3, v4
	v_cmp_gt_i64_e64 s[26:27], 0, v[17:18]
	v_not_b32_e32 v4, v18
	v_ashrrev_i32_e32 v4, 31, v4
	v_and_b32_e32 v2, v2, v15
	v_xor_b32_e32 v15, s27, v4
	v_xor_b32_e32 v4, s26, v4
	v_lshlrev_b32_e32 v18, 27, v1
	v_and_b32_e32 v3, v3, v4
	v_cmp_gt_i64_e64 s[26:27], 0, v[17:18]
	v_not_b32_e32 v4, v18
	;; [unrolled: 8-line block ×4, first 2 shown]
	v_ashrrev_i32_e32 v4, 31, v4
	v_lshlrev_b32_e32 v18, 24, v1
	v_and_b32_e32 v2, v2, v15
	v_xor_b32_e32 v15, s27, v4
	v_xor_b32_e32 v4, s26, v4
	v_cmp_gt_i64_e64 s[26:27], 0, v[17:18]
	v_not_b32_e32 v1, v18
	v_ashrrev_i32_e32 v1, 31, v1
	v_and_b32_e32 v3, v3, v4
	v_xor_b32_e32 v4, s27, v1
	v_xor_b32_e32 v1, s26, v1
	; wave barrier
	ds_read_b32 v13, v14 offset:8
	v_and_b32_e32 v2, v2, v15
	v_and_b32_e32 v1, v3, v1
	;; [unrolled: 1-line block ×3, first 2 shown]
	v_mbcnt_lo_u32_b32 v3, v1, 0
	v_mbcnt_hi_u32_b32 v15, v2, v3
	v_cmp_ne_u64_e64 s[26:27], 0, v[1:2]
	v_cmp_eq_u32_e64 s[28:29], 0, v15
	s_and_b64 s[28:29], s[28:29], s[26:27]
	; wave barrier
	s_and_saveexec_b64 s[26:27], s[28:29]
	s_cbranch_execz .LBB158_12
; %bb.11:                               ;   in Loop: Header=BB158_4 Depth=2
	v_bcnt_u32_b32 v1, v1, 0
	v_bcnt_u32_b32 v1, v2, v1
	s_waitcnt lgkmcnt(0)
	v_add_u32_e32 v1, v13, v1
	ds_write_b32 v14, v1 offset:8
.LBB158_12:                             ;   in Loop: Header=BB158_4 Depth=2
	s_or_b64 exec, exec, s[26:27]
	v_lshrrev_b32_e32 v2, s41, v29
	v_lshrrev_b32_e32 v1, s38, v30
	v_and_b32_e32 v2, s42, v2
	v_and_b32_e32 v1, s40, v1
	v_lshlrev_b32_e32 v2, s39, v2
	v_cndmask_b32_e64 v1, 0, v1, s[24:25]
	v_cndmask_b32_e32 v2, 0, v2, vcc
	v_or_b32_e32 v1, v1, v2
	v_lshlrev_b32_e32 v2, 3, v1
	v_add_u32_e32 v48, v46, v2
	v_and_b32_e32 v2, 1, v1
	v_add_co_u32_e64 v3, s[26:27], -1, v2
	v_addc_co_u32_e64 v4, s[26:27], 0, -1, s[26:27]
	v_cmp_ne_u32_e64 s[26:27], 0, v2
	v_lshlrev_b32_e32 v18, 30, v1
	v_xor_b32_e32 v2, s27, v4
	v_xor_b32_e32 v3, s26, v3
	v_cmp_gt_i64_e64 s[26:27], 0, v[17:18]
	v_not_b32_e32 v4, v18
	v_ashrrev_i32_e32 v4, 31, v4
	v_and_b32_e32 v2, exec_hi, v2
	v_xor_b32_e32 v18, s27, v4
	v_and_b32_e32 v3, exec_lo, v3
	v_xor_b32_e32 v4, s26, v4
	v_and_b32_e32 v2, v2, v18
	v_lshlrev_b32_e32 v18, 29, v1
	v_and_b32_e32 v3, v3, v4
	v_cmp_gt_i64_e64 s[26:27], 0, v[17:18]
	v_not_b32_e32 v4, v18
	v_ashrrev_i32_e32 v4, 31, v4
	v_xor_b32_e32 v18, s27, v4
	v_xor_b32_e32 v4, s26, v4
	v_and_b32_e32 v2, v2, v18
	v_lshlrev_b32_e32 v18, 28, v1
	v_and_b32_e32 v3, v3, v4
	v_cmp_gt_i64_e64 s[26:27], 0, v[17:18]
	v_not_b32_e32 v4, v18
	v_ashrrev_i32_e32 v4, 31, v4
	v_xor_b32_e32 v18, s27, v4
	;; [unrolled: 8-line block ×5, first 2 shown]
	v_and_b32_e32 v2, v2, v18
	v_lshlrev_b32_e32 v18, 24, v1
	v_xor_b32_e32 v4, s26, v4
	v_cmp_gt_i64_e64 s[26:27], 0, v[17:18]
	v_not_b32_e32 v1, v18
	v_ashrrev_i32_e32 v1, 31, v1
	v_and_b32_e32 v3, v3, v4
	v_xor_b32_e32 v4, s27, v1
	v_xor_b32_e32 v1, s26, v1
	; wave barrier
	ds_read_b32 v16, v48 offset:8
	v_and_b32_e32 v1, v3, v1
	v_and_b32_e32 v2, v2, v4
	v_mbcnt_lo_u32_b32 v3, v1, 0
	v_mbcnt_hi_u32_b32 v49, v2, v3
	v_cmp_ne_u64_e64 s[26:27], 0, v[1:2]
	v_cmp_eq_u32_e64 s[28:29], 0, v49
	s_and_b64 s[28:29], s[28:29], s[26:27]
	; wave barrier
	s_and_saveexec_b64 s[26:27], s[28:29]
	s_cbranch_execz .LBB158_14
; %bb.13:                               ;   in Loop: Header=BB158_4 Depth=2
	v_bcnt_u32_b32 v1, v1, 0
	v_bcnt_u32_b32 v1, v2, v1
	s_waitcnt lgkmcnt(0)
	v_add_u32_e32 v1, v16, v1
	ds_write_b32 v48, v1 offset:8
.LBB158_14:                             ;   in Loop: Header=BB158_4 Depth=2
	s_or_b64 exec, exec, s[26:27]
	v_lshrrev_b32_e32 v2, s41, v27
	v_lshrrev_b32_e32 v1, s38, v28
	v_and_b32_e32 v2, s42, v2
	v_and_b32_e32 v1, s40, v1
	v_lshlrev_b32_e32 v2, s39, v2
	v_cndmask_b32_e64 v1, 0, v1, s[24:25]
	v_cndmask_b32_e32 v2, 0, v2, vcc
	v_or_b32_e32 v1, v1, v2
	v_lshlrev_b32_e32 v2, 3, v1
	v_add_u32_e32 v51, v46, v2
	v_and_b32_e32 v2, 1, v1
	v_add_co_u32_e64 v3, s[26:27], -1, v2
	v_addc_co_u32_e64 v4, s[26:27], 0, -1, s[26:27]
	v_cmp_ne_u32_e64 s[26:27], 0, v2
	v_lshlrev_b32_e32 v18, 30, v1
	v_xor_b32_e32 v2, s27, v4
	v_xor_b32_e32 v3, s26, v3
	v_cmp_gt_i64_e64 s[26:27], 0, v[17:18]
	v_not_b32_e32 v4, v18
	v_ashrrev_i32_e32 v4, 31, v4
	v_and_b32_e32 v2, exec_hi, v2
	v_xor_b32_e32 v18, s27, v4
	v_and_b32_e32 v3, exec_lo, v3
	v_xor_b32_e32 v4, s26, v4
	v_and_b32_e32 v2, v2, v18
	v_lshlrev_b32_e32 v18, 29, v1
	v_and_b32_e32 v3, v3, v4
	v_cmp_gt_i64_e64 s[26:27], 0, v[17:18]
	v_not_b32_e32 v4, v18
	v_ashrrev_i32_e32 v4, 31, v4
	v_xor_b32_e32 v18, s27, v4
	v_xor_b32_e32 v4, s26, v4
	v_and_b32_e32 v2, v2, v18
	v_lshlrev_b32_e32 v18, 28, v1
	v_and_b32_e32 v3, v3, v4
	v_cmp_gt_i64_e64 s[26:27], 0, v[17:18]
	v_not_b32_e32 v4, v18
	v_ashrrev_i32_e32 v4, 31, v4
	v_xor_b32_e32 v18, s27, v4
	;; [unrolled: 8-line block ×5, first 2 shown]
	v_and_b32_e32 v2, v2, v18
	v_lshlrev_b32_e32 v18, 24, v1
	v_xor_b32_e32 v4, s26, v4
	v_cmp_gt_i64_e64 s[26:27], 0, v[17:18]
	v_not_b32_e32 v1, v18
	v_ashrrev_i32_e32 v1, 31, v1
	v_and_b32_e32 v3, v3, v4
	v_xor_b32_e32 v4, s27, v1
	v_xor_b32_e32 v1, s26, v1
	; wave barrier
	ds_read_b32 v50, v51 offset:8
	v_and_b32_e32 v1, v3, v1
	v_and_b32_e32 v2, v2, v4
	v_mbcnt_lo_u32_b32 v3, v1, 0
	v_mbcnt_hi_u32_b32 v52, v2, v3
	v_cmp_ne_u64_e64 s[26:27], 0, v[1:2]
	v_cmp_eq_u32_e64 s[28:29], 0, v52
	s_and_b64 s[28:29], s[28:29], s[26:27]
	; wave barrier
	s_and_saveexec_b64 s[26:27], s[28:29]
	s_cbranch_execz .LBB158_16
; %bb.15:                               ;   in Loop: Header=BB158_4 Depth=2
	v_bcnt_u32_b32 v1, v1, 0
	v_bcnt_u32_b32 v1, v2, v1
	s_waitcnt lgkmcnt(0)
	v_add_u32_e32 v1, v50, v1
	ds_write_b32 v51, v1 offset:8
.LBB158_16:                             ;   in Loop: Header=BB158_4 Depth=2
	s_or_b64 exec, exec, s[26:27]
	v_lshrrev_b32_e32 v2, s41, v25
	v_lshrrev_b32_e32 v1, s38, v26
	v_and_b32_e32 v2, s42, v2
	v_and_b32_e32 v1, s40, v1
	v_lshlrev_b32_e32 v2, s39, v2
	v_cndmask_b32_e64 v1, 0, v1, s[24:25]
	v_cndmask_b32_e32 v2, 0, v2, vcc
	v_or_b32_e32 v1, v1, v2
	v_lshlrev_b32_e32 v2, 3, v1
	v_add_u32_e32 v54, v46, v2
	v_and_b32_e32 v2, 1, v1
	v_add_co_u32_e64 v3, s[26:27], -1, v2
	v_addc_co_u32_e64 v4, s[26:27], 0, -1, s[26:27]
	v_cmp_ne_u32_e64 s[26:27], 0, v2
	v_lshlrev_b32_e32 v18, 30, v1
	v_xor_b32_e32 v2, s27, v4
	v_xor_b32_e32 v3, s26, v3
	v_cmp_gt_i64_e64 s[26:27], 0, v[17:18]
	v_not_b32_e32 v4, v18
	v_ashrrev_i32_e32 v4, 31, v4
	v_and_b32_e32 v2, exec_hi, v2
	v_xor_b32_e32 v18, s27, v4
	v_and_b32_e32 v3, exec_lo, v3
	v_xor_b32_e32 v4, s26, v4
	v_and_b32_e32 v2, v2, v18
	v_lshlrev_b32_e32 v18, 29, v1
	v_and_b32_e32 v3, v3, v4
	v_cmp_gt_i64_e64 s[26:27], 0, v[17:18]
	v_not_b32_e32 v4, v18
	v_ashrrev_i32_e32 v4, 31, v4
	v_xor_b32_e32 v18, s27, v4
	v_xor_b32_e32 v4, s26, v4
	v_and_b32_e32 v2, v2, v18
	v_lshlrev_b32_e32 v18, 28, v1
	v_and_b32_e32 v3, v3, v4
	v_cmp_gt_i64_e64 s[26:27], 0, v[17:18]
	v_not_b32_e32 v4, v18
	v_ashrrev_i32_e32 v4, 31, v4
	v_xor_b32_e32 v18, s27, v4
	;; [unrolled: 8-line block ×5, first 2 shown]
	v_and_b32_e32 v2, v2, v18
	v_lshlrev_b32_e32 v18, 24, v1
	v_xor_b32_e32 v4, s26, v4
	v_cmp_gt_i64_e64 s[26:27], 0, v[17:18]
	v_not_b32_e32 v1, v18
	v_ashrrev_i32_e32 v1, 31, v1
	v_and_b32_e32 v3, v3, v4
	v_xor_b32_e32 v4, s27, v1
	v_xor_b32_e32 v1, s26, v1
	; wave barrier
	ds_read_b32 v53, v54 offset:8
	v_and_b32_e32 v1, v3, v1
	v_and_b32_e32 v2, v2, v4
	v_mbcnt_lo_u32_b32 v3, v1, 0
	v_mbcnt_hi_u32_b32 v55, v2, v3
	v_cmp_ne_u64_e64 s[26:27], 0, v[1:2]
	v_cmp_eq_u32_e64 s[28:29], 0, v55
	s_and_b64 s[28:29], s[28:29], s[26:27]
	; wave barrier
	s_and_saveexec_b64 s[26:27], s[28:29]
	s_cbranch_execz .LBB158_18
; %bb.17:                               ;   in Loop: Header=BB158_4 Depth=2
	v_bcnt_u32_b32 v1, v1, 0
	v_bcnt_u32_b32 v1, v2, v1
	s_waitcnt lgkmcnt(0)
	v_add_u32_e32 v1, v53, v1
	ds_write_b32 v54, v1 offset:8
.LBB158_18:                             ;   in Loop: Header=BB158_4 Depth=2
	s_or_b64 exec, exec, s[26:27]
	v_lshrrev_b32_e32 v2, s41, v23
	v_lshrrev_b32_e32 v1, s38, v24
	v_and_b32_e32 v2, s42, v2
	v_and_b32_e32 v1, s40, v1
	v_lshlrev_b32_e32 v2, s39, v2
	v_cndmask_b32_e64 v1, 0, v1, s[24:25]
	v_cndmask_b32_e32 v2, 0, v2, vcc
	v_or_b32_e32 v1, v1, v2
	v_lshlrev_b32_e32 v2, 3, v1
	v_add_u32_e32 v57, v46, v2
	v_and_b32_e32 v2, 1, v1
	v_add_co_u32_e32 v3, vcc, -1, v2
	v_addc_co_u32_e64 v4, s[24:25], 0, -1, vcc
	v_cmp_ne_u32_e32 vcc, 0, v2
	v_lshlrev_b32_e32 v18, 30, v1
	v_xor_b32_e32 v2, vcc_hi, v4
	v_xor_b32_e32 v3, vcc_lo, v3
	v_cmp_gt_i64_e32 vcc, 0, v[17:18]
	v_not_b32_e32 v4, v18
	v_ashrrev_i32_e32 v4, 31, v4
	v_and_b32_e32 v2, exec_hi, v2
	v_xor_b32_e32 v18, vcc_hi, v4
	v_and_b32_e32 v3, exec_lo, v3
	v_xor_b32_e32 v4, vcc_lo, v4
	v_and_b32_e32 v2, v2, v18
	v_lshlrev_b32_e32 v18, 29, v1
	v_and_b32_e32 v3, v3, v4
	v_cmp_gt_i64_e32 vcc, 0, v[17:18]
	v_not_b32_e32 v4, v18
	v_ashrrev_i32_e32 v4, 31, v4
	v_xor_b32_e32 v18, vcc_hi, v4
	v_xor_b32_e32 v4, vcc_lo, v4
	v_and_b32_e32 v2, v2, v18
	v_lshlrev_b32_e32 v18, 28, v1
	v_and_b32_e32 v3, v3, v4
	v_cmp_gt_i64_e32 vcc, 0, v[17:18]
	v_not_b32_e32 v4, v18
	v_ashrrev_i32_e32 v4, 31, v4
	v_xor_b32_e32 v18, vcc_hi, v4
	;; [unrolled: 8-line block ×5, first 2 shown]
	v_and_b32_e32 v2, v2, v18
	v_lshlrev_b32_e32 v18, 24, v1
	v_xor_b32_e32 v4, vcc_lo, v4
	v_cmp_gt_i64_e32 vcc, 0, v[17:18]
	v_not_b32_e32 v1, v18
	v_ashrrev_i32_e32 v1, 31, v1
	v_and_b32_e32 v3, v3, v4
	v_xor_b32_e32 v4, vcc_hi, v1
	v_xor_b32_e32 v1, vcc_lo, v1
	; wave barrier
	ds_read_b32 v56, v57 offset:8
	v_and_b32_e32 v1, v3, v1
	v_and_b32_e32 v2, v2, v4
	v_mbcnt_lo_u32_b32 v3, v1, 0
	v_mbcnt_hi_u32_b32 v18, v2, v3
	v_cmp_ne_u64_e32 vcc, 0, v[1:2]
	v_cmp_eq_u32_e64 s[24:25], 0, v18
	s_and_b64 s[26:27], s[24:25], vcc
	; wave barrier
	s_and_saveexec_b64 s[24:25], s[26:27]
	s_cbranch_execz .LBB158_20
; %bb.19:                               ;   in Loop: Header=BB158_4 Depth=2
	v_bcnt_u32_b32 v1, v1, 0
	v_bcnt_u32_b32 v1, v2, v1
	s_waitcnt lgkmcnt(0)
	v_add_u32_e32 v1, v56, v1
	ds_write_b32 v57, v1 offset:8
.LBB158_20:                             ;   in Loop: Header=BB158_4 Depth=2
	s_or_b64 exec, exec, s[24:25]
	; wave barrier
	s_waitcnt lgkmcnt(0)
	s_barrier
	ds_read2_b64 v[1:4], v41 offset0:1 offset1:2
	s_waitcnt lgkmcnt(0)
	v_add_u32_e32 v58, v2, v1
	v_add3_u32 v4, v58, v3, v4
	s_nop 1
	v_mov_b32_dpp v58, v4 row_shr:1 row_mask:0xf bank_mask:0xf
	v_cndmask_b32_e64 v58, v58, 0, s[0:1]
	v_add_u32_e32 v4, v58, v4
	s_nop 1
	v_mov_b32_dpp v58, v4 row_shr:2 row_mask:0xf bank_mask:0xf
	v_cndmask_b32_e64 v58, 0, v58, s[2:3]
	v_add_u32_e32 v4, v4, v58
	;; [unrolled: 4-line block ×4, first 2 shown]
	s_nop 1
	v_mov_b32_dpp v58, v4 row_bcast:15 row_mask:0xf bank_mask:0xf
	v_cndmask_b32_e64 v58, v58, 0, s[8:9]
	v_add_u32_e32 v4, v4, v58
	s_nop 1
	v_mov_b32_dpp v58, v4 row_bcast:31 row_mask:0xf bank_mask:0xf
	v_cndmask_b32_e64 v58, 0, v58, s[10:11]
	v_add_u32_e32 v4, v4, v58
	s_and_saveexec_b64 s[24:25], s[12:13]
; %bb.21:                               ;   in Loop: Header=BB158_4 Depth=2
	ds_write_b32 v43, v4
; %bb.22:                               ;   in Loop: Header=BB158_4 Depth=2
	s_or_b64 exec, exec, s[24:25]
	s_waitcnt lgkmcnt(0)
	s_barrier
	s_and_saveexec_b64 s[24:25], s[14:15]
	s_cbranch_execz .LBB158_24
; %bb.23:                               ;   in Loop: Header=BB158_4 Depth=2
	ds_read_b32 v58, v44
	s_waitcnt lgkmcnt(0)
	s_nop 0
	v_mov_b32_dpp v59, v58 row_shr:1 row_mask:0xf bank_mask:0xf
	v_cndmask_b32_e64 v59, v59, 0, s[22:23]
	v_add_u32_e32 v58, v59, v58
	ds_write_b32 v44, v58
.LBB158_24:                             ;   in Loop: Header=BB158_4 Depth=2
	s_or_b64 exec, exec, s[24:25]
	v_mov_b32_e32 v58, 0
	s_waitcnt lgkmcnt(0)
	s_barrier
	s_and_saveexec_b64 s[24:25], s[16:17]
; %bb.25:                               ;   in Loop: Header=BB158_4 Depth=2
	ds_read_b32 v58, v45
; %bb.26:                               ;   in Loop: Header=BB158_4 Depth=2
	s_or_b64 exec, exec, s[24:25]
	s_waitcnt lgkmcnt(0)
	v_add_u32_e32 v4, v58, v4
	ds_bpermute_b32 v4, v42, v4
	v_lshlrev_b32_e32 v5, 3, v5
	s_cmp_gt_u32 s38, 55
	s_mov_b64 s[24:25], -1
	s_waitcnt lgkmcnt(0)
	v_cndmask_b32_e64 v4, v4, v58, s[18:19]
	v_cndmask_b32_e64 v58, v4, 0, s[20:21]
	v_add_u32_e32 v59, v58, v1
	v_add_u32_e32 v1, v59, v2
	;; [unrolled: 1-line block ×3, first 2 shown]
	ds_write2_b64 v41, v[58:59], v[1:2] offset0:1 offset1:2
	s_waitcnt lgkmcnt(0)
	s_barrier
	ds_read_b32 v1, v6 offset:8
	ds_read_b32 v2, v8 offset:8
	;; [unrolled: 1-line block ×8, first 2 shown]
	s_waitcnt lgkmcnt(7)
	v_lshl_add_u32 v48, v1, 3, v5
	v_lshlrev_b32_e32 v1, 3, v9
	v_lshlrev_b32_e32 v5, 3, v7
	s_waitcnt lgkmcnt(6)
	v_lshlrev_b32_e32 v2, 3, v2
	v_add3_u32 v51, v1, v5, v2
	v_lshlrev_b32_e32 v1, 3, v12
	v_lshlrev_b32_e32 v2, 3, v10
	s_waitcnt lgkmcnt(5)
	v_lshlrev_b32_e32 v3, 3, v3
	v_add3_u32 v54, v1, v2, v3
	;; [unrolled: 5-line block ×7, first 2 shown]
                                        ; implicit-def: $vgpr1_vgpr2
                                        ; implicit-def: $vgpr5_vgpr6
                                        ; implicit-def: $vgpr9_vgpr10
                                        ; implicit-def: $vgpr13_vgpr14
	s_cbranch_scc1 .LBB158_3
; %bb.27:                               ;   in Loop: Header=BB158_4 Depth=2
	s_barrier
	ds_write_b64 v48, v[37:38]
	ds_write_b64 v51, v[35:36]
	;; [unrolled: 1-line block ×8, first 2 shown]
	s_waitcnt lgkmcnt(0)
	s_barrier
	ds_read2st64_b64 v[1:4], v40 offset1:1
	ds_read2st64_b64 v[5:8], v40 offset0:2 offset1:3
	ds_read2st64_b64 v[9:12], v40 offset0:4 offset1:5
	;; [unrolled: 1-line block ×3, first 2 shown]
	s_add_i32 s34, s34, -8
	s_add_i32 s33, s33, 8
	s_add_i32 s38, s38, 8
	s_mov_b64 s[24:25], 0
	s_waitcnt lgkmcnt(0)
	s_barrier
	s_branch .LBB158_3
.LBB158_28:
	s_add_u32 s0, s30, s36
	s_addc_u32 s1, s31, s37
	v_lshlrev_b32_e32 v0, 3, v0
	v_mov_b32_e32 v1, s1
	v_add_co_u32_e32 v2, vcc, s0, v0
	v_addc_co_u32_e32 v1, vcc, 0, v1, vcc
	global_store_dwordx2 v0, v[3:4], s[0:1]
	global_store_dwordx2 v0, v[5:6], s[0:1] offset:1024
	global_store_dwordx2 v0, v[7:8], s[0:1] offset:2048
	;; [unrolled: 1-line block ×3, first 2 shown]
	v_add_co_u32_e32 v0, vcc, 0x1000, v2
	v_addc_co_u32_e32 v1, vcc, 0, v1, vcc
	global_store_dwordx2 v[0:1], v[11:12], off
	global_store_dwordx2 v[0:1], v[13:14], off offset:1024
	global_store_dwordx2 v[0:1], v[15:16], off offset:2048
	;; [unrolled: 1-line block ×3, first 2 shown]
	s_endpgm
	.section	.rodata,"a",@progbits
	.p2align	6, 0x0
	.amdhsa_kernel _Z16sort_keys_kernelI22helper_blocked_blockedN15benchmark_utils11custom_typeIiiEELj128ELj8ELj10EEvPKT0_PS4_
		.amdhsa_group_segment_fixed_size 8192
		.amdhsa_private_segment_fixed_size 0
		.amdhsa_kernarg_size 272
		.amdhsa_user_sgpr_count 6
		.amdhsa_user_sgpr_private_segment_buffer 1
		.amdhsa_user_sgpr_dispatch_ptr 0
		.amdhsa_user_sgpr_queue_ptr 0
		.amdhsa_user_sgpr_kernarg_segment_ptr 1
		.amdhsa_user_sgpr_dispatch_id 0
		.amdhsa_user_sgpr_flat_scratch_init 0
		.amdhsa_user_sgpr_private_segment_size 0
		.amdhsa_uses_dynamic_stack 0
		.amdhsa_system_sgpr_private_segment_wavefront_offset 0
		.amdhsa_system_sgpr_workgroup_id_x 1
		.amdhsa_system_sgpr_workgroup_id_y 0
		.amdhsa_system_sgpr_workgroup_id_z 0
		.amdhsa_system_sgpr_workgroup_info 0
		.amdhsa_system_vgpr_workitem_id 2
		.amdhsa_next_free_vgpr 60
		.amdhsa_next_free_sgpr 98
		.amdhsa_reserve_vcc 1
		.amdhsa_reserve_flat_scratch 0
		.amdhsa_float_round_mode_32 0
		.amdhsa_float_round_mode_16_64 0
		.amdhsa_float_denorm_mode_32 3
		.amdhsa_float_denorm_mode_16_64 3
		.amdhsa_dx10_clamp 1
		.amdhsa_ieee_mode 1
		.amdhsa_fp16_overflow 0
		.amdhsa_exception_fp_ieee_invalid_op 0
		.amdhsa_exception_fp_denorm_src 0
		.amdhsa_exception_fp_ieee_div_zero 0
		.amdhsa_exception_fp_ieee_overflow 0
		.amdhsa_exception_fp_ieee_underflow 0
		.amdhsa_exception_fp_ieee_inexact 0
		.amdhsa_exception_int_div_zero 0
	.end_amdhsa_kernel
	.section	.text._Z16sort_keys_kernelI22helper_blocked_blockedN15benchmark_utils11custom_typeIiiEELj128ELj8ELj10EEvPKT0_PS4_,"axG",@progbits,_Z16sort_keys_kernelI22helper_blocked_blockedN15benchmark_utils11custom_typeIiiEELj128ELj8ELj10EEvPKT0_PS4_,comdat
.Lfunc_end158:
	.size	_Z16sort_keys_kernelI22helper_blocked_blockedN15benchmark_utils11custom_typeIiiEELj128ELj8ELj10EEvPKT0_PS4_, .Lfunc_end158-_Z16sort_keys_kernelI22helper_blocked_blockedN15benchmark_utils11custom_typeIiiEELj128ELj8ELj10EEvPKT0_PS4_
                                        ; -- End function
	.set _Z16sort_keys_kernelI22helper_blocked_blockedN15benchmark_utils11custom_typeIiiEELj128ELj8ELj10EEvPKT0_PS4_.num_vgpr, 60
	.set _Z16sort_keys_kernelI22helper_blocked_blockedN15benchmark_utils11custom_typeIiiEELj128ELj8ELj10EEvPKT0_PS4_.num_agpr, 0
	.set _Z16sort_keys_kernelI22helper_blocked_blockedN15benchmark_utils11custom_typeIiiEELj128ELj8ELj10EEvPKT0_PS4_.numbered_sgpr, 43
	.set _Z16sort_keys_kernelI22helper_blocked_blockedN15benchmark_utils11custom_typeIiiEELj128ELj8ELj10EEvPKT0_PS4_.num_named_barrier, 0
	.set _Z16sort_keys_kernelI22helper_blocked_blockedN15benchmark_utils11custom_typeIiiEELj128ELj8ELj10EEvPKT0_PS4_.private_seg_size, 0
	.set _Z16sort_keys_kernelI22helper_blocked_blockedN15benchmark_utils11custom_typeIiiEELj128ELj8ELj10EEvPKT0_PS4_.uses_vcc, 1
	.set _Z16sort_keys_kernelI22helper_blocked_blockedN15benchmark_utils11custom_typeIiiEELj128ELj8ELj10EEvPKT0_PS4_.uses_flat_scratch, 0
	.set _Z16sort_keys_kernelI22helper_blocked_blockedN15benchmark_utils11custom_typeIiiEELj128ELj8ELj10EEvPKT0_PS4_.has_dyn_sized_stack, 0
	.set _Z16sort_keys_kernelI22helper_blocked_blockedN15benchmark_utils11custom_typeIiiEELj128ELj8ELj10EEvPKT0_PS4_.has_recursion, 0
	.set _Z16sort_keys_kernelI22helper_blocked_blockedN15benchmark_utils11custom_typeIiiEELj128ELj8ELj10EEvPKT0_PS4_.has_indirect_call, 0
	.section	.AMDGPU.csdata,"",@progbits
; Kernel info:
; codeLenInByte = 5320
; TotalNumSgprs: 47
; NumVgprs: 60
; ScratchSize: 0
; MemoryBound: 0
; FloatMode: 240
; IeeeMode: 1
; LDSByteSize: 8192 bytes/workgroup (compile time only)
; SGPRBlocks: 12
; VGPRBlocks: 14
; NumSGPRsForWavesPerEU: 102
; NumVGPRsForWavesPerEU: 60
; Occupancy: 4
; WaveLimiterHint : 1
; COMPUTE_PGM_RSRC2:SCRATCH_EN: 0
; COMPUTE_PGM_RSRC2:USER_SGPR: 6
; COMPUTE_PGM_RSRC2:TRAP_HANDLER: 0
; COMPUTE_PGM_RSRC2:TGID_X_EN: 1
; COMPUTE_PGM_RSRC2:TGID_Y_EN: 0
; COMPUTE_PGM_RSRC2:TGID_Z_EN: 0
; COMPUTE_PGM_RSRC2:TIDIG_COMP_CNT: 2
	.section	.text._Z17sort_pairs_kernelI22helper_blocked_blockedN15benchmark_utils11custom_typeIiiEELj128ELj8ELj10EEvPKT0_PS4_,"axG",@progbits,_Z17sort_pairs_kernelI22helper_blocked_blockedN15benchmark_utils11custom_typeIiiEELj128ELj8ELj10EEvPKT0_PS4_,comdat
	.protected	_Z17sort_pairs_kernelI22helper_blocked_blockedN15benchmark_utils11custom_typeIiiEELj128ELj8ELj10EEvPKT0_PS4_ ; -- Begin function _Z17sort_pairs_kernelI22helper_blocked_blockedN15benchmark_utils11custom_typeIiiEELj128ELj8ELj10EEvPKT0_PS4_
	.globl	_Z17sort_pairs_kernelI22helper_blocked_blockedN15benchmark_utils11custom_typeIiiEELj128ELj8ELj10EEvPKT0_PS4_
	.p2align	8
	.type	_Z17sort_pairs_kernelI22helper_blocked_blockedN15benchmark_utils11custom_typeIiiEELj128ELj8ELj10EEvPKT0_PS4_,@function
_Z17sort_pairs_kernelI22helper_blocked_blockedN15benchmark_utils11custom_typeIiiEELj128ELj8ELj10EEvPKT0_PS4_: ; @_Z17sort_pairs_kernelI22helper_blocked_blockedN15benchmark_utils11custom_typeIiiEELj128ELj8ELj10EEvPKT0_PS4_
; %bb.0:
	s_load_dwordx4 s[28:31], s[4:5], 0x0
	s_load_dword s24, s[4:5], 0x1c
	s_lshl_b32 s36, s6, 10
	s_mov_b32 s37, 0
	s_lshl_b64 s[34:35], s[36:37], 3
	s_waitcnt lgkmcnt(0)
	s_add_u32 s0, s28, s34
	s_addc_u32 s1, s29, s35
	v_lshlrev_b32_e32 v11, 3, v0
	v_mov_b32_e32 v3, s1
	v_add_co_u32_e32 v12, vcc, s0, v11
	v_addc_co_u32_e32 v14, vcc, 0, v3, vcc
	global_load_dwordx2 v[3:4], v11, s[0:1]
	global_load_dwordx2 v[5:6], v11, s[0:1] offset:1024
	global_load_dwordx2 v[7:8], v11, s[0:1] offset:2048
	global_load_dwordx2 v[9:10], v11, s[0:1] offset:3072
	s_movk_i32 s0, 0x1000
	v_add_co_u32_e32 v13, vcc, s0, v12
	v_addc_co_u32_e32 v14, vcc, 0, v14, vcc
	global_load_dwordx2 v[11:12], v[13:14], off
	global_load_dwordx2 v[29:30], v[13:14], off offset:1024
	global_load_dwordx2 v[31:32], v[13:14], off offset:2048
	;; [unrolled: 1-line block ×3, first 2 shown]
	v_mbcnt_lo_u32_b32 v13, -1, 0
	v_mbcnt_hi_u32_b32 v13, -1, v13
	s_lshr_b32 s25, s24, 16
	v_lshlrev_b32_e32 v15, 6, v0
	v_subrev_co_u32_e64 v20, s[8:9], 1, v13
	v_and_b32_e32 v21, 64, v13
	s_and_b32 s24, s24, 0xffff
	v_mad_u32_u24 v1, v2, s25, v1
	v_and_b32_e32 v14, 64, v0
	v_lshlrev_b32_e32 v67, 4, v0
	v_lshrrev_b32_e32 v16, 4, v0
	v_and_b32_e32 v15, 0x1000, v15
	v_cmp_lt_i32_e32 vcc, v20, v21
	v_mad_u32_u24 v1, v1, s24, v0
	v_mul_u32_u24_e32 v17, 60, v0
	v_add_lshl_u32 v68, v13, v14, 6
	v_and_b32_e32 v18, 15, v13
	v_and_b32_e32 v19, 16, v13
	v_cmp_lt_u32_e64 s[6:7], 31, v13
	v_or_b32_e32 v14, 63, v14
	v_and_b32_e32 v69, 4, v16
	v_mad_i32_i24 v70, v0, -12, v67
	v_and_b32_e32 v16, 1, v13
	v_lshl_or_b32 v71, v13, 3, v15
	v_cndmask_b32_e32 v13, v20, v13, vcc
	v_lshrrev_b32_e32 v1, 4, v1
	v_mov_b32_e32 v33, 0
	v_cmp_gt_u32_e64 s[0:1], 2, v0
	v_cmp_lt_u32_e64 s[2:3], 63, v0
	v_cmp_eq_u32_e64 s[4:5], 0, v0
	s_mov_b32 s38, s37
	s_mov_b32 s39, s37
	;; [unrolled: 1-line block ×3, first 2 shown]
	v_cmp_eq_u32_e64 s[10:11], 0, v18
	v_cmp_lt_u32_e64 s[12:13], 1, v18
	v_cmp_lt_u32_e64 s[14:15], 3, v18
	;; [unrolled: 1-line block ×3, first 2 shown]
	v_cmp_eq_u32_e64 s[18:19], 0, v19
	v_cmp_eq_u32_e64 s[20:21], v0, v14
	v_cmp_eq_u32_e64 s[22:23], 0, v16
	v_add_u32_e32 v72, -4, v69
	v_add_u32_e32 v73, v70, v17
	v_lshlrev_b32_e32 v74, 2, v13
	v_and_b32_e32 v75, 0xffffffc, v1
	s_mov_b32 s33, s37
	s_waitcnt vmcnt(7)
	v_add_u32_e32 v26, 1, v4
	v_add_u32_e32 v25, 1, v3
	s_waitcnt vmcnt(6)
	v_add_u32_e32 v28, 1, v6
	v_add_u32_e32 v27, 1, v5
	;; [unrolled: 3-line block ×8, first 2 shown]
	s_branch .LBB159_2
.LBB159_1:                              ;   in Loop: Header=BB159_2 Depth=1
	s_barrier
	ds_write_b64 v34, v[65:66]
	ds_write_b64 v76, v[63:64]
	;; [unrolled: 1-line block ×8, first 2 shown]
	s_waitcnt lgkmcnt(0)
	s_barrier
	ds_read2_b64 v[3:6], v73 offset1:1
	ds_read2_b64 v[7:10], v73 offset0:2 offset1:3
	ds_read2_b64 v[29:32], v73 offset0:4 offset1:5
	ds_read2_b64 v[51:54], v73 offset0:6 offset1:7
	s_waitcnt lgkmcnt(0)
	s_barrier
	ds_write_b64 v34, v[49:50]
	ds_write_b64 v76, v[47:48]
	;; [unrolled: 1-line block ×8, first 2 shown]
	s_waitcnt lgkmcnt(0)
	s_barrier
	ds_read2_b64 v[25:28], v73 offset1:1
	ds_read2_b64 v[21:24], v73 offset0:2 offset1:3
	ds_read2_b64 v[17:20], v73 offset0:4 offset1:5
	;; [unrolled: 1-line block ×3, first 2 shown]
	s_add_i32 s33, s33, 1
	v_xor_b32_e32 v3, 0x80000000, v3
	v_xor_b32_e32 v4, 0x80000000, v4
	;; [unrolled: 1-line block ×15, first 2 shown]
	s_cmp_lg_u32 s33, 10
	v_xor_b32_e32 v35, 0x80000000, v54
	s_cbranch_scc0 .LBB159_28
.LBB159_2:                              ; =>This Loop Header: Depth=1
                                        ;     Child Loop BB159_4 Depth 2
	v_xor_b32_e32 v2, 0x80000000, v4
	v_xor_b32_e32 v1, 0x80000000, v3
	;; [unrolled: 1-line block ×16, first 2 shown]
	ds_write2_b64 v68, v[1:2], v[3:4] offset1:1
	ds_write2_b64 v68, v[5:6], v[7:8] offset0:2 offset1:3
	ds_write2_b64 v68, v[9:10], v[11:12] offset0:4 offset1:5
	ds_write2_b64 v68, v[29:30], v[31:32] offset0:6 offset1:7
	; wave barrier
	ds_read2st64_b64 v[1:4], v71 offset1:1
	ds_read2st64_b64 v[5:8], v71 offset0:2 offset1:3
	ds_read2st64_b64 v[9:12], v71 offset0:4 offset1:5
	;; [unrolled: 1-line block ×3, first 2 shown]
	; wave barrier
	s_waitcnt lgkmcnt(11)
	ds_write2_b64 v68, v[25:26], v[27:28] offset1:1
	s_waitcnt lgkmcnt(11)
	ds_write2_b64 v68, v[21:22], v[23:24] offset0:2 offset1:3
	s_waitcnt lgkmcnt(11)
	ds_write2_b64 v68, v[17:18], v[19:20] offset0:4 offset1:5
	;; [unrolled: 2-line block ×3, first 2 shown]
	; wave barrier
	ds_read2st64_b64 v[13:16], v71 offset1:1
	ds_read2st64_b64 v[17:20], v71 offset0:2 offset1:3
	ds_read2st64_b64 v[21:24], v71 offset0:4 offset1:5
	;; [unrolled: 1-line block ×3, first 2 shown]
	s_mov_b32 s40, 8
	s_mov_b32 s41, 32
	s_mov_b32 s42, 0
	s_waitcnt lgkmcnt(0)
	s_barrier
	s_branch .LBB159_4
.LBB159_3:                              ;   in Loop: Header=BB159_4 Depth=2
	s_andn2_b64 vcc, exec, s[24:25]
	s_cbranch_vccz .LBB159_1
.LBB159_4:                              ;   Parent Loop BB159_2 Depth=1
                                        ; =>  This Inner Loop Header: Depth=2
	s_min_i32 s26, s40, 32
	s_cmp_lt_u32 s42, 32
	s_cselect_b64 s[24:25], -1, 0
	s_cmp_gt_u32 s42, 31
	s_cselect_b64 vcc, -1, 0
	s_sub_i32 s26, s26, 32
	s_add_i32 s27, s26, s41
	s_lshl_b32 s27, -1, s27
	s_not_b32 s27, s27
	s_cmp_lg_u32 s26, s42
	s_cselect_b32 s44, s27, -1
	s_max_i32 s43, s41, 0
	s_max_i32 s26, s42, 32
	s_sub_i32 s45, s26, 32
	s_sub_i32 s26, s26, s43
	;; [unrolled: 1-line block ×3, first 2 shown]
	s_min_i32 s26, s26, 32
	s_sub_i32 s26, s26, s45
	v_mov_b32_e32 v66, v2
	v_mov_b32_e32 v64, v4
	s_lshl_b32 s27, -1, s26
	v_mov_b32_e32 v65, v1
	v_mov_b32_e32 v63, v3
	;; [unrolled: 1-line block ×4, first 2 shown]
	s_not_b32 s27, s27
	v_mov_b32_e32 v2, s37
	v_mov_b32_e32 v4, s39
	s_cmp_lg_u32 s26, 32
	ds_write2_b64 v67, v[1:2], v[3:4] offset0:1 offset1:2
	s_cselect_b32 s46, s27, -1
	v_lshrrev_b32_e32 v2, s45, v65
	v_lshrrev_b32_e32 v1, s42, v66
	v_and_b32_e32 v2, s46, v2
	v_and_b32_e32 v1, s44, v1
	v_lshlrev_b32_e32 v2, s43, v2
	v_cndmask_b32_e64 v1, 0, v1, s[24:25]
	v_cndmask_b32_e32 v2, 0, v2, vcc
	v_or_b32_e32 v1, v1, v2
	v_and_b32_e32 v2, 1, v1
	v_mov_b32_e32 v62, v6
	v_add_co_u32_e64 v4, s[26:27], -1, v2
	v_mov_b32_e32 v61, v5
	v_addc_co_u32_e64 v5, s[26:27], 0, -1, s[26:27]
	v_cmp_ne_u32_e64 s[26:27], 0, v2
	v_lshlrev_b32_e32 v34, 30, v1
	v_xor_b32_e32 v2, s27, v5
	v_xor_b32_e32 v4, s26, v4
	v_cmp_gt_i64_e64 s[26:27], 0, v[33:34]
	v_not_b32_e32 v5, v34
	v_ashrrev_i32_e32 v5, 31, v5
	v_and_b32_e32 v4, exec_lo, v4
	v_xor_b32_e32 v6, s27, v5
	v_xor_b32_e32 v5, s26, v5
	v_lshlrev_b32_e32 v34, 29, v1
	v_and_b32_e32 v4, v4, v5
	v_cmp_gt_i64_e64 s[26:27], 0, v[33:34]
	v_not_b32_e32 v5, v34
	v_and_b32_e32 v2, exec_hi, v2
	v_ashrrev_i32_e32 v5, 31, v5
	v_and_b32_e32 v2, v2, v6
	v_xor_b32_e32 v6, s27, v5
	v_xor_b32_e32 v5, s26, v5
	v_lshlrev_b32_e32 v34, 28, v1
	v_and_b32_e32 v4, v4, v5
	v_cmp_gt_i64_e64 s[26:27], 0, v[33:34]
	v_not_b32_e32 v5, v34
	v_ashrrev_i32_e32 v5, 31, v5
	v_and_b32_e32 v2, v2, v6
	v_xor_b32_e32 v6, s27, v5
	v_xor_b32_e32 v5, s26, v5
	v_lshlrev_b32_e32 v34, 27, v1
	v_and_b32_e32 v4, v4, v5
	v_cmp_gt_i64_e64 s[26:27], 0, v[33:34]
	v_not_b32_e32 v5, v34
	;; [unrolled: 8-line block ×4, first 2 shown]
	v_ashrrev_i32_e32 v5, 31, v5
	v_lshlrev_b32_e32 v34, 24, v1
	v_lshlrev_b32_e32 v3, 3, v1
	v_and_b32_e32 v2, v2, v6
	v_xor_b32_e32 v6, s27, v5
	v_xor_b32_e32 v5, s26, v5
	v_cmp_gt_i64_e64 s[26:27], 0, v[33:34]
	v_not_b32_e32 v1, v34
	v_ashrrev_i32_e32 v1, 31, v1
	v_and_b32_e32 v4, v4, v5
	v_xor_b32_e32 v5, s27, v1
	v_xor_b32_e32 v1, s26, v1
	v_and_b32_e32 v2, v2, v6
	v_and_b32_e32 v1, v4, v1
	;; [unrolled: 1-line block ×3, first 2 shown]
	v_mbcnt_lo_u32_b32 v4, v1, 0
	v_mbcnt_hi_u32_b32 v5, v2, v4
	v_cmp_ne_u64_e64 s[26:27], 0, v[1:2]
	v_mov_b32_e32 v50, v14
	v_mov_b32_e32 v48, v16
	;; [unrolled: 1-line block ×13, first 2 shown]
	v_cmp_eq_u32_e64 s[28:29], 0, v5
	v_mov_b32_e32 v49, v13
	v_mov_b32_e32 v47, v15
	;; [unrolled: 1-line block ×13, first 2 shown]
	s_and_b64 s[28:29], s[28:29], s[26:27]
	v_add_u32_e32 v6, v75, v3
	s_waitcnt lgkmcnt(0)
	s_barrier
	; wave barrier
	s_and_saveexec_b64 s[26:27], s[28:29]
; %bb.5:                                ;   in Loop: Header=BB159_4 Depth=2
	v_bcnt_u32_b32 v1, v1, 0
	v_bcnt_u32_b32 v1, v2, v1
	ds_write_b32 v6, v1 offset:8
; %bb.6:                                ;   in Loop: Header=BB159_4 Depth=2
	s_or_b64 exec, exec, s[26:27]
	v_lshrrev_b32_e32 v2, s45, v63
	v_lshrrev_b32_e32 v1, s42, v64
	v_and_b32_e32 v2, s46, v2
	v_and_b32_e32 v1, s44, v1
	v_lshlrev_b32_e32 v2, s43, v2
	v_cndmask_b32_e64 v1, 0, v1, s[24:25]
	v_cndmask_b32_e32 v2, 0, v2, vcc
	v_or_b32_e32 v1, v1, v2
	v_lshlrev_b32_e32 v2, 3, v1
	v_add_u32_e32 v8, v75, v2
	v_and_b32_e32 v2, 1, v1
	v_add_co_u32_e64 v3, s[26:27], -1, v2
	v_addc_co_u32_e64 v4, s[26:27], 0, -1, s[26:27]
	v_cmp_ne_u32_e64 s[26:27], 0, v2
	v_lshlrev_b32_e32 v34, 30, v1
	v_xor_b32_e32 v2, s27, v4
	v_xor_b32_e32 v3, s26, v3
	v_cmp_gt_i64_e64 s[26:27], 0, v[33:34]
	v_not_b32_e32 v4, v34
	v_ashrrev_i32_e32 v4, 31, v4
	v_and_b32_e32 v3, exec_lo, v3
	v_xor_b32_e32 v9, s27, v4
	v_xor_b32_e32 v4, s26, v4
	v_lshlrev_b32_e32 v34, 29, v1
	v_and_b32_e32 v3, v3, v4
	v_cmp_gt_i64_e64 s[26:27], 0, v[33:34]
	v_not_b32_e32 v4, v34
	v_and_b32_e32 v2, exec_hi, v2
	v_ashrrev_i32_e32 v4, 31, v4
	v_and_b32_e32 v2, v2, v9
	v_xor_b32_e32 v9, s27, v4
	v_xor_b32_e32 v4, s26, v4
	v_lshlrev_b32_e32 v34, 28, v1
	v_and_b32_e32 v3, v3, v4
	v_cmp_gt_i64_e64 s[26:27], 0, v[33:34]
	v_not_b32_e32 v4, v34
	v_ashrrev_i32_e32 v4, 31, v4
	v_and_b32_e32 v2, v2, v9
	v_xor_b32_e32 v9, s27, v4
	v_xor_b32_e32 v4, s26, v4
	v_lshlrev_b32_e32 v34, 27, v1
	v_and_b32_e32 v3, v3, v4
	v_cmp_gt_i64_e64 s[26:27], 0, v[33:34]
	v_not_b32_e32 v4, v34
	;; [unrolled: 8-line block ×4, first 2 shown]
	v_ashrrev_i32_e32 v4, 31, v4
	v_lshlrev_b32_e32 v34, 24, v1
	v_and_b32_e32 v2, v2, v9
	v_xor_b32_e32 v9, s27, v4
	v_xor_b32_e32 v4, s26, v4
	v_cmp_gt_i64_e64 s[26:27], 0, v[33:34]
	v_not_b32_e32 v1, v34
	v_ashrrev_i32_e32 v1, 31, v1
	v_and_b32_e32 v3, v3, v4
	v_xor_b32_e32 v4, s27, v1
	v_xor_b32_e32 v1, s26, v1
	; wave barrier
	ds_read_b32 v7, v8 offset:8
	v_and_b32_e32 v2, v2, v9
	v_and_b32_e32 v1, v3, v1
	;; [unrolled: 1-line block ×3, first 2 shown]
	v_mbcnt_lo_u32_b32 v3, v1, 0
	v_mbcnt_hi_u32_b32 v9, v2, v3
	v_cmp_ne_u64_e64 s[26:27], 0, v[1:2]
	v_cmp_eq_u32_e64 s[28:29], 0, v9
	s_and_b64 s[28:29], s[28:29], s[26:27]
	; wave barrier
	s_and_saveexec_b64 s[26:27], s[28:29]
	s_cbranch_execz .LBB159_8
; %bb.7:                                ;   in Loop: Header=BB159_4 Depth=2
	v_bcnt_u32_b32 v1, v1, 0
	v_bcnt_u32_b32 v1, v2, v1
	s_waitcnt lgkmcnt(0)
	v_add_u32_e32 v1, v7, v1
	ds_write_b32 v8, v1 offset:8
.LBB159_8:                              ;   in Loop: Header=BB159_4 Depth=2
	s_or_b64 exec, exec, s[26:27]
	v_lshrrev_b32_e32 v2, s45, v61
	v_lshrrev_b32_e32 v1, s42, v62
	v_and_b32_e32 v2, s46, v2
	v_and_b32_e32 v1, s44, v1
	v_lshlrev_b32_e32 v2, s43, v2
	v_cndmask_b32_e64 v1, 0, v1, s[24:25]
	v_cndmask_b32_e32 v2, 0, v2, vcc
	v_or_b32_e32 v1, v1, v2
	v_lshlrev_b32_e32 v2, 3, v1
	v_add_u32_e32 v11, v75, v2
	v_and_b32_e32 v2, 1, v1
	v_add_co_u32_e64 v3, s[26:27], -1, v2
	v_addc_co_u32_e64 v4, s[26:27], 0, -1, s[26:27]
	v_cmp_ne_u32_e64 s[26:27], 0, v2
	v_lshlrev_b32_e32 v34, 30, v1
	v_xor_b32_e32 v2, s27, v4
	v_xor_b32_e32 v3, s26, v3
	v_cmp_gt_i64_e64 s[26:27], 0, v[33:34]
	v_not_b32_e32 v4, v34
	v_ashrrev_i32_e32 v4, 31, v4
	v_and_b32_e32 v3, exec_lo, v3
	v_xor_b32_e32 v12, s27, v4
	v_xor_b32_e32 v4, s26, v4
	v_lshlrev_b32_e32 v34, 29, v1
	v_and_b32_e32 v3, v3, v4
	v_cmp_gt_i64_e64 s[26:27], 0, v[33:34]
	v_not_b32_e32 v4, v34
	v_and_b32_e32 v2, exec_hi, v2
	v_ashrrev_i32_e32 v4, 31, v4
	v_and_b32_e32 v2, v2, v12
	v_xor_b32_e32 v12, s27, v4
	v_xor_b32_e32 v4, s26, v4
	v_lshlrev_b32_e32 v34, 28, v1
	v_and_b32_e32 v3, v3, v4
	v_cmp_gt_i64_e64 s[26:27], 0, v[33:34]
	v_not_b32_e32 v4, v34
	v_ashrrev_i32_e32 v4, 31, v4
	v_and_b32_e32 v2, v2, v12
	v_xor_b32_e32 v12, s27, v4
	v_xor_b32_e32 v4, s26, v4
	v_lshlrev_b32_e32 v34, 27, v1
	v_and_b32_e32 v3, v3, v4
	v_cmp_gt_i64_e64 s[26:27], 0, v[33:34]
	v_not_b32_e32 v4, v34
	;; [unrolled: 8-line block ×4, first 2 shown]
	v_ashrrev_i32_e32 v4, 31, v4
	v_lshlrev_b32_e32 v34, 24, v1
	v_and_b32_e32 v2, v2, v12
	v_xor_b32_e32 v12, s27, v4
	v_xor_b32_e32 v4, s26, v4
	v_cmp_gt_i64_e64 s[26:27], 0, v[33:34]
	v_not_b32_e32 v1, v34
	v_ashrrev_i32_e32 v1, 31, v1
	v_and_b32_e32 v3, v3, v4
	v_xor_b32_e32 v4, s27, v1
	v_xor_b32_e32 v1, s26, v1
	; wave barrier
	ds_read_b32 v10, v11 offset:8
	v_and_b32_e32 v2, v2, v12
	v_and_b32_e32 v1, v3, v1
	v_and_b32_e32 v2, v2, v4
	v_mbcnt_lo_u32_b32 v3, v1, 0
	v_mbcnt_hi_u32_b32 v12, v2, v3
	v_cmp_ne_u64_e64 s[26:27], 0, v[1:2]
	v_cmp_eq_u32_e64 s[28:29], 0, v12
	s_and_b64 s[28:29], s[28:29], s[26:27]
	; wave barrier
	s_and_saveexec_b64 s[26:27], s[28:29]
	s_cbranch_execz .LBB159_10
; %bb.9:                                ;   in Loop: Header=BB159_4 Depth=2
	v_bcnt_u32_b32 v1, v1, 0
	v_bcnt_u32_b32 v1, v2, v1
	s_waitcnt lgkmcnt(0)
	v_add_u32_e32 v1, v10, v1
	ds_write_b32 v11, v1 offset:8
.LBB159_10:                             ;   in Loop: Header=BB159_4 Depth=2
	s_or_b64 exec, exec, s[26:27]
	v_lshrrev_b32_e32 v2, s45, v59
	v_lshrrev_b32_e32 v1, s42, v60
	v_and_b32_e32 v2, s46, v2
	v_and_b32_e32 v1, s44, v1
	v_lshlrev_b32_e32 v2, s43, v2
	v_cndmask_b32_e64 v1, 0, v1, s[24:25]
	v_cndmask_b32_e32 v2, 0, v2, vcc
	v_or_b32_e32 v1, v1, v2
	v_lshlrev_b32_e32 v2, 3, v1
	v_add_u32_e32 v14, v75, v2
	v_and_b32_e32 v2, 1, v1
	v_add_co_u32_e64 v3, s[26:27], -1, v2
	v_addc_co_u32_e64 v4, s[26:27], 0, -1, s[26:27]
	v_cmp_ne_u32_e64 s[26:27], 0, v2
	v_lshlrev_b32_e32 v34, 30, v1
	v_xor_b32_e32 v2, s27, v4
	v_xor_b32_e32 v3, s26, v3
	v_cmp_gt_i64_e64 s[26:27], 0, v[33:34]
	v_not_b32_e32 v4, v34
	v_ashrrev_i32_e32 v4, 31, v4
	v_and_b32_e32 v3, exec_lo, v3
	v_xor_b32_e32 v15, s27, v4
	v_xor_b32_e32 v4, s26, v4
	v_lshlrev_b32_e32 v34, 29, v1
	v_and_b32_e32 v3, v3, v4
	v_cmp_gt_i64_e64 s[26:27], 0, v[33:34]
	v_not_b32_e32 v4, v34
	v_and_b32_e32 v2, exec_hi, v2
	v_ashrrev_i32_e32 v4, 31, v4
	v_and_b32_e32 v2, v2, v15
	v_xor_b32_e32 v15, s27, v4
	v_xor_b32_e32 v4, s26, v4
	v_lshlrev_b32_e32 v34, 28, v1
	v_and_b32_e32 v3, v3, v4
	v_cmp_gt_i64_e64 s[26:27], 0, v[33:34]
	v_not_b32_e32 v4, v34
	v_ashrrev_i32_e32 v4, 31, v4
	v_and_b32_e32 v2, v2, v15
	v_xor_b32_e32 v15, s27, v4
	v_xor_b32_e32 v4, s26, v4
	v_lshlrev_b32_e32 v34, 27, v1
	v_and_b32_e32 v3, v3, v4
	v_cmp_gt_i64_e64 s[26:27], 0, v[33:34]
	v_not_b32_e32 v4, v34
	;; [unrolled: 8-line block ×4, first 2 shown]
	v_ashrrev_i32_e32 v4, 31, v4
	v_lshlrev_b32_e32 v34, 24, v1
	v_and_b32_e32 v2, v2, v15
	v_xor_b32_e32 v15, s27, v4
	v_xor_b32_e32 v4, s26, v4
	v_cmp_gt_i64_e64 s[26:27], 0, v[33:34]
	v_not_b32_e32 v1, v34
	v_ashrrev_i32_e32 v1, 31, v1
	v_and_b32_e32 v3, v3, v4
	v_xor_b32_e32 v4, s27, v1
	v_xor_b32_e32 v1, s26, v1
	; wave barrier
	ds_read_b32 v13, v14 offset:8
	v_and_b32_e32 v2, v2, v15
	v_and_b32_e32 v1, v3, v1
	;; [unrolled: 1-line block ×3, first 2 shown]
	v_mbcnt_lo_u32_b32 v3, v1, 0
	v_mbcnt_hi_u32_b32 v15, v2, v3
	v_cmp_ne_u64_e64 s[26:27], 0, v[1:2]
	v_cmp_eq_u32_e64 s[28:29], 0, v15
	s_and_b64 s[28:29], s[28:29], s[26:27]
	; wave barrier
	s_and_saveexec_b64 s[26:27], s[28:29]
	s_cbranch_execz .LBB159_12
; %bb.11:                               ;   in Loop: Header=BB159_4 Depth=2
	v_bcnt_u32_b32 v1, v1, 0
	v_bcnt_u32_b32 v1, v2, v1
	s_waitcnt lgkmcnt(0)
	v_add_u32_e32 v1, v13, v1
	ds_write_b32 v14, v1 offset:8
.LBB159_12:                             ;   in Loop: Header=BB159_4 Depth=2
	s_or_b64 exec, exec, s[26:27]
	v_lshrrev_b32_e32 v2, s45, v57
	v_lshrrev_b32_e32 v1, s42, v58
	v_and_b32_e32 v2, s46, v2
	v_and_b32_e32 v1, s44, v1
	v_lshlrev_b32_e32 v2, s43, v2
	v_cndmask_b32_e64 v1, 0, v1, s[24:25]
	v_cndmask_b32_e32 v2, 0, v2, vcc
	v_or_b32_e32 v1, v1, v2
	v_lshlrev_b32_e32 v2, 3, v1
	v_add_u32_e32 v17, v75, v2
	v_and_b32_e32 v2, 1, v1
	v_add_co_u32_e64 v3, s[26:27], -1, v2
	v_addc_co_u32_e64 v4, s[26:27], 0, -1, s[26:27]
	v_cmp_ne_u32_e64 s[26:27], 0, v2
	v_lshlrev_b32_e32 v34, 30, v1
	v_xor_b32_e32 v2, s27, v4
	v_xor_b32_e32 v3, s26, v3
	v_cmp_gt_i64_e64 s[26:27], 0, v[33:34]
	v_not_b32_e32 v4, v34
	v_ashrrev_i32_e32 v4, 31, v4
	v_and_b32_e32 v3, exec_lo, v3
	v_xor_b32_e32 v18, s27, v4
	v_xor_b32_e32 v4, s26, v4
	v_lshlrev_b32_e32 v34, 29, v1
	v_and_b32_e32 v3, v3, v4
	v_cmp_gt_i64_e64 s[26:27], 0, v[33:34]
	v_not_b32_e32 v4, v34
	v_and_b32_e32 v2, exec_hi, v2
	v_ashrrev_i32_e32 v4, 31, v4
	v_and_b32_e32 v2, v2, v18
	v_xor_b32_e32 v18, s27, v4
	v_xor_b32_e32 v4, s26, v4
	v_lshlrev_b32_e32 v34, 28, v1
	v_and_b32_e32 v3, v3, v4
	v_cmp_gt_i64_e64 s[26:27], 0, v[33:34]
	v_not_b32_e32 v4, v34
	v_ashrrev_i32_e32 v4, 31, v4
	v_and_b32_e32 v2, v2, v18
	v_xor_b32_e32 v18, s27, v4
	v_xor_b32_e32 v4, s26, v4
	v_lshlrev_b32_e32 v34, 27, v1
	v_and_b32_e32 v3, v3, v4
	v_cmp_gt_i64_e64 s[26:27], 0, v[33:34]
	v_not_b32_e32 v4, v34
	;; [unrolled: 8-line block ×4, first 2 shown]
	v_ashrrev_i32_e32 v4, 31, v4
	v_lshlrev_b32_e32 v34, 24, v1
	v_and_b32_e32 v2, v2, v18
	v_xor_b32_e32 v18, s27, v4
	v_xor_b32_e32 v4, s26, v4
	v_cmp_gt_i64_e64 s[26:27], 0, v[33:34]
	v_not_b32_e32 v1, v34
	v_ashrrev_i32_e32 v1, 31, v1
	v_and_b32_e32 v3, v3, v4
	v_xor_b32_e32 v4, s27, v1
	v_xor_b32_e32 v1, s26, v1
	; wave barrier
	ds_read_b32 v16, v17 offset:8
	v_and_b32_e32 v2, v2, v18
	v_and_b32_e32 v1, v3, v1
	v_and_b32_e32 v2, v2, v4
	v_mbcnt_lo_u32_b32 v3, v1, 0
	v_mbcnt_hi_u32_b32 v18, v2, v3
	v_cmp_ne_u64_e64 s[26:27], 0, v[1:2]
	v_cmp_eq_u32_e64 s[28:29], 0, v18
	s_and_b64 s[28:29], s[28:29], s[26:27]
	; wave barrier
	s_and_saveexec_b64 s[26:27], s[28:29]
	s_cbranch_execz .LBB159_14
; %bb.13:                               ;   in Loop: Header=BB159_4 Depth=2
	v_bcnt_u32_b32 v1, v1, 0
	v_bcnt_u32_b32 v1, v2, v1
	s_waitcnt lgkmcnt(0)
	v_add_u32_e32 v1, v16, v1
	ds_write_b32 v17, v1 offset:8
.LBB159_14:                             ;   in Loop: Header=BB159_4 Depth=2
	s_or_b64 exec, exec, s[26:27]
	v_lshrrev_b32_e32 v2, s45, v55
	v_lshrrev_b32_e32 v1, s42, v56
	v_and_b32_e32 v2, s46, v2
	v_and_b32_e32 v1, s44, v1
	v_lshlrev_b32_e32 v2, s43, v2
	v_cndmask_b32_e64 v1, 0, v1, s[24:25]
	v_cndmask_b32_e32 v2, 0, v2, vcc
	v_or_b32_e32 v1, v1, v2
	v_lshlrev_b32_e32 v2, 3, v1
	v_add_u32_e32 v20, v75, v2
	v_and_b32_e32 v2, 1, v1
	v_add_co_u32_e64 v3, s[26:27], -1, v2
	v_addc_co_u32_e64 v4, s[26:27], 0, -1, s[26:27]
	v_cmp_ne_u32_e64 s[26:27], 0, v2
	v_lshlrev_b32_e32 v34, 30, v1
	v_xor_b32_e32 v2, s27, v4
	v_xor_b32_e32 v3, s26, v3
	v_cmp_gt_i64_e64 s[26:27], 0, v[33:34]
	v_not_b32_e32 v4, v34
	v_ashrrev_i32_e32 v4, 31, v4
	v_and_b32_e32 v3, exec_lo, v3
	v_xor_b32_e32 v21, s27, v4
	v_xor_b32_e32 v4, s26, v4
	v_lshlrev_b32_e32 v34, 29, v1
	v_and_b32_e32 v3, v3, v4
	v_cmp_gt_i64_e64 s[26:27], 0, v[33:34]
	v_not_b32_e32 v4, v34
	v_and_b32_e32 v2, exec_hi, v2
	v_ashrrev_i32_e32 v4, 31, v4
	v_and_b32_e32 v2, v2, v21
	v_xor_b32_e32 v21, s27, v4
	v_xor_b32_e32 v4, s26, v4
	v_lshlrev_b32_e32 v34, 28, v1
	v_and_b32_e32 v3, v3, v4
	v_cmp_gt_i64_e64 s[26:27], 0, v[33:34]
	v_not_b32_e32 v4, v34
	v_ashrrev_i32_e32 v4, 31, v4
	v_and_b32_e32 v2, v2, v21
	v_xor_b32_e32 v21, s27, v4
	v_xor_b32_e32 v4, s26, v4
	v_lshlrev_b32_e32 v34, 27, v1
	v_and_b32_e32 v3, v3, v4
	v_cmp_gt_i64_e64 s[26:27], 0, v[33:34]
	v_not_b32_e32 v4, v34
	;; [unrolled: 8-line block ×4, first 2 shown]
	v_ashrrev_i32_e32 v4, 31, v4
	v_lshlrev_b32_e32 v34, 24, v1
	v_and_b32_e32 v2, v2, v21
	v_xor_b32_e32 v21, s27, v4
	v_xor_b32_e32 v4, s26, v4
	v_cmp_gt_i64_e64 s[26:27], 0, v[33:34]
	v_not_b32_e32 v1, v34
	v_ashrrev_i32_e32 v1, 31, v1
	v_and_b32_e32 v3, v3, v4
	v_xor_b32_e32 v4, s27, v1
	v_xor_b32_e32 v1, s26, v1
	; wave barrier
	ds_read_b32 v19, v20 offset:8
	v_and_b32_e32 v2, v2, v21
	v_and_b32_e32 v1, v3, v1
	;; [unrolled: 1-line block ×3, first 2 shown]
	v_mbcnt_lo_u32_b32 v3, v1, 0
	v_mbcnt_hi_u32_b32 v21, v2, v3
	v_cmp_ne_u64_e64 s[26:27], 0, v[1:2]
	v_cmp_eq_u32_e64 s[28:29], 0, v21
	s_and_b64 s[28:29], s[28:29], s[26:27]
	; wave barrier
	s_and_saveexec_b64 s[26:27], s[28:29]
	s_cbranch_execz .LBB159_16
; %bb.15:                               ;   in Loop: Header=BB159_4 Depth=2
	v_bcnt_u32_b32 v1, v1, 0
	v_bcnt_u32_b32 v1, v2, v1
	s_waitcnt lgkmcnt(0)
	v_add_u32_e32 v1, v19, v1
	ds_write_b32 v20, v1 offset:8
.LBB159_16:                             ;   in Loop: Header=BB159_4 Depth=2
	s_or_b64 exec, exec, s[26:27]
	v_lshrrev_b32_e32 v2, s45, v53
	v_lshrrev_b32_e32 v1, s42, v54
	v_and_b32_e32 v2, s46, v2
	v_and_b32_e32 v1, s44, v1
	v_lshlrev_b32_e32 v2, s43, v2
	v_cndmask_b32_e64 v1, 0, v1, s[24:25]
	v_cndmask_b32_e32 v2, 0, v2, vcc
	v_or_b32_e32 v1, v1, v2
	v_lshlrev_b32_e32 v2, 3, v1
	v_add_u32_e32 v23, v75, v2
	v_and_b32_e32 v2, 1, v1
	v_add_co_u32_e64 v3, s[26:27], -1, v2
	v_addc_co_u32_e64 v4, s[26:27], 0, -1, s[26:27]
	v_cmp_ne_u32_e64 s[26:27], 0, v2
	v_lshlrev_b32_e32 v34, 30, v1
	v_xor_b32_e32 v2, s27, v4
	v_xor_b32_e32 v3, s26, v3
	v_cmp_gt_i64_e64 s[26:27], 0, v[33:34]
	v_not_b32_e32 v4, v34
	v_ashrrev_i32_e32 v4, 31, v4
	v_and_b32_e32 v3, exec_lo, v3
	v_xor_b32_e32 v24, s27, v4
	v_xor_b32_e32 v4, s26, v4
	v_lshlrev_b32_e32 v34, 29, v1
	v_and_b32_e32 v3, v3, v4
	v_cmp_gt_i64_e64 s[26:27], 0, v[33:34]
	v_not_b32_e32 v4, v34
	v_and_b32_e32 v2, exec_hi, v2
	v_ashrrev_i32_e32 v4, 31, v4
	v_and_b32_e32 v2, v2, v24
	v_xor_b32_e32 v24, s27, v4
	v_xor_b32_e32 v4, s26, v4
	v_lshlrev_b32_e32 v34, 28, v1
	v_and_b32_e32 v3, v3, v4
	v_cmp_gt_i64_e64 s[26:27], 0, v[33:34]
	v_not_b32_e32 v4, v34
	v_ashrrev_i32_e32 v4, 31, v4
	v_and_b32_e32 v2, v2, v24
	v_xor_b32_e32 v24, s27, v4
	v_xor_b32_e32 v4, s26, v4
	v_lshlrev_b32_e32 v34, 27, v1
	v_and_b32_e32 v3, v3, v4
	v_cmp_gt_i64_e64 s[26:27], 0, v[33:34]
	v_not_b32_e32 v4, v34
	;; [unrolled: 8-line block ×4, first 2 shown]
	v_ashrrev_i32_e32 v4, 31, v4
	v_lshlrev_b32_e32 v34, 24, v1
	v_and_b32_e32 v2, v2, v24
	v_xor_b32_e32 v24, s27, v4
	v_xor_b32_e32 v4, s26, v4
	v_cmp_gt_i64_e64 s[26:27], 0, v[33:34]
	v_not_b32_e32 v1, v34
	v_ashrrev_i32_e32 v1, 31, v1
	v_and_b32_e32 v3, v3, v4
	v_xor_b32_e32 v4, s27, v1
	v_xor_b32_e32 v1, s26, v1
	; wave barrier
	ds_read_b32 v22, v23 offset:8
	v_and_b32_e32 v2, v2, v24
	v_and_b32_e32 v1, v3, v1
	;; [unrolled: 1-line block ×3, first 2 shown]
	v_mbcnt_lo_u32_b32 v3, v1, 0
	v_mbcnt_hi_u32_b32 v24, v2, v3
	v_cmp_ne_u64_e64 s[26:27], 0, v[1:2]
	v_cmp_eq_u32_e64 s[28:29], 0, v24
	s_and_b64 s[28:29], s[28:29], s[26:27]
	; wave barrier
	s_and_saveexec_b64 s[26:27], s[28:29]
	s_cbranch_execz .LBB159_18
; %bb.17:                               ;   in Loop: Header=BB159_4 Depth=2
	v_bcnt_u32_b32 v1, v1, 0
	v_bcnt_u32_b32 v1, v2, v1
	s_waitcnt lgkmcnt(0)
	v_add_u32_e32 v1, v22, v1
	ds_write_b32 v23, v1 offset:8
.LBB159_18:                             ;   in Loop: Header=BB159_4 Depth=2
	s_or_b64 exec, exec, s[26:27]
	v_lshrrev_b32_e32 v2, s45, v51
	v_lshrrev_b32_e32 v1, s42, v52
	v_and_b32_e32 v2, s46, v2
	v_and_b32_e32 v1, s44, v1
	v_lshlrev_b32_e32 v2, s43, v2
	v_cndmask_b32_e64 v1, 0, v1, s[24:25]
	v_cndmask_b32_e32 v2, 0, v2, vcc
	v_or_b32_e32 v1, v1, v2
	v_lshlrev_b32_e32 v2, 3, v1
	v_add_u32_e32 v26, v75, v2
	v_and_b32_e32 v2, 1, v1
	v_add_co_u32_e32 v3, vcc, -1, v2
	v_addc_co_u32_e64 v4, s[24:25], 0, -1, vcc
	v_cmp_ne_u32_e32 vcc, 0, v2
	v_lshlrev_b32_e32 v34, 30, v1
	v_xor_b32_e32 v2, vcc_hi, v4
	v_xor_b32_e32 v3, vcc_lo, v3
	v_cmp_gt_i64_e32 vcc, 0, v[33:34]
	v_not_b32_e32 v4, v34
	v_ashrrev_i32_e32 v4, 31, v4
	v_and_b32_e32 v3, exec_lo, v3
	v_xor_b32_e32 v27, vcc_hi, v4
	v_xor_b32_e32 v4, vcc_lo, v4
	v_lshlrev_b32_e32 v34, 29, v1
	v_and_b32_e32 v3, v3, v4
	v_cmp_gt_i64_e32 vcc, 0, v[33:34]
	v_not_b32_e32 v4, v34
	v_and_b32_e32 v2, exec_hi, v2
	v_ashrrev_i32_e32 v4, 31, v4
	v_and_b32_e32 v2, v2, v27
	v_xor_b32_e32 v27, vcc_hi, v4
	v_xor_b32_e32 v4, vcc_lo, v4
	v_lshlrev_b32_e32 v34, 28, v1
	v_and_b32_e32 v3, v3, v4
	v_cmp_gt_i64_e32 vcc, 0, v[33:34]
	v_not_b32_e32 v4, v34
	v_ashrrev_i32_e32 v4, 31, v4
	v_and_b32_e32 v2, v2, v27
	v_xor_b32_e32 v27, vcc_hi, v4
	v_xor_b32_e32 v4, vcc_lo, v4
	v_lshlrev_b32_e32 v34, 27, v1
	v_and_b32_e32 v3, v3, v4
	v_cmp_gt_i64_e32 vcc, 0, v[33:34]
	v_not_b32_e32 v4, v34
	;; [unrolled: 8-line block ×4, first 2 shown]
	v_ashrrev_i32_e32 v4, 31, v4
	v_lshlrev_b32_e32 v34, 24, v1
	v_and_b32_e32 v2, v2, v27
	v_xor_b32_e32 v27, vcc_hi, v4
	v_xor_b32_e32 v4, vcc_lo, v4
	v_cmp_gt_i64_e32 vcc, 0, v[33:34]
	v_not_b32_e32 v1, v34
	v_ashrrev_i32_e32 v1, 31, v1
	v_and_b32_e32 v3, v3, v4
	v_xor_b32_e32 v4, vcc_hi, v1
	v_xor_b32_e32 v1, vcc_lo, v1
	; wave barrier
	ds_read_b32 v25, v26 offset:8
	v_and_b32_e32 v2, v2, v27
	v_and_b32_e32 v1, v3, v1
	;; [unrolled: 1-line block ×3, first 2 shown]
	v_mbcnt_lo_u32_b32 v3, v1, 0
	v_mbcnt_hi_u32_b32 v27, v2, v3
	v_cmp_ne_u64_e32 vcc, 0, v[1:2]
	v_cmp_eq_u32_e64 s[24:25], 0, v27
	s_and_b64 s[26:27], s[24:25], vcc
	; wave barrier
	s_and_saveexec_b64 s[24:25], s[26:27]
	s_cbranch_execz .LBB159_20
; %bb.19:                               ;   in Loop: Header=BB159_4 Depth=2
	v_bcnt_u32_b32 v1, v1, 0
	v_bcnt_u32_b32 v1, v2, v1
	s_waitcnt lgkmcnt(0)
	v_add_u32_e32 v1, v25, v1
	ds_write_b32 v26, v1 offset:8
.LBB159_20:                             ;   in Loop: Header=BB159_4 Depth=2
	s_or_b64 exec, exec, s[24:25]
	; wave barrier
	s_waitcnt lgkmcnt(0)
	s_barrier
	ds_read2_b64 v[1:4], v67 offset0:1 offset1:2
	s_waitcnt lgkmcnt(0)
	v_add_u32_e32 v28, v2, v1
	v_add3_u32 v4, v28, v3, v4
	s_nop 1
	v_mov_b32_dpp v28, v4 row_shr:1 row_mask:0xf bank_mask:0xf
	v_cndmask_b32_e64 v28, v28, 0, s[10:11]
	v_add_u32_e32 v4, v28, v4
	s_nop 1
	v_mov_b32_dpp v28, v4 row_shr:2 row_mask:0xf bank_mask:0xf
	v_cndmask_b32_e64 v28, 0, v28, s[12:13]
	v_add_u32_e32 v4, v4, v28
	;; [unrolled: 4-line block ×4, first 2 shown]
	s_nop 1
	v_mov_b32_dpp v28, v4 row_bcast:15 row_mask:0xf bank_mask:0xf
	v_cndmask_b32_e64 v28, v28, 0, s[18:19]
	v_add_u32_e32 v4, v4, v28
	s_nop 1
	v_mov_b32_dpp v28, v4 row_bcast:31 row_mask:0xf bank_mask:0xf
	v_cndmask_b32_e64 v28, 0, v28, s[6:7]
	v_add_u32_e32 v4, v4, v28
	s_and_saveexec_b64 s[24:25], s[20:21]
; %bb.21:                               ;   in Loop: Header=BB159_4 Depth=2
	ds_write_b32 v69, v4
; %bb.22:                               ;   in Loop: Header=BB159_4 Depth=2
	s_or_b64 exec, exec, s[24:25]
	s_waitcnt lgkmcnt(0)
	s_barrier
	s_and_saveexec_b64 s[24:25], s[0:1]
	s_cbranch_execz .LBB159_24
; %bb.23:                               ;   in Loop: Header=BB159_4 Depth=2
	ds_read_b32 v28, v70
	s_waitcnt lgkmcnt(0)
	s_nop 0
	v_mov_b32_dpp v29, v28 row_shr:1 row_mask:0xf bank_mask:0xf
	v_cndmask_b32_e64 v29, v29, 0, s[22:23]
	v_add_u32_e32 v28, v29, v28
	ds_write_b32 v70, v28
.LBB159_24:                             ;   in Loop: Header=BB159_4 Depth=2
	s_or_b64 exec, exec, s[24:25]
	v_mov_b32_e32 v28, 0
	s_waitcnt lgkmcnt(0)
	s_barrier
	s_and_saveexec_b64 s[24:25], s[2:3]
; %bb.25:                               ;   in Loop: Header=BB159_4 Depth=2
	ds_read_b32 v28, v72
; %bb.26:                               ;   in Loop: Header=BB159_4 Depth=2
	s_or_b64 exec, exec, s[24:25]
	s_waitcnt lgkmcnt(0)
	v_add_u32_e32 v4, v28, v4
	ds_bpermute_b32 v4, v74, v4
	v_lshlrev_b32_e32 v5, 3, v5
	s_cmp_gt_u32 s42, 55
	s_mov_b64 s[24:25], -1
	s_waitcnt lgkmcnt(0)
	v_cndmask_b32_e64 v4, v4, v28, s[8:9]
	v_cndmask_b32_e64 v28, v4, 0, s[4:5]
	v_add_u32_e32 v29, v28, v1
	v_add_u32_e32 v1, v29, v2
	;; [unrolled: 1-line block ×3, first 2 shown]
	ds_write2_b64 v67, v[28:29], v[1:2] offset0:1 offset1:2
	s_waitcnt lgkmcnt(0)
	s_barrier
	ds_read_b32 v1, v6 offset:8
	ds_read_b32 v2, v8 offset:8
	;; [unrolled: 1-line block ×8, first 2 shown]
	s_waitcnt lgkmcnt(7)
	v_lshl_add_u32 v34, v1, 3, v5
	v_lshlrev_b32_e32 v1, 3, v9
	v_lshlrev_b32_e32 v5, 3, v7
	s_waitcnt lgkmcnt(6)
	v_lshlrev_b32_e32 v2, 3, v2
	v_add3_u32 v76, v1, v5, v2
	v_lshlrev_b32_e32 v1, 3, v12
	v_lshlrev_b32_e32 v2, 3, v10
	s_waitcnt lgkmcnt(5)
	v_lshlrev_b32_e32 v3, 3, v3
	v_add3_u32 v77, v1, v2, v3
	;; [unrolled: 5-line block ×7, first 2 shown]
                                        ; implicit-def: $vgpr13_vgpr14
                                        ; implicit-def: $vgpr17_vgpr18
                                        ; implicit-def: $vgpr21_vgpr22
                                        ; implicit-def: $vgpr25_vgpr26
                                        ; implicit-def: $vgpr1_vgpr2
                                        ; implicit-def: $vgpr5_vgpr6
                                        ; implicit-def: $vgpr9_vgpr10
                                        ; implicit-def: $vgpr29_vgpr30
	s_cbranch_scc1 .LBB159_3
; %bb.27:                               ;   in Loop: Header=BB159_4 Depth=2
	s_barrier
	ds_write_b64 v34, v[65:66]
	ds_write_b64 v76, v[63:64]
	;; [unrolled: 1-line block ×8, first 2 shown]
	s_waitcnt lgkmcnt(0)
	s_barrier
	ds_read2st64_b64 v[1:4], v71 offset1:1
	ds_read2st64_b64 v[5:8], v71 offset0:2 offset1:3
	ds_read2st64_b64 v[9:12], v71 offset0:4 offset1:5
	;; [unrolled: 1-line block ×3, first 2 shown]
	s_waitcnt lgkmcnt(0)
	s_barrier
	ds_write_b64 v34, v[49:50]
	ds_write_b64 v76, v[47:48]
	;; [unrolled: 1-line block ×8, first 2 shown]
	s_waitcnt lgkmcnt(0)
	s_barrier
	ds_read2st64_b64 v[13:16], v71 offset1:1
	ds_read2st64_b64 v[17:20], v71 offset0:2 offset1:3
	ds_read2st64_b64 v[21:24], v71 offset0:4 offset1:5
	;; [unrolled: 1-line block ×3, first 2 shown]
	s_add_i32 s41, s41, -8
	s_add_i32 s40, s40, 8
	s_add_i32 s42, s42, 8
	s_mov_b64 s[24:25], 0
	s_waitcnt lgkmcnt(0)
	s_barrier
	s_branch .LBB159_3
.LBB159_28:
	s_add_u32 s0, s30, s34
	s_addc_u32 s1, s31, s35
	v_lshlrev_b32_e32 v0, 3, v0
	s_waitcnt lgkmcnt(3)
	v_add_u32_e32 v1, v3, v25
	v_add_u32_e32 v2, v4, v26
	;; [unrolled: 1-line block ×4, first 2 shown]
	s_waitcnt lgkmcnt(2)
	v_add_u32_e32 v5, v7, v21
	v_add_u32_e32 v6, v8, v22
	;; [unrolled: 1-line block ×4, first 2 shown]
	s_waitcnt lgkmcnt(1)
	v_add_u32_e32 v9, v11, v17
	v_add_u32_e32 v10, v12, v18
	v_mov_b32_e32 v17, s1
	v_add_co_u32_e32 v18, vcc, s0, v0
	v_addc_co_u32_e32 v17, vcc, 0, v17, vcc
	global_store_dwordx2 v0, v[1:2], s[0:1]
	global_store_dwordx2 v0, v[3:4], s[0:1] offset:1024
	global_store_dwordx2 v0, v[5:6], s[0:1] offset:2048
	;; [unrolled: 1-line block ×3, first 2 shown]
	s_movk_i32 s0, 0x1000
	v_add_co_u32_e32 v0, vcc, s0, v18
	v_addc_co_u32_e32 v1, vcc, 0, v17, vcc
	v_add_u32_e32 v11, v29, v19
	v_add_u32_e32 v12, v30, v20
	s_waitcnt lgkmcnt(0)
	v_add_u32_e32 v13, v31, v13
	v_add_u32_e32 v14, v32, v14
	;; [unrolled: 1-line block ×4, first 2 shown]
	global_store_dwordx2 v[0:1], v[9:10], off
	global_store_dwordx2 v[0:1], v[11:12], off offset:1024
	global_store_dwordx2 v[0:1], v[13:14], off offset:2048
	;; [unrolled: 1-line block ×3, first 2 shown]
	s_endpgm
	.section	.rodata,"a",@progbits
	.p2align	6, 0x0
	.amdhsa_kernel _Z17sort_pairs_kernelI22helper_blocked_blockedN15benchmark_utils11custom_typeIiiEELj128ELj8ELj10EEvPKT0_PS4_
		.amdhsa_group_segment_fixed_size 8192
		.amdhsa_private_segment_fixed_size 0
		.amdhsa_kernarg_size 272
		.amdhsa_user_sgpr_count 6
		.amdhsa_user_sgpr_private_segment_buffer 1
		.amdhsa_user_sgpr_dispatch_ptr 0
		.amdhsa_user_sgpr_queue_ptr 0
		.amdhsa_user_sgpr_kernarg_segment_ptr 1
		.amdhsa_user_sgpr_dispatch_id 0
		.amdhsa_user_sgpr_flat_scratch_init 0
		.amdhsa_user_sgpr_private_segment_size 0
		.amdhsa_uses_dynamic_stack 0
		.amdhsa_system_sgpr_private_segment_wavefront_offset 0
		.amdhsa_system_sgpr_workgroup_id_x 1
		.amdhsa_system_sgpr_workgroup_id_y 0
		.amdhsa_system_sgpr_workgroup_id_z 0
		.amdhsa_system_sgpr_workgroup_info 0
		.amdhsa_system_vgpr_workitem_id 2
		.amdhsa_next_free_vgpr 83
		.amdhsa_next_free_sgpr 98
		.amdhsa_reserve_vcc 1
		.amdhsa_reserve_flat_scratch 0
		.amdhsa_float_round_mode_32 0
		.amdhsa_float_round_mode_16_64 0
		.amdhsa_float_denorm_mode_32 3
		.amdhsa_float_denorm_mode_16_64 3
		.amdhsa_dx10_clamp 1
		.amdhsa_ieee_mode 1
		.amdhsa_fp16_overflow 0
		.amdhsa_exception_fp_ieee_invalid_op 0
		.amdhsa_exception_fp_denorm_src 0
		.amdhsa_exception_fp_ieee_div_zero 0
		.amdhsa_exception_fp_ieee_overflow 0
		.amdhsa_exception_fp_ieee_underflow 0
		.amdhsa_exception_fp_ieee_inexact 0
		.amdhsa_exception_int_div_zero 0
	.end_amdhsa_kernel
	.section	.text._Z17sort_pairs_kernelI22helper_blocked_blockedN15benchmark_utils11custom_typeIiiEELj128ELj8ELj10EEvPKT0_PS4_,"axG",@progbits,_Z17sort_pairs_kernelI22helper_blocked_blockedN15benchmark_utils11custom_typeIiiEELj128ELj8ELj10EEvPKT0_PS4_,comdat
.Lfunc_end159:
	.size	_Z17sort_pairs_kernelI22helper_blocked_blockedN15benchmark_utils11custom_typeIiiEELj128ELj8ELj10EEvPKT0_PS4_, .Lfunc_end159-_Z17sort_pairs_kernelI22helper_blocked_blockedN15benchmark_utils11custom_typeIiiEELj128ELj8ELj10EEvPKT0_PS4_
                                        ; -- End function
	.set _Z17sort_pairs_kernelI22helper_blocked_blockedN15benchmark_utils11custom_typeIiiEELj128ELj8ELj10EEvPKT0_PS4_.num_vgpr, 83
	.set _Z17sort_pairs_kernelI22helper_blocked_blockedN15benchmark_utils11custom_typeIiiEELj128ELj8ELj10EEvPKT0_PS4_.num_agpr, 0
	.set _Z17sort_pairs_kernelI22helper_blocked_blockedN15benchmark_utils11custom_typeIiiEELj128ELj8ELj10EEvPKT0_PS4_.numbered_sgpr, 47
	.set _Z17sort_pairs_kernelI22helper_blocked_blockedN15benchmark_utils11custom_typeIiiEELj128ELj8ELj10EEvPKT0_PS4_.num_named_barrier, 0
	.set _Z17sort_pairs_kernelI22helper_blocked_blockedN15benchmark_utils11custom_typeIiiEELj128ELj8ELj10EEvPKT0_PS4_.private_seg_size, 0
	.set _Z17sort_pairs_kernelI22helper_blocked_blockedN15benchmark_utils11custom_typeIiiEELj128ELj8ELj10EEvPKT0_PS4_.uses_vcc, 1
	.set _Z17sort_pairs_kernelI22helper_blocked_blockedN15benchmark_utils11custom_typeIiiEELj128ELj8ELj10EEvPKT0_PS4_.uses_flat_scratch, 0
	.set _Z17sort_pairs_kernelI22helper_blocked_blockedN15benchmark_utils11custom_typeIiiEELj128ELj8ELj10EEvPKT0_PS4_.has_dyn_sized_stack, 0
	.set _Z17sort_pairs_kernelI22helper_blocked_blockedN15benchmark_utils11custom_typeIiiEELj128ELj8ELj10EEvPKT0_PS4_.has_recursion, 0
	.set _Z17sort_pairs_kernelI22helper_blocked_blockedN15benchmark_utils11custom_typeIiiEELj128ELj8ELj10EEvPKT0_PS4_.has_indirect_call, 0
	.section	.AMDGPU.csdata,"",@progbits
; Kernel info:
; codeLenInByte = 5816
; TotalNumSgprs: 51
; NumVgprs: 83
; ScratchSize: 0
; MemoryBound: 0
; FloatMode: 240
; IeeeMode: 1
; LDSByteSize: 8192 bytes/workgroup (compile time only)
; SGPRBlocks: 12
; VGPRBlocks: 20
; NumSGPRsForWavesPerEU: 102
; NumVGPRsForWavesPerEU: 83
; Occupancy: 3
; WaveLimiterHint : 1
; COMPUTE_PGM_RSRC2:SCRATCH_EN: 0
; COMPUTE_PGM_RSRC2:USER_SGPR: 6
; COMPUTE_PGM_RSRC2:TRAP_HANDLER: 0
; COMPUTE_PGM_RSRC2:TGID_X_EN: 1
; COMPUTE_PGM_RSRC2:TGID_Y_EN: 0
; COMPUTE_PGM_RSRC2:TGID_Z_EN: 0
; COMPUTE_PGM_RSRC2:TIDIG_COMP_CNT: 2
	.section	.text._Z16sort_keys_kernelI22helper_blocked_blockedN15benchmark_utils11custom_typeIiiEELj192ELj1ELj10EEvPKT0_PS4_,"axG",@progbits,_Z16sort_keys_kernelI22helper_blocked_blockedN15benchmark_utils11custom_typeIiiEELj192ELj1ELj10EEvPKT0_PS4_,comdat
	.protected	_Z16sort_keys_kernelI22helper_blocked_blockedN15benchmark_utils11custom_typeIiiEELj192ELj1ELj10EEvPKT0_PS4_ ; -- Begin function _Z16sort_keys_kernelI22helper_blocked_blockedN15benchmark_utils11custom_typeIiiEELj192ELj1ELj10EEvPKT0_PS4_
	.globl	_Z16sort_keys_kernelI22helper_blocked_blockedN15benchmark_utils11custom_typeIiiEELj192ELj1ELj10EEvPKT0_PS4_
	.p2align	8
	.type	_Z16sort_keys_kernelI22helper_blocked_blockedN15benchmark_utils11custom_typeIiiEELj192ELj1ELj10EEvPKT0_PS4_,@function
_Z16sort_keys_kernelI22helper_blocked_blockedN15benchmark_utils11custom_typeIiiEELj192ELj1ELj10EEvPKT0_PS4_: ; @_Z16sort_keys_kernelI22helper_blocked_blockedN15benchmark_utils11custom_typeIiiEELj192ELj1ELj10EEvPKT0_PS4_
; %bb.0:
	s_load_dwordx4 s[28:31], s[4:5], 0x0
	s_load_dword s24, s[4:5], 0x1c
	s_mul_i32 s0, s6, 0xc0
	s_mov_b32 s1, 0
	s_lshl_b64 s[34:35], s[0:1], 3
	s_waitcnt lgkmcnt(0)
	s_add_u32 s0, s28, s34
	s_addc_u32 s1, s29, s35
	v_lshlrev_b32_e32 v3, 3, v0
	global_load_dwordx2 v[3:4], v3, s[0:1]
	v_mbcnt_lo_u32_b32 v5, -1, 0
	v_mbcnt_hi_u32_b32 v5, -1, v5
	v_subrev_co_u32_e64 v23, s[6:7], 1, v5
	v_and_b32_e32 v24, 64, v5
	v_lshrrev_b32_e32 v7, 4, v0
	v_cmp_lt_i32_e64 s[22:23], v23, v24
	v_and_b32_e32 v19, 12, v7
	v_cndmask_b32_e64 v7, v23, v5, s[22:23]
	s_lshr_b32 s22, s24, 16
	s_and_b32 s23, s24, 0xffff
	v_mad_u32_u24 v1, v2, s22, v1
	v_mad_u64_u32 v[1:2], s[22:23], v1, s23, v[0:1]
	v_and_b32_e32 v6, 0xc0, v0
	v_lshlrev_b32_e32 v18, 4, v0
	v_and_b32_e32 v21, 15, v5
	v_lshlrev_b32_e32 v26, 3, v6
	v_min_u32_e32 v6, 0x80, v6
	v_lshlrev_b32_e32 v8, 2, v0
	v_and_b32_e32 v22, 16, v5
	v_cmp_lt_u32_e64 s[4:5], 31, v5
	v_and_b32_e32 v25, 3, v5
	v_mad_i32_i24 v20, v0, -12, v18
	v_cmp_eq_u32_e64 s[8:9], 0, v21
	v_cmp_lt_u32_e64 s[10:11], 1, v21
	v_cmp_lt_u32_e64 s[12:13], 3, v21
	;; [unrolled: 1-line block ×3, first 2 shown]
	v_lshl_add_u32 v21, v5, 3, v26
	v_or_b32_e32 v5, 63, v6
	v_lshrrev_b32_e32 v1, 4, v1
	s_mov_b32 s28, 10
	s_movk_i32 s29, 0xff
	v_mov_b32_e32 v9, 12
	v_mov_b32_e32 v10, 1
	;; [unrolled: 1-line block ×9, first 2 shown]
	v_cmp_gt_u32_e32 vcc, 3, v0
	v_cmp_lt_u32_e64 s[0:1], 63, v0
	v_cmp_eq_u32_e64 s[2:3], 0, v0
	v_cmp_eq_u32_e64 s[16:17], 0, v22
	;; [unrolled: 1-line block ×3, first 2 shown]
	v_cmp_lt_u32_e64 s[20:21], 1, v25
	v_add_u32_e32 v22, v20, v8
	v_add_u32_e32 v23, -4, v19
	v_cmp_eq_u32_e64 s[22:23], v0, v5
	v_lshlrev_b32_e32 v24, 2, v7
	v_and_b32_e32 v25, 0xffffffc, v1
	v_mov_b32_e32 v1, 0
	s_waitcnt vmcnt(0)
	v_xor_b32_e32 v3, 0x80000000, v3
	v_xor_b32_e32 v4, 0x80000000, v4
	s_branch .LBB160_2
.LBB160_1:                              ;   in Loop: Header=BB160_2 Depth=1
	s_or_b64 exec, exec, s[24:25]
	s_waitcnt lgkmcnt(0)
	v_add_u32_e32 v6, v27, v6
	ds_bpermute_b32 v6, v24, v6
	v_lshlrev_b32_e32 v2, 3, v2
	s_add_i32 s28, s28, -1
	s_cmp_eq_u32 s28, 0
	s_waitcnt lgkmcnt(0)
	v_cndmask_b32_e64 v6, v6, v27, s[6:7]
	v_cndmask_b32_e64 v6, v6, 0, s[2:3]
	v_add_u32_e32 v7, v6, v7
	v_add_u32_e32 v8, v7, v8
	;; [unrolled: 1-line block ×3, first 2 shown]
	ds_write2_b32 v18, v6, v7 offset0:3 offset1:4
	ds_write2_b32 v18, v8, v5 offset0:5 offset1:6
	s_waitcnt lgkmcnt(0)
	s_barrier
	ds_read_b32 v5, v26 offset:12
	s_waitcnt lgkmcnt(0)
	s_barrier
	v_lshl_add_u32 v2, v5, 3, v2
	ds_write_b64 v2, v[3:4]
	s_waitcnt lgkmcnt(0)
	s_barrier
	ds_read_b64 v[3:4], v22
	s_cbranch_scc1 .LBB160_66
.LBB160_2:                              ; =>This Inner Loop Header: Depth=1
	s_waitcnt lgkmcnt(0)
	v_and_b32_e32 v2, 1, v4
	v_add_co_u32_e64 v5, s[24:25], -1, v2
	v_addc_co_u32_e64 v6, s[24:25], 0, -1, s[24:25]
	v_cmp_ne_u32_e64 s[24:25], 0, v2
	v_xor_b32_e32 v2, s25, v6
	v_and_b32_e32 v6, exec_hi, v2
	v_lshlrev_b32_e32 v2, 30, v4
	v_xor_b32_e32 v5, s24, v5
	v_cmp_gt_i64_e64 s[24:25], 0, v[1:2]
	v_not_b32_e32 v2, v2
	v_ashrrev_i32_e32 v2, 31, v2
	v_and_b32_e32 v5, exec_lo, v5
	v_xor_b32_e32 v8, s25, v2
	v_xor_b32_e32 v2, s24, v2
	v_and_b32_e32 v5, v5, v2
	v_lshlrev_b32_e32 v2, 29, v4
	v_cmp_gt_i64_e64 s[24:25], 0, v[1:2]
	v_not_b32_e32 v2, v2
	v_ashrrev_i32_e32 v2, 31, v2
	v_and_b32_e32 v6, v6, v8
	v_xor_b32_e32 v8, s25, v2
	v_xor_b32_e32 v2, s24, v2
	v_and_b32_e32 v5, v5, v2
	v_lshlrev_b32_e32 v2, 28, v4
	v_cmp_gt_i64_e64 s[24:25], 0, v[1:2]
	v_not_b32_e32 v2, v2
	v_ashrrev_i32_e32 v2, 31, v2
	v_and_b32_e32 v6, v6, v8
	;; [unrolled: 8-line block ×6, first 2 shown]
	v_xor_b32_e32 v8, s25, v2
	v_xor_b32_e32 v2, s24, v2
	v_and_b32_e32 v5, v5, v2
	v_and_b32_e32 v6, v6, v8
	v_mbcnt_lo_u32_b32 v2, v5, 0
	v_mbcnt_hi_u32_b32 v2, v6, v2
	v_cmp_ne_u64_e64 s[24:25], 0, v[5:6]
	v_mul_u32_u24_sdwa v7, v4, v9 dst_sel:DWORD dst_unused:UNUSED_PAD src0_sel:BYTE_0 src1_sel:DWORD
	v_cmp_eq_u32_e64 s[26:27], 0, v2
	s_and_b64 s[26:27], s[26:27], s[24:25]
	v_add_u32_e32 v26, v25, v7
	ds_write2_b32 v18, v1, v1 offset0:3 offset1:4
	ds_write2_b32 v18, v1, v1 offset0:5 offset1:6
	s_waitcnt lgkmcnt(0)
	s_barrier
	; wave barrier
	s_and_saveexec_b64 s[24:25], s[26:27]
; %bb.3:                                ;   in Loop: Header=BB160_2 Depth=1
	v_bcnt_u32_b32 v5, v5, 0
	v_bcnt_u32_b32 v5, v6, v5
	ds_write_b32 v26, v5 offset:12
; %bb.4:                                ;   in Loop: Header=BB160_2 Depth=1
	s_or_b64 exec, exec, s[24:25]
	; wave barrier
	s_waitcnt lgkmcnt(0)
	s_barrier
	ds_read2_b32 v[7:8], v18 offset0:3 offset1:4
	ds_read2_b32 v[5:6], v18 offset0:5 offset1:6
	s_waitcnt lgkmcnt(1)
	v_add_u32_e32 v27, v8, v7
	s_waitcnt lgkmcnt(0)
	v_add3_u32 v6, v27, v5, v6
	s_nop 1
	v_mov_b32_dpp v27, v6 row_shr:1 row_mask:0xf bank_mask:0xf
	v_cndmask_b32_e64 v27, v27, 0, s[8:9]
	v_add_u32_e32 v6, v27, v6
	s_nop 1
	v_mov_b32_dpp v27, v6 row_shr:2 row_mask:0xf bank_mask:0xf
	v_cndmask_b32_e64 v27, 0, v27, s[10:11]
	v_add_u32_e32 v6, v6, v27
	;; [unrolled: 4-line block ×4, first 2 shown]
	s_nop 1
	v_mov_b32_dpp v27, v6 row_bcast:15 row_mask:0xf bank_mask:0xf
	v_cndmask_b32_e64 v27, v27, 0, s[16:17]
	v_add_u32_e32 v6, v6, v27
	s_nop 1
	v_mov_b32_dpp v27, v6 row_bcast:31 row_mask:0xf bank_mask:0xf
	v_cndmask_b32_e64 v27, 0, v27, s[4:5]
	v_add_u32_e32 v6, v6, v27
	s_and_saveexec_b64 s[24:25], s[22:23]
; %bb.5:                                ;   in Loop: Header=BB160_2 Depth=1
	ds_write_b32 v19, v6
; %bb.6:                                ;   in Loop: Header=BB160_2 Depth=1
	s_or_b64 exec, exec, s[24:25]
	s_waitcnt lgkmcnt(0)
	s_barrier
	s_and_saveexec_b64 s[24:25], vcc
	s_cbranch_execz .LBB160_8
; %bb.7:                                ;   in Loop: Header=BB160_2 Depth=1
	ds_read_b32 v27, v20
	s_waitcnt lgkmcnt(0)
	s_nop 0
	v_mov_b32_dpp v28, v27 row_shr:1 row_mask:0xf bank_mask:0xf
	v_cndmask_b32_e64 v28, v28, 0, s[18:19]
	v_add_u32_e32 v27, v28, v27
	s_nop 1
	v_mov_b32_dpp v28, v27 row_shr:2 row_mask:0xf bank_mask:0xf
	v_cndmask_b32_e64 v28, 0, v28, s[20:21]
	v_add_u32_e32 v27, v27, v28
	ds_write_b32 v20, v27
.LBB160_8:                              ;   in Loop: Header=BB160_2 Depth=1
	s_or_b64 exec, exec, s[24:25]
	v_mov_b32_e32 v27, 0
	s_waitcnt lgkmcnt(0)
	s_barrier
	s_and_saveexec_b64 s[24:25], s[0:1]
; %bb.9:                                ;   in Loop: Header=BB160_2 Depth=1
	ds_read_b32 v27, v23
; %bb.10:                               ;   in Loop: Header=BB160_2 Depth=1
	s_or_b64 exec, exec, s[24:25]
	s_waitcnt lgkmcnt(0)
	v_add_u32_e32 v6, v27, v6
	ds_bpermute_b32 v6, v24, v6
	v_lshlrev_b32_e32 v2, 3, v2
	s_waitcnt lgkmcnt(0)
	v_cndmask_b32_e64 v6, v6, v27, s[6:7]
	v_cndmask_b32_e64 v6, v6, 0, s[2:3]
	v_add_u32_e32 v7, v6, v7
	v_add_u32_e32 v8, v7, v8
	;; [unrolled: 1-line block ×3, first 2 shown]
	ds_write2_b32 v18, v6, v7 offset0:3 offset1:4
	ds_write2_b32 v18, v8, v5 offset0:5 offset1:6
	s_waitcnt lgkmcnt(0)
	s_barrier
	ds_read_b32 v5, v26 offset:12
	s_waitcnt lgkmcnt(0)
	s_barrier
	v_lshl_add_u32 v2, v5, 3, v2
	ds_write_b64 v2, v[3:4]
	s_waitcnt lgkmcnt(0)
	s_barrier
	ds_read_b64 v[3:4], v21
	s_waitcnt lgkmcnt(0)
	s_barrier
	ds_write2_b32 v18, v1, v1 offset0:3 offset1:4
	ds_write2_b32 v18, v1, v1 offset0:5 offset1:6
	v_lshrrev_b32_e32 v5, 8, v4
	v_and_b32_e32 v2, 1, v5
	v_add_co_u32_e64 v6, s[24:25], -1, v2
	v_addc_co_u32_e64 v8, s[24:25], 0, -1, s[24:25]
	v_cmp_ne_u32_e64 s[24:25], 0, v2
	v_xor_b32_e32 v2, s25, v8
	v_and_b32_e32 v8, exec_hi, v2
	v_lshlrev_b32_e32 v2, 30, v5
	v_xor_b32_e32 v6, s24, v6
	v_cmp_gt_i64_e64 s[24:25], 0, v[1:2]
	v_not_b32_e32 v2, v2
	v_ashrrev_i32_e32 v2, 31, v2
	v_and_b32_e32 v6, exec_lo, v6
	v_xor_b32_e32 v26, s25, v2
	v_xor_b32_e32 v2, s24, v2
	v_and_b32_e32 v6, v6, v2
	v_lshlrev_b32_e32 v2, 29, v5
	v_cmp_gt_i64_e64 s[24:25], 0, v[1:2]
	v_not_b32_e32 v2, v2
	v_ashrrev_i32_e32 v2, 31, v2
	v_and_b32_e32 v8, v8, v26
	v_xor_b32_e32 v26, s25, v2
	v_xor_b32_e32 v2, s24, v2
	v_and_b32_e32 v6, v6, v2
	v_lshlrev_b32_e32 v2, 28, v5
	v_cmp_gt_i64_e64 s[24:25], 0, v[1:2]
	v_not_b32_e32 v2, v2
	v_ashrrev_i32_e32 v2, 31, v2
	v_and_b32_e32 v8, v8, v26
	;; [unrolled: 8-line block ×5, first 2 shown]
	v_xor_b32_e32 v26, s25, v2
	v_xor_b32_e32 v2, s24, v2
	v_and_b32_e32 v8, v8, v26
	v_and_b32_e32 v26, v6, v2
	v_lshlrev_b32_e32 v2, 24, v5
	v_cmp_gt_i64_e64 s[24:25], 0, v[1:2]
	v_not_b32_e32 v2, v2
	v_ashrrev_i32_e32 v2, 31, v2
	v_mul_u32_u24_sdwa v7, v5, v9 dst_sel:DWORD dst_unused:UNUSED_PAD src0_sel:BYTE_0 src1_sel:DWORD
	v_xor_b32_e32 v5, s25, v2
	v_xor_b32_e32 v2, s24, v2
	v_and_b32_e32 v6, v8, v5
	v_and_b32_e32 v5, v26, v2
	v_mbcnt_lo_u32_b32 v2, v5, 0
	v_mbcnt_hi_u32_b32 v2, v6, v2
	v_cmp_ne_u64_e64 s[24:25], 0, v[5:6]
	v_cmp_eq_u32_e64 s[26:27], 0, v2
	s_and_b64 s[26:27], s[26:27], s[24:25]
	v_add_u32_e32 v26, v25, v7
	s_waitcnt lgkmcnt(0)
	s_barrier
	; wave barrier
	s_and_saveexec_b64 s[24:25], s[26:27]
; %bb.11:                               ;   in Loop: Header=BB160_2 Depth=1
	v_bcnt_u32_b32 v5, v5, 0
	v_bcnt_u32_b32 v5, v6, v5
	ds_write_b32 v26, v5 offset:12
; %bb.12:                               ;   in Loop: Header=BB160_2 Depth=1
	s_or_b64 exec, exec, s[24:25]
	; wave barrier
	s_waitcnt lgkmcnt(0)
	s_barrier
	ds_read2_b32 v[7:8], v18 offset0:3 offset1:4
	ds_read2_b32 v[5:6], v18 offset0:5 offset1:6
	s_waitcnt lgkmcnt(1)
	v_add_u32_e32 v27, v8, v7
	s_waitcnt lgkmcnt(0)
	v_add3_u32 v6, v27, v5, v6
	s_nop 1
	v_mov_b32_dpp v27, v6 row_shr:1 row_mask:0xf bank_mask:0xf
	v_cndmask_b32_e64 v27, v27, 0, s[8:9]
	v_add_u32_e32 v6, v27, v6
	s_nop 1
	v_mov_b32_dpp v27, v6 row_shr:2 row_mask:0xf bank_mask:0xf
	v_cndmask_b32_e64 v27, 0, v27, s[10:11]
	v_add_u32_e32 v6, v6, v27
	;; [unrolled: 4-line block ×4, first 2 shown]
	s_nop 1
	v_mov_b32_dpp v27, v6 row_bcast:15 row_mask:0xf bank_mask:0xf
	v_cndmask_b32_e64 v27, v27, 0, s[16:17]
	v_add_u32_e32 v6, v6, v27
	s_nop 1
	v_mov_b32_dpp v27, v6 row_bcast:31 row_mask:0xf bank_mask:0xf
	v_cndmask_b32_e64 v27, 0, v27, s[4:5]
	v_add_u32_e32 v6, v6, v27
	s_and_saveexec_b64 s[24:25], s[22:23]
; %bb.13:                               ;   in Loop: Header=BB160_2 Depth=1
	ds_write_b32 v19, v6
; %bb.14:                               ;   in Loop: Header=BB160_2 Depth=1
	s_or_b64 exec, exec, s[24:25]
	s_waitcnt lgkmcnt(0)
	s_barrier
	s_and_saveexec_b64 s[24:25], vcc
	s_cbranch_execz .LBB160_16
; %bb.15:                               ;   in Loop: Header=BB160_2 Depth=1
	ds_read_b32 v27, v20
	s_waitcnt lgkmcnt(0)
	s_nop 0
	v_mov_b32_dpp v28, v27 row_shr:1 row_mask:0xf bank_mask:0xf
	v_cndmask_b32_e64 v28, v28, 0, s[18:19]
	v_add_u32_e32 v27, v28, v27
	s_nop 1
	v_mov_b32_dpp v28, v27 row_shr:2 row_mask:0xf bank_mask:0xf
	v_cndmask_b32_e64 v28, 0, v28, s[20:21]
	v_add_u32_e32 v27, v27, v28
	ds_write_b32 v20, v27
.LBB160_16:                             ;   in Loop: Header=BB160_2 Depth=1
	s_or_b64 exec, exec, s[24:25]
	v_mov_b32_e32 v27, 0
	s_waitcnt lgkmcnt(0)
	s_barrier
	s_and_saveexec_b64 s[24:25], s[0:1]
; %bb.17:                               ;   in Loop: Header=BB160_2 Depth=1
	ds_read_b32 v27, v23
; %bb.18:                               ;   in Loop: Header=BB160_2 Depth=1
	s_or_b64 exec, exec, s[24:25]
	s_waitcnt lgkmcnt(0)
	v_add_u32_e32 v6, v27, v6
	ds_bpermute_b32 v6, v24, v6
	v_lshlrev_b32_e32 v2, 3, v2
	s_waitcnt lgkmcnt(0)
	v_cndmask_b32_e64 v6, v6, v27, s[6:7]
	v_cndmask_b32_e64 v6, v6, 0, s[2:3]
	v_add_u32_e32 v7, v6, v7
	v_add_u32_e32 v8, v7, v8
	;; [unrolled: 1-line block ×3, first 2 shown]
	ds_write2_b32 v18, v6, v7 offset0:3 offset1:4
	ds_write2_b32 v18, v8, v5 offset0:5 offset1:6
	s_waitcnt lgkmcnt(0)
	s_barrier
	ds_read_b32 v5, v26 offset:12
	s_waitcnt lgkmcnt(0)
	s_barrier
	v_lshl_add_u32 v2, v5, 3, v2
	ds_write_b64 v2, v[3:4]
	s_waitcnt lgkmcnt(0)
	s_barrier
	ds_read_b64 v[3:4], v21
	s_waitcnt lgkmcnt(0)
	s_barrier
	ds_write2_b32 v18, v1, v1 offset0:3 offset1:4
	ds_write2_b32 v18, v1, v1 offset0:5 offset1:6
	v_and_b32_sdwa v2, v4, s29 dst_sel:DWORD dst_unused:UNUSED_PAD src0_sel:WORD_1 src1_sel:DWORD
	v_mul_u32_u24_e32 v7, 12, v2
	v_and_b32_sdwa v2, v4, v10 dst_sel:DWORD dst_unused:UNUSED_PAD src0_sel:WORD_1 src1_sel:DWORD
	v_add_co_u32_e64 v5, s[24:25], -1, v2
	v_addc_co_u32_e64 v6, s[24:25], 0, -1, s[24:25]
	v_cmp_ne_u32_e64 s[24:25], 0, v2
	v_xor_b32_e32 v2, s25, v6
	v_and_b32_e32 v6, exec_hi, v2
	v_lshlrev_b32_sdwa v2, v11, v4 dst_sel:DWORD dst_unused:UNUSED_PAD src0_sel:DWORD src1_sel:WORD_1
	v_xor_b32_e32 v5, s24, v5
	v_cmp_gt_i64_e64 s[24:25], 0, v[1:2]
	v_not_b32_e32 v2, v2
	v_ashrrev_i32_e32 v2, 31, v2
	v_and_b32_e32 v5, exec_lo, v5
	v_xor_b32_e32 v8, s25, v2
	v_xor_b32_e32 v2, s24, v2
	v_and_b32_e32 v5, v5, v2
	v_lshlrev_b32_sdwa v2, v12, v4 dst_sel:DWORD dst_unused:UNUSED_PAD src0_sel:DWORD src1_sel:WORD_1
	v_cmp_gt_i64_e64 s[24:25], 0, v[1:2]
	v_not_b32_e32 v2, v2
	v_ashrrev_i32_e32 v2, 31, v2
	v_and_b32_e32 v6, v6, v8
	v_xor_b32_e32 v8, s25, v2
	v_xor_b32_e32 v2, s24, v2
	v_and_b32_e32 v5, v5, v2
	v_lshlrev_b32_sdwa v2, v13, v4 dst_sel:DWORD dst_unused:UNUSED_PAD src0_sel:DWORD src1_sel:WORD_1
	v_cmp_gt_i64_e64 s[24:25], 0, v[1:2]
	v_not_b32_e32 v2, v2
	v_ashrrev_i32_e32 v2, 31, v2
	v_and_b32_e32 v6, v6, v8
	;; [unrolled: 8-line block ×6, first 2 shown]
	v_xor_b32_e32 v8, s25, v2
	v_xor_b32_e32 v2, s24, v2
	v_and_b32_e32 v5, v5, v2
	v_and_b32_e32 v6, v6, v8
	v_mbcnt_lo_u32_b32 v2, v5, 0
	v_mbcnt_hi_u32_b32 v2, v6, v2
	v_cmp_ne_u64_e64 s[24:25], 0, v[5:6]
	v_cmp_eq_u32_e64 s[26:27], 0, v2
	s_and_b64 s[26:27], s[26:27], s[24:25]
	v_add_u32_e32 v26, v25, v7
	s_waitcnt lgkmcnt(0)
	s_barrier
	; wave barrier
	s_and_saveexec_b64 s[24:25], s[26:27]
; %bb.19:                               ;   in Loop: Header=BB160_2 Depth=1
	v_bcnt_u32_b32 v5, v5, 0
	v_bcnt_u32_b32 v5, v6, v5
	ds_write_b32 v26, v5 offset:12
; %bb.20:                               ;   in Loop: Header=BB160_2 Depth=1
	s_or_b64 exec, exec, s[24:25]
	; wave barrier
	s_waitcnt lgkmcnt(0)
	s_barrier
	ds_read2_b32 v[7:8], v18 offset0:3 offset1:4
	ds_read2_b32 v[5:6], v18 offset0:5 offset1:6
	s_waitcnt lgkmcnt(1)
	v_add_u32_e32 v27, v8, v7
	s_waitcnt lgkmcnt(0)
	v_add3_u32 v6, v27, v5, v6
	s_nop 1
	v_mov_b32_dpp v27, v6 row_shr:1 row_mask:0xf bank_mask:0xf
	v_cndmask_b32_e64 v27, v27, 0, s[8:9]
	v_add_u32_e32 v6, v27, v6
	s_nop 1
	v_mov_b32_dpp v27, v6 row_shr:2 row_mask:0xf bank_mask:0xf
	v_cndmask_b32_e64 v27, 0, v27, s[10:11]
	v_add_u32_e32 v6, v6, v27
	;; [unrolled: 4-line block ×4, first 2 shown]
	s_nop 1
	v_mov_b32_dpp v27, v6 row_bcast:15 row_mask:0xf bank_mask:0xf
	v_cndmask_b32_e64 v27, v27, 0, s[16:17]
	v_add_u32_e32 v6, v6, v27
	s_nop 1
	v_mov_b32_dpp v27, v6 row_bcast:31 row_mask:0xf bank_mask:0xf
	v_cndmask_b32_e64 v27, 0, v27, s[4:5]
	v_add_u32_e32 v6, v6, v27
	s_and_saveexec_b64 s[24:25], s[22:23]
; %bb.21:                               ;   in Loop: Header=BB160_2 Depth=1
	ds_write_b32 v19, v6
; %bb.22:                               ;   in Loop: Header=BB160_2 Depth=1
	s_or_b64 exec, exec, s[24:25]
	s_waitcnt lgkmcnt(0)
	s_barrier
	s_and_saveexec_b64 s[24:25], vcc
	s_cbranch_execz .LBB160_24
; %bb.23:                               ;   in Loop: Header=BB160_2 Depth=1
	ds_read_b32 v27, v20
	s_waitcnt lgkmcnt(0)
	s_nop 0
	v_mov_b32_dpp v28, v27 row_shr:1 row_mask:0xf bank_mask:0xf
	v_cndmask_b32_e64 v28, v28, 0, s[18:19]
	v_add_u32_e32 v27, v28, v27
	s_nop 1
	v_mov_b32_dpp v28, v27 row_shr:2 row_mask:0xf bank_mask:0xf
	v_cndmask_b32_e64 v28, 0, v28, s[20:21]
	v_add_u32_e32 v27, v27, v28
	ds_write_b32 v20, v27
.LBB160_24:                             ;   in Loop: Header=BB160_2 Depth=1
	s_or_b64 exec, exec, s[24:25]
	v_mov_b32_e32 v27, 0
	s_waitcnt lgkmcnt(0)
	s_barrier
	s_and_saveexec_b64 s[24:25], s[0:1]
; %bb.25:                               ;   in Loop: Header=BB160_2 Depth=1
	ds_read_b32 v27, v23
; %bb.26:                               ;   in Loop: Header=BB160_2 Depth=1
	s_or_b64 exec, exec, s[24:25]
	s_waitcnt lgkmcnt(0)
	v_add_u32_e32 v6, v27, v6
	ds_bpermute_b32 v6, v24, v6
	v_lshlrev_b32_e32 v2, 3, v2
	s_waitcnt lgkmcnt(0)
	v_cndmask_b32_e64 v6, v6, v27, s[6:7]
	v_cndmask_b32_e64 v6, v6, 0, s[2:3]
	v_add_u32_e32 v7, v6, v7
	v_add_u32_e32 v8, v7, v8
	;; [unrolled: 1-line block ×3, first 2 shown]
	ds_write2_b32 v18, v6, v7 offset0:3 offset1:4
	ds_write2_b32 v18, v8, v5 offset0:5 offset1:6
	s_waitcnt lgkmcnt(0)
	s_barrier
	ds_read_b32 v5, v26 offset:12
	s_waitcnt lgkmcnt(0)
	s_barrier
	v_lshl_add_u32 v2, v5, 3, v2
	ds_write_b64 v2, v[3:4]
	s_waitcnt lgkmcnt(0)
	s_barrier
	ds_read_b64 v[3:4], v21
	s_waitcnt lgkmcnt(0)
	s_barrier
	ds_write2_b32 v18, v1, v1 offset0:3 offset1:4
	ds_write2_b32 v18, v1, v1 offset0:5 offset1:6
	v_and_b32_sdwa v2, v4, v10 dst_sel:DWORD dst_unused:UNUSED_PAD src0_sel:BYTE_3 src1_sel:DWORD
	v_add_co_u32_e64 v5, s[24:25], -1, v2
	v_addc_co_u32_e64 v6, s[24:25], 0, -1, s[24:25]
	v_cmp_ne_u32_e64 s[24:25], 0, v2
	v_xor_b32_e32 v2, s25, v6
	v_and_b32_e32 v6, exec_hi, v2
	v_lshlrev_b32_sdwa v2, v11, v4 dst_sel:DWORD dst_unused:UNUSED_PAD src0_sel:DWORD src1_sel:BYTE_3
	v_xor_b32_e32 v5, s24, v5
	v_cmp_gt_i64_e64 s[24:25], 0, v[1:2]
	v_not_b32_e32 v2, v2
	v_ashrrev_i32_e32 v2, 31, v2
	v_and_b32_e32 v5, exec_lo, v5
	v_xor_b32_e32 v8, s25, v2
	v_xor_b32_e32 v2, s24, v2
	v_and_b32_e32 v5, v5, v2
	v_lshlrev_b32_sdwa v2, v12, v4 dst_sel:DWORD dst_unused:UNUSED_PAD src0_sel:DWORD src1_sel:BYTE_3
	v_cmp_gt_i64_e64 s[24:25], 0, v[1:2]
	v_not_b32_e32 v2, v2
	v_ashrrev_i32_e32 v2, 31, v2
	v_and_b32_e32 v6, v6, v8
	v_xor_b32_e32 v8, s25, v2
	v_xor_b32_e32 v2, s24, v2
	v_and_b32_e32 v5, v5, v2
	v_lshlrev_b32_sdwa v2, v13, v4 dst_sel:DWORD dst_unused:UNUSED_PAD src0_sel:DWORD src1_sel:BYTE_3
	v_cmp_gt_i64_e64 s[24:25], 0, v[1:2]
	v_not_b32_e32 v2, v2
	v_ashrrev_i32_e32 v2, 31, v2
	v_and_b32_e32 v6, v6, v8
	;; [unrolled: 8-line block ×6, first 2 shown]
	v_xor_b32_e32 v8, s25, v2
	v_xor_b32_e32 v2, s24, v2
	v_and_b32_e32 v5, v5, v2
	v_and_b32_e32 v6, v6, v8
	v_mbcnt_lo_u32_b32 v2, v5, 0
	v_mbcnt_hi_u32_b32 v2, v6, v2
	v_cmp_ne_u64_e64 s[24:25], 0, v[5:6]
	v_mul_u32_u24_sdwa v7, v4, v9 dst_sel:DWORD dst_unused:UNUSED_PAD src0_sel:BYTE_3 src1_sel:DWORD
	v_cmp_eq_u32_e64 s[26:27], 0, v2
	s_and_b64 s[26:27], s[26:27], s[24:25]
	v_add_u32_e32 v26, v25, v7
	s_waitcnt lgkmcnt(0)
	s_barrier
	; wave barrier
	s_and_saveexec_b64 s[24:25], s[26:27]
; %bb.27:                               ;   in Loop: Header=BB160_2 Depth=1
	v_bcnt_u32_b32 v5, v5, 0
	v_bcnt_u32_b32 v5, v6, v5
	ds_write_b32 v26, v5 offset:12
; %bb.28:                               ;   in Loop: Header=BB160_2 Depth=1
	s_or_b64 exec, exec, s[24:25]
	; wave barrier
	s_waitcnt lgkmcnt(0)
	s_barrier
	ds_read2_b32 v[7:8], v18 offset0:3 offset1:4
	ds_read2_b32 v[5:6], v18 offset0:5 offset1:6
	s_waitcnt lgkmcnt(1)
	v_add_u32_e32 v27, v8, v7
	s_waitcnt lgkmcnt(0)
	v_add3_u32 v6, v27, v5, v6
	s_nop 1
	v_mov_b32_dpp v27, v6 row_shr:1 row_mask:0xf bank_mask:0xf
	v_cndmask_b32_e64 v27, v27, 0, s[8:9]
	v_add_u32_e32 v6, v27, v6
	s_nop 1
	v_mov_b32_dpp v27, v6 row_shr:2 row_mask:0xf bank_mask:0xf
	v_cndmask_b32_e64 v27, 0, v27, s[10:11]
	v_add_u32_e32 v6, v6, v27
	s_nop 1
	v_mov_b32_dpp v27, v6 row_shr:4 row_mask:0xf bank_mask:0xf
	v_cndmask_b32_e64 v27, 0, v27, s[12:13]
	v_add_u32_e32 v6, v6, v27
	s_nop 1
	v_mov_b32_dpp v27, v6 row_shr:8 row_mask:0xf bank_mask:0xf
	v_cndmask_b32_e64 v27, 0, v27, s[14:15]
	v_add_u32_e32 v6, v6, v27
	s_nop 1
	v_mov_b32_dpp v27, v6 row_bcast:15 row_mask:0xf bank_mask:0xf
	v_cndmask_b32_e64 v27, v27, 0, s[16:17]
	v_add_u32_e32 v6, v6, v27
	s_nop 1
	v_mov_b32_dpp v27, v6 row_bcast:31 row_mask:0xf bank_mask:0xf
	v_cndmask_b32_e64 v27, 0, v27, s[4:5]
	v_add_u32_e32 v6, v6, v27
	s_and_saveexec_b64 s[24:25], s[22:23]
; %bb.29:                               ;   in Loop: Header=BB160_2 Depth=1
	ds_write_b32 v19, v6
; %bb.30:                               ;   in Loop: Header=BB160_2 Depth=1
	s_or_b64 exec, exec, s[24:25]
	s_waitcnt lgkmcnt(0)
	s_barrier
	s_and_saveexec_b64 s[24:25], vcc
	s_cbranch_execz .LBB160_32
; %bb.31:                               ;   in Loop: Header=BB160_2 Depth=1
	ds_read_b32 v27, v20
	s_waitcnt lgkmcnt(0)
	s_nop 0
	v_mov_b32_dpp v28, v27 row_shr:1 row_mask:0xf bank_mask:0xf
	v_cndmask_b32_e64 v28, v28, 0, s[18:19]
	v_add_u32_e32 v27, v28, v27
	s_nop 1
	v_mov_b32_dpp v28, v27 row_shr:2 row_mask:0xf bank_mask:0xf
	v_cndmask_b32_e64 v28, 0, v28, s[20:21]
	v_add_u32_e32 v27, v27, v28
	ds_write_b32 v20, v27
.LBB160_32:                             ;   in Loop: Header=BB160_2 Depth=1
	s_or_b64 exec, exec, s[24:25]
	v_mov_b32_e32 v27, 0
	s_waitcnt lgkmcnt(0)
	s_barrier
	s_and_saveexec_b64 s[24:25], s[0:1]
; %bb.33:                               ;   in Loop: Header=BB160_2 Depth=1
	ds_read_b32 v27, v23
; %bb.34:                               ;   in Loop: Header=BB160_2 Depth=1
	s_or_b64 exec, exec, s[24:25]
	s_waitcnt lgkmcnt(0)
	v_add_u32_e32 v6, v27, v6
	ds_bpermute_b32 v6, v24, v6
	v_lshlrev_b32_e32 v2, 3, v2
	s_waitcnt lgkmcnt(0)
	v_cndmask_b32_e64 v6, v6, v27, s[6:7]
	v_cndmask_b32_e64 v6, v6, 0, s[2:3]
	v_add_u32_e32 v7, v6, v7
	v_add_u32_e32 v8, v7, v8
	;; [unrolled: 1-line block ×3, first 2 shown]
	ds_write2_b32 v18, v6, v7 offset0:3 offset1:4
	ds_write2_b32 v18, v8, v5 offset0:5 offset1:6
	s_waitcnt lgkmcnt(0)
	s_barrier
	ds_read_b32 v5, v26 offset:12
	s_waitcnt lgkmcnt(0)
	s_barrier
	v_lshl_add_u32 v2, v5, 3, v2
	ds_write_b64 v2, v[3:4]
	s_waitcnt lgkmcnt(0)
	s_barrier
	ds_read_b64 v[3:4], v21
	s_waitcnt lgkmcnt(0)
	s_barrier
	ds_write2_b32 v18, v1, v1 offset0:3 offset1:4
	ds_write2_b32 v18, v1, v1 offset0:5 offset1:6
	v_and_b32_e32 v2, 1, v3
	v_add_co_u32_e64 v5, s[24:25], -1, v2
	v_addc_co_u32_e64 v6, s[24:25], 0, -1, s[24:25]
	v_cmp_ne_u32_e64 s[24:25], 0, v2
	v_xor_b32_e32 v2, s25, v6
	v_and_b32_e32 v6, exec_hi, v2
	v_lshlrev_b32_e32 v2, 30, v3
	v_xor_b32_e32 v5, s24, v5
	v_cmp_gt_i64_e64 s[24:25], 0, v[1:2]
	v_not_b32_e32 v2, v2
	v_ashrrev_i32_e32 v2, 31, v2
	v_and_b32_e32 v5, exec_lo, v5
	v_xor_b32_e32 v8, s25, v2
	v_xor_b32_e32 v2, s24, v2
	v_and_b32_e32 v5, v5, v2
	v_lshlrev_b32_e32 v2, 29, v3
	v_cmp_gt_i64_e64 s[24:25], 0, v[1:2]
	v_not_b32_e32 v2, v2
	v_ashrrev_i32_e32 v2, 31, v2
	v_and_b32_e32 v6, v6, v8
	v_xor_b32_e32 v8, s25, v2
	v_xor_b32_e32 v2, s24, v2
	v_and_b32_e32 v5, v5, v2
	v_lshlrev_b32_e32 v2, 28, v3
	v_cmp_gt_i64_e64 s[24:25], 0, v[1:2]
	v_not_b32_e32 v2, v2
	v_ashrrev_i32_e32 v2, 31, v2
	v_and_b32_e32 v6, v6, v8
	;; [unrolled: 8-line block ×6, first 2 shown]
	v_xor_b32_e32 v8, s25, v2
	v_xor_b32_e32 v2, s24, v2
	v_and_b32_e32 v5, v5, v2
	v_and_b32_e32 v6, v6, v8
	v_mbcnt_lo_u32_b32 v2, v5, 0
	v_mbcnt_hi_u32_b32 v2, v6, v2
	v_cmp_ne_u64_e64 s[24:25], 0, v[5:6]
	v_mul_u32_u24_sdwa v7, v3, v9 dst_sel:DWORD dst_unused:UNUSED_PAD src0_sel:BYTE_0 src1_sel:DWORD
	v_cmp_eq_u32_e64 s[26:27], 0, v2
	s_and_b64 s[26:27], s[26:27], s[24:25]
	v_add_u32_e32 v26, v25, v7
	s_waitcnt lgkmcnt(0)
	s_barrier
	; wave barrier
	s_and_saveexec_b64 s[24:25], s[26:27]
; %bb.35:                               ;   in Loop: Header=BB160_2 Depth=1
	v_bcnt_u32_b32 v5, v5, 0
	v_bcnt_u32_b32 v5, v6, v5
	ds_write_b32 v26, v5 offset:12
; %bb.36:                               ;   in Loop: Header=BB160_2 Depth=1
	s_or_b64 exec, exec, s[24:25]
	; wave barrier
	s_waitcnt lgkmcnt(0)
	s_barrier
	ds_read2_b32 v[7:8], v18 offset0:3 offset1:4
	ds_read2_b32 v[5:6], v18 offset0:5 offset1:6
	s_waitcnt lgkmcnt(1)
	v_add_u32_e32 v27, v8, v7
	s_waitcnt lgkmcnt(0)
	v_add3_u32 v6, v27, v5, v6
	s_nop 1
	v_mov_b32_dpp v27, v6 row_shr:1 row_mask:0xf bank_mask:0xf
	v_cndmask_b32_e64 v27, v27, 0, s[8:9]
	v_add_u32_e32 v6, v27, v6
	s_nop 1
	v_mov_b32_dpp v27, v6 row_shr:2 row_mask:0xf bank_mask:0xf
	v_cndmask_b32_e64 v27, 0, v27, s[10:11]
	v_add_u32_e32 v6, v6, v27
	;; [unrolled: 4-line block ×4, first 2 shown]
	s_nop 1
	v_mov_b32_dpp v27, v6 row_bcast:15 row_mask:0xf bank_mask:0xf
	v_cndmask_b32_e64 v27, v27, 0, s[16:17]
	v_add_u32_e32 v6, v6, v27
	s_nop 1
	v_mov_b32_dpp v27, v6 row_bcast:31 row_mask:0xf bank_mask:0xf
	v_cndmask_b32_e64 v27, 0, v27, s[4:5]
	v_add_u32_e32 v6, v6, v27
	s_and_saveexec_b64 s[24:25], s[22:23]
; %bb.37:                               ;   in Loop: Header=BB160_2 Depth=1
	ds_write_b32 v19, v6
; %bb.38:                               ;   in Loop: Header=BB160_2 Depth=1
	s_or_b64 exec, exec, s[24:25]
	s_waitcnt lgkmcnt(0)
	s_barrier
	s_and_saveexec_b64 s[24:25], vcc
	s_cbranch_execz .LBB160_40
; %bb.39:                               ;   in Loop: Header=BB160_2 Depth=1
	ds_read_b32 v27, v20
	s_waitcnt lgkmcnt(0)
	s_nop 0
	v_mov_b32_dpp v28, v27 row_shr:1 row_mask:0xf bank_mask:0xf
	v_cndmask_b32_e64 v28, v28, 0, s[18:19]
	v_add_u32_e32 v27, v28, v27
	s_nop 1
	v_mov_b32_dpp v28, v27 row_shr:2 row_mask:0xf bank_mask:0xf
	v_cndmask_b32_e64 v28, 0, v28, s[20:21]
	v_add_u32_e32 v27, v27, v28
	ds_write_b32 v20, v27
.LBB160_40:                             ;   in Loop: Header=BB160_2 Depth=1
	s_or_b64 exec, exec, s[24:25]
	v_mov_b32_e32 v27, 0
	s_waitcnt lgkmcnt(0)
	s_barrier
	s_and_saveexec_b64 s[24:25], s[0:1]
; %bb.41:                               ;   in Loop: Header=BB160_2 Depth=1
	ds_read_b32 v27, v23
; %bb.42:                               ;   in Loop: Header=BB160_2 Depth=1
	s_or_b64 exec, exec, s[24:25]
	s_waitcnt lgkmcnt(0)
	v_add_u32_e32 v6, v27, v6
	ds_bpermute_b32 v6, v24, v6
	v_lshlrev_b32_e32 v2, 3, v2
	s_waitcnt lgkmcnt(0)
	v_cndmask_b32_e64 v6, v6, v27, s[6:7]
	v_cndmask_b32_e64 v6, v6, 0, s[2:3]
	v_add_u32_e32 v7, v6, v7
	v_add_u32_e32 v8, v7, v8
	;; [unrolled: 1-line block ×3, first 2 shown]
	ds_write2_b32 v18, v6, v7 offset0:3 offset1:4
	ds_write2_b32 v18, v8, v5 offset0:5 offset1:6
	s_waitcnt lgkmcnt(0)
	s_barrier
	ds_read_b32 v5, v26 offset:12
	s_waitcnt lgkmcnt(0)
	s_barrier
	v_lshl_add_u32 v2, v5, 3, v2
	ds_write_b64 v2, v[3:4]
	s_waitcnt lgkmcnt(0)
	s_barrier
	ds_read_b64 v[3:4], v21
	s_waitcnt lgkmcnt(0)
	s_barrier
	ds_write2_b32 v18, v1, v1 offset0:3 offset1:4
	ds_write2_b32 v18, v1, v1 offset0:5 offset1:6
	v_lshrrev_b32_e32 v5, 8, v3
	v_and_b32_e32 v2, 1, v5
	v_add_co_u32_e64 v6, s[24:25], -1, v2
	v_addc_co_u32_e64 v8, s[24:25], 0, -1, s[24:25]
	v_cmp_ne_u32_e64 s[24:25], 0, v2
	v_xor_b32_e32 v2, s25, v8
	v_and_b32_e32 v8, exec_hi, v2
	v_lshlrev_b32_e32 v2, 30, v5
	v_xor_b32_e32 v6, s24, v6
	v_cmp_gt_i64_e64 s[24:25], 0, v[1:2]
	v_not_b32_e32 v2, v2
	v_ashrrev_i32_e32 v2, 31, v2
	v_and_b32_e32 v6, exec_lo, v6
	v_xor_b32_e32 v26, s25, v2
	v_xor_b32_e32 v2, s24, v2
	v_and_b32_e32 v6, v6, v2
	v_lshlrev_b32_e32 v2, 29, v5
	v_cmp_gt_i64_e64 s[24:25], 0, v[1:2]
	v_not_b32_e32 v2, v2
	v_ashrrev_i32_e32 v2, 31, v2
	v_and_b32_e32 v8, v8, v26
	v_xor_b32_e32 v26, s25, v2
	v_xor_b32_e32 v2, s24, v2
	v_and_b32_e32 v6, v6, v2
	v_lshlrev_b32_e32 v2, 28, v5
	v_cmp_gt_i64_e64 s[24:25], 0, v[1:2]
	v_not_b32_e32 v2, v2
	v_ashrrev_i32_e32 v2, 31, v2
	v_and_b32_e32 v8, v8, v26
	;; [unrolled: 8-line block ×5, first 2 shown]
	v_xor_b32_e32 v26, s25, v2
	v_xor_b32_e32 v2, s24, v2
	v_and_b32_e32 v8, v8, v26
	v_and_b32_e32 v26, v6, v2
	v_lshlrev_b32_e32 v2, 24, v5
	v_cmp_gt_i64_e64 s[24:25], 0, v[1:2]
	v_not_b32_e32 v2, v2
	v_ashrrev_i32_e32 v2, 31, v2
	v_mul_u32_u24_sdwa v7, v5, v9 dst_sel:DWORD dst_unused:UNUSED_PAD src0_sel:BYTE_0 src1_sel:DWORD
	v_xor_b32_e32 v5, s25, v2
	v_xor_b32_e32 v2, s24, v2
	v_and_b32_e32 v6, v8, v5
	v_and_b32_e32 v5, v26, v2
	v_mbcnt_lo_u32_b32 v2, v5, 0
	v_mbcnt_hi_u32_b32 v2, v6, v2
	v_cmp_ne_u64_e64 s[24:25], 0, v[5:6]
	v_cmp_eq_u32_e64 s[26:27], 0, v2
	s_and_b64 s[26:27], s[26:27], s[24:25]
	v_add_u32_e32 v26, v25, v7
	s_waitcnt lgkmcnt(0)
	s_barrier
	; wave barrier
	s_and_saveexec_b64 s[24:25], s[26:27]
; %bb.43:                               ;   in Loop: Header=BB160_2 Depth=1
	v_bcnt_u32_b32 v5, v5, 0
	v_bcnt_u32_b32 v5, v6, v5
	ds_write_b32 v26, v5 offset:12
; %bb.44:                               ;   in Loop: Header=BB160_2 Depth=1
	s_or_b64 exec, exec, s[24:25]
	; wave barrier
	s_waitcnt lgkmcnt(0)
	s_barrier
	ds_read2_b32 v[7:8], v18 offset0:3 offset1:4
	ds_read2_b32 v[5:6], v18 offset0:5 offset1:6
	s_waitcnt lgkmcnt(1)
	v_add_u32_e32 v27, v8, v7
	s_waitcnt lgkmcnt(0)
	v_add3_u32 v6, v27, v5, v6
	s_nop 1
	v_mov_b32_dpp v27, v6 row_shr:1 row_mask:0xf bank_mask:0xf
	v_cndmask_b32_e64 v27, v27, 0, s[8:9]
	v_add_u32_e32 v6, v27, v6
	s_nop 1
	v_mov_b32_dpp v27, v6 row_shr:2 row_mask:0xf bank_mask:0xf
	v_cndmask_b32_e64 v27, 0, v27, s[10:11]
	v_add_u32_e32 v6, v6, v27
	;; [unrolled: 4-line block ×4, first 2 shown]
	s_nop 1
	v_mov_b32_dpp v27, v6 row_bcast:15 row_mask:0xf bank_mask:0xf
	v_cndmask_b32_e64 v27, v27, 0, s[16:17]
	v_add_u32_e32 v6, v6, v27
	s_nop 1
	v_mov_b32_dpp v27, v6 row_bcast:31 row_mask:0xf bank_mask:0xf
	v_cndmask_b32_e64 v27, 0, v27, s[4:5]
	v_add_u32_e32 v6, v6, v27
	s_and_saveexec_b64 s[24:25], s[22:23]
; %bb.45:                               ;   in Loop: Header=BB160_2 Depth=1
	ds_write_b32 v19, v6
; %bb.46:                               ;   in Loop: Header=BB160_2 Depth=1
	s_or_b64 exec, exec, s[24:25]
	s_waitcnt lgkmcnt(0)
	s_barrier
	s_and_saveexec_b64 s[24:25], vcc
	s_cbranch_execz .LBB160_48
; %bb.47:                               ;   in Loop: Header=BB160_2 Depth=1
	ds_read_b32 v27, v20
	s_waitcnt lgkmcnt(0)
	s_nop 0
	v_mov_b32_dpp v28, v27 row_shr:1 row_mask:0xf bank_mask:0xf
	v_cndmask_b32_e64 v28, v28, 0, s[18:19]
	v_add_u32_e32 v27, v28, v27
	s_nop 1
	v_mov_b32_dpp v28, v27 row_shr:2 row_mask:0xf bank_mask:0xf
	v_cndmask_b32_e64 v28, 0, v28, s[20:21]
	v_add_u32_e32 v27, v27, v28
	ds_write_b32 v20, v27
.LBB160_48:                             ;   in Loop: Header=BB160_2 Depth=1
	s_or_b64 exec, exec, s[24:25]
	v_mov_b32_e32 v27, 0
	s_waitcnt lgkmcnt(0)
	s_barrier
	s_and_saveexec_b64 s[24:25], s[0:1]
; %bb.49:                               ;   in Loop: Header=BB160_2 Depth=1
	ds_read_b32 v27, v23
; %bb.50:                               ;   in Loop: Header=BB160_2 Depth=1
	s_or_b64 exec, exec, s[24:25]
	s_waitcnt lgkmcnt(0)
	v_add_u32_e32 v6, v27, v6
	ds_bpermute_b32 v6, v24, v6
	v_lshlrev_b32_e32 v2, 3, v2
	s_waitcnt lgkmcnt(0)
	v_cndmask_b32_e64 v6, v6, v27, s[6:7]
	v_cndmask_b32_e64 v6, v6, 0, s[2:3]
	v_add_u32_e32 v7, v6, v7
	v_add_u32_e32 v8, v7, v8
	;; [unrolled: 1-line block ×3, first 2 shown]
	ds_write2_b32 v18, v6, v7 offset0:3 offset1:4
	ds_write2_b32 v18, v8, v5 offset0:5 offset1:6
	s_waitcnt lgkmcnt(0)
	s_barrier
	ds_read_b32 v5, v26 offset:12
	s_waitcnt lgkmcnt(0)
	s_barrier
	v_lshl_add_u32 v2, v5, 3, v2
	ds_write_b64 v2, v[3:4]
	s_waitcnt lgkmcnt(0)
	s_barrier
	ds_read_b64 v[3:4], v21
	s_waitcnt lgkmcnt(0)
	s_barrier
	ds_write2_b32 v18, v1, v1 offset0:3 offset1:4
	ds_write2_b32 v18, v1, v1 offset0:5 offset1:6
	v_and_b32_sdwa v2, v3, s29 dst_sel:DWORD dst_unused:UNUSED_PAD src0_sel:WORD_1 src1_sel:DWORD
	v_mul_u32_u24_e32 v7, 12, v2
	v_and_b32_sdwa v2, v3, v10 dst_sel:DWORD dst_unused:UNUSED_PAD src0_sel:WORD_1 src1_sel:DWORD
	v_add_co_u32_e64 v5, s[24:25], -1, v2
	v_addc_co_u32_e64 v6, s[24:25], 0, -1, s[24:25]
	v_cmp_ne_u32_e64 s[24:25], 0, v2
	v_xor_b32_e32 v2, s25, v6
	v_and_b32_e32 v6, exec_hi, v2
	v_lshlrev_b32_sdwa v2, v11, v3 dst_sel:DWORD dst_unused:UNUSED_PAD src0_sel:DWORD src1_sel:WORD_1
	v_xor_b32_e32 v5, s24, v5
	v_cmp_gt_i64_e64 s[24:25], 0, v[1:2]
	v_not_b32_e32 v2, v2
	v_ashrrev_i32_e32 v2, 31, v2
	v_and_b32_e32 v5, exec_lo, v5
	v_xor_b32_e32 v8, s25, v2
	v_xor_b32_e32 v2, s24, v2
	v_and_b32_e32 v5, v5, v2
	v_lshlrev_b32_sdwa v2, v12, v3 dst_sel:DWORD dst_unused:UNUSED_PAD src0_sel:DWORD src1_sel:WORD_1
	v_cmp_gt_i64_e64 s[24:25], 0, v[1:2]
	v_not_b32_e32 v2, v2
	v_ashrrev_i32_e32 v2, 31, v2
	v_and_b32_e32 v6, v6, v8
	v_xor_b32_e32 v8, s25, v2
	v_xor_b32_e32 v2, s24, v2
	v_and_b32_e32 v5, v5, v2
	v_lshlrev_b32_sdwa v2, v13, v3 dst_sel:DWORD dst_unused:UNUSED_PAD src0_sel:DWORD src1_sel:WORD_1
	v_cmp_gt_i64_e64 s[24:25], 0, v[1:2]
	v_not_b32_e32 v2, v2
	v_ashrrev_i32_e32 v2, 31, v2
	v_and_b32_e32 v6, v6, v8
	;; [unrolled: 8-line block ×6, first 2 shown]
	v_xor_b32_e32 v8, s25, v2
	v_xor_b32_e32 v2, s24, v2
	v_and_b32_e32 v5, v5, v2
	v_and_b32_e32 v6, v6, v8
	v_mbcnt_lo_u32_b32 v2, v5, 0
	v_mbcnt_hi_u32_b32 v2, v6, v2
	v_cmp_ne_u64_e64 s[24:25], 0, v[5:6]
	v_cmp_eq_u32_e64 s[26:27], 0, v2
	s_and_b64 s[26:27], s[26:27], s[24:25]
	v_add_u32_e32 v26, v25, v7
	s_waitcnt lgkmcnt(0)
	s_barrier
	; wave barrier
	s_and_saveexec_b64 s[24:25], s[26:27]
; %bb.51:                               ;   in Loop: Header=BB160_2 Depth=1
	v_bcnt_u32_b32 v5, v5, 0
	v_bcnt_u32_b32 v5, v6, v5
	ds_write_b32 v26, v5 offset:12
; %bb.52:                               ;   in Loop: Header=BB160_2 Depth=1
	s_or_b64 exec, exec, s[24:25]
	; wave barrier
	s_waitcnt lgkmcnt(0)
	s_barrier
	ds_read2_b32 v[7:8], v18 offset0:3 offset1:4
	ds_read2_b32 v[5:6], v18 offset0:5 offset1:6
	s_waitcnt lgkmcnt(1)
	v_add_u32_e32 v27, v8, v7
	s_waitcnt lgkmcnt(0)
	v_add3_u32 v6, v27, v5, v6
	s_nop 1
	v_mov_b32_dpp v27, v6 row_shr:1 row_mask:0xf bank_mask:0xf
	v_cndmask_b32_e64 v27, v27, 0, s[8:9]
	v_add_u32_e32 v6, v27, v6
	s_nop 1
	v_mov_b32_dpp v27, v6 row_shr:2 row_mask:0xf bank_mask:0xf
	v_cndmask_b32_e64 v27, 0, v27, s[10:11]
	v_add_u32_e32 v6, v6, v27
	;; [unrolled: 4-line block ×4, first 2 shown]
	s_nop 1
	v_mov_b32_dpp v27, v6 row_bcast:15 row_mask:0xf bank_mask:0xf
	v_cndmask_b32_e64 v27, v27, 0, s[16:17]
	v_add_u32_e32 v6, v6, v27
	s_nop 1
	v_mov_b32_dpp v27, v6 row_bcast:31 row_mask:0xf bank_mask:0xf
	v_cndmask_b32_e64 v27, 0, v27, s[4:5]
	v_add_u32_e32 v6, v6, v27
	s_and_saveexec_b64 s[24:25], s[22:23]
; %bb.53:                               ;   in Loop: Header=BB160_2 Depth=1
	ds_write_b32 v19, v6
; %bb.54:                               ;   in Loop: Header=BB160_2 Depth=1
	s_or_b64 exec, exec, s[24:25]
	s_waitcnt lgkmcnt(0)
	s_barrier
	s_and_saveexec_b64 s[24:25], vcc
	s_cbranch_execz .LBB160_56
; %bb.55:                               ;   in Loop: Header=BB160_2 Depth=1
	ds_read_b32 v27, v20
	s_waitcnt lgkmcnt(0)
	s_nop 0
	v_mov_b32_dpp v28, v27 row_shr:1 row_mask:0xf bank_mask:0xf
	v_cndmask_b32_e64 v28, v28, 0, s[18:19]
	v_add_u32_e32 v27, v28, v27
	s_nop 1
	v_mov_b32_dpp v28, v27 row_shr:2 row_mask:0xf bank_mask:0xf
	v_cndmask_b32_e64 v28, 0, v28, s[20:21]
	v_add_u32_e32 v27, v27, v28
	ds_write_b32 v20, v27
.LBB160_56:                             ;   in Loop: Header=BB160_2 Depth=1
	s_or_b64 exec, exec, s[24:25]
	v_mov_b32_e32 v27, 0
	s_waitcnt lgkmcnt(0)
	s_barrier
	s_and_saveexec_b64 s[24:25], s[0:1]
; %bb.57:                               ;   in Loop: Header=BB160_2 Depth=1
	ds_read_b32 v27, v23
; %bb.58:                               ;   in Loop: Header=BB160_2 Depth=1
	s_or_b64 exec, exec, s[24:25]
	s_waitcnt lgkmcnt(0)
	v_add_u32_e32 v6, v27, v6
	ds_bpermute_b32 v6, v24, v6
	v_lshlrev_b32_e32 v2, 3, v2
	s_waitcnt lgkmcnt(0)
	v_cndmask_b32_e64 v6, v6, v27, s[6:7]
	v_cndmask_b32_e64 v6, v6, 0, s[2:3]
	v_add_u32_e32 v7, v6, v7
	v_add_u32_e32 v8, v7, v8
	;; [unrolled: 1-line block ×3, first 2 shown]
	ds_write2_b32 v18, v6, v7 offset0:3 offset1:4
	ds_write2_b32 v18, v8, v5 offset0:5 offset1:6
	s_waitcnt lgkmcnt(0)
	s_barrier
	ds_read_b32 v5, v26 offset:12
	s_waitcnt lgkmcnt(0)
	s_barrier
	v_lshl_add_u32 v2, v5, 3, v2
	ds_write_b64 v2, v[3:4]
	s_waitcnt lgkmcnt(0)
	s_barrier
	ds_read_b64 v[3:4], v21
	s_waitcnt lgkmcnt(0)
	s_barrier
	ds_write2_b32 v18, v1, v1 offset0:3 offset1:4
	ds_write2_b32 v18, v1, v1 offset0:5 offset1:6
	v_and_b32_sdwa v2, v3, v10 dst_sel:DWORD dst_unused:UNUSED_PAD src0_sel:BYTE_3 src1_sel:DWORD
	v_add_co_u32_e64 v5, s[24:25], -1, v2
	v_addc_co_u32_e64 v6, s[24:25], 0, -1, s[24:25]
	v_cmp_ne_u32_e64 s[24:25], 0, v2
	v_xor_b32_e32 v2, s25, v6
	v_and_b32_e32 v6, exec_hi, v2
	v_lshlrev_b32_sdwa v2, v11, v3 dst_sel:DWORD dst_unused:UNUSED_PAD src0_sel:DWORD src1_sel:BYTE_3
	v_xor_b32_e32 v5, s24, v5
	v_cmp_gt_i64_e64 s[24:25], 0, v[1:2]
	v_not_b32_e32 v2, v2
	v_ashrrev_i32_e32 v2, 31, v2
	v_and_b32_e32 v5, exec_lo, v5
	v_xor_b32_e32 v8, s25, v2
	v_xor_b32_e32 v2, s24, v2
	v_and_b32_e32 v5, v5, v2
	v_lshlrev_b32_sdwa v2, v12, v3 dst_sel:DWORD dst_unused:UNUSED_PAD src0_sel:DWORD src1_sel:BYTE_3
	v_cmp_gt_i64_e64 s[24:25], 0, v[1:2]
	v_not_b32_e32 v2, v2
	v_ashrrev_i32_e32 v2, 31, v2
	v_and_b32_e32 v6, v6, v8
	v_xor_b32_e32 v8, s25, v2
	v_xor_b32_e32 v2, s24, v2
	v_and_b32_e32 v5, v5, v2
	v_lshlrev_b32_sdwa v2, v13, v3 dst_sel:DWORD dst_unused:UNUSED_PAD src0_sel:DWORD src1_sel:BYTE_3
	v_cmp_gt_i64_e64 s[24:25], 0, v[1:2]
	v_not_b32_e32 v2, v2
	v_ashrrev_i32_e32 v2, 31, v2
	v_and_b32_e32 v6, v6, v8
	;; [unrolled: 8-line block ×6, first 2 shown]
	v_xor_b32_e32 v8, s25, v2
	v_xor_b32_e32 v2, s24, v2
	v_and_b32_e32 v5, v5, v2
	v_and_b32_e32 v6, v6, v8
	v_mbcnt_lo_u32_b32 v2, v5, 0
	v_mbcnt_hi_u32_b32 v2, v6, v2
	v_cmp_ne_u64_e64 s[24:25], 0, v[5:6]
	v_mul_u32_u24_sdwa v7, v3, v9 dst_sel:DWORD dst_unused:UNUSED_PAD src0_sel:BYTE_3 src1_sel:DWORD
	v_cmp_eq_u32_e64 s[26:27], 0, v2
	s_and_b64 s[26:27], s[26:27], s[24:25]
	v_add_u32_e32 v26, v25, v7
	s_waitcnt lgkmcnt(0)
	s_barrier
	; wave barrier
	s_and_saveexec_b64 s[24:25], s[26:27]
; %bb.59:                               ;   in Loop: Header=BB160_2 Depth=1
	v_bcnt_u32_b32 v5, v5, 0
	v_bcnt_u32_b32 v5, v6, v5
	ds_write_b32 v26, v5 offset:12
; %bb.60:                               ;   in Loop: Header=BB160_2 Depth=1
	s_or_b64 exec, exec, s[24:25]
	; wave barrier
	s_waitcnt lgkmcnt(0)
	s_barrier
	ds_read2_b32 v[7:8], v18 offset0:3 offset1:4
	ds_read2_b32 v[5:6], v18 offset0:5 offset1:6
	s_waitcnt lgkmcnt(1)
	v_add_u32_e32 v27, v8, v7
	s_waitcnt lgkmcnt(0)
	v_add3_u32 v6, v27, v5, v6
	s_nop 1
	v_mov_b32_dpp v27, v6 row_shr:1 row_mask:0xf bank_mask:0xf
	v_cndmask_b32_e64 v27, v27, 0, s[8:9]
	v_add_u32_e32 v6, v27, v6
	s_nop 1
	v_mov_b32_dpp v27, v6 row_shr:2 row_mask:0xf bank_mask:0xf
	v_cndmask_b32_e64 v27, 0, v27, s[10:11]
	v_add_u32_e32 v6, v6, v27
	;; [unrolled: 4-line block ×4, first 2 shown]
	s_nop 1
	v_mov_b32_dpp v27, v6 row_bcast:15 row_mask:0xf bank_mask:0xf
	v_cndmask_b32_e64 v27, v27, 0, s[16:17]
	v_add_u32_e32 v6, v6, v27
	s_nop 1
	v_mov_b32_dpp v27, v6 row_bcast:31 row_mask:0xf bank_mask:0xf
	v_cndmask_b32_e64 v27, 0, v27, s[4:5]
	v_add_u32_e32 v6, v6, v27
	s_and_saveexec_b64 s[24:25], s[22:23]
; %bb.61:                               ;   in Loop: Header=BB160_2 Depth=1
	ds_write_b32 v19, v6
; %bb.62:                               ;   in Loop: Header=BB160_2 Depth=1
	s_or_b64 exec, exec, s[24:25]
	s_waitcnt lgkmcnt(0)
	s_barrier
	s_and_saveexec_b64 s[24:25], vcc
	s_cbranch_execz .LBB160_64
; %bb.63:                               ;   in Loop: Header=BB160_2 Depth=1
	ds_read_b32 v27, v20
	s_waitcnt lgkmcnt(0)
	s_nop 0
	v_mov_b32_dpp v28, v27 row_shr:1 row_mask:0xf bank_mask:0xf
	v_cndmask_b32_e64 v28, v28, 0, s[18:19]
	v_add_u32_e32 v27, v28, v27
	s_nop 1
	v_mov_b32_dpp v28, v27 row_shr:2 row_mask:0xf bank_mask:0xf
	v_cndmask_b32_e64 v28, 0, v28, s[20:21]
	v_add_u32_e32 v27, v27, v28
	ds_write_b32 v20, v27
.LBB160_64:                             ;   in Loop: Header=BB160_2 Depth=1
	s_or_b64 exec, exec, s[24:25]
	v_mov_b32_e32 v27, 0
	s_waitcnt lgkmcnt(0)
	s_barrier
	s_and_saveexec_b64 s[24:25], s[0:1]
	s_cbranch_execz .LBB160_1
; %bb.65:                               ;   in Loop: Header=BB160_2 Depth=1
	ds_read_b32 v27, v23
	s_branch .LBB160_1
.LBB160_66:
	s_add_u32 s0, s30, s34
	s_waitcnt lgkmcnt(0)
	v_xor_b32_e32 v2, 0x80000000, v4
	v_xor_b32_e32 v1, 0x80000000, v3
	s_addc_u32 s1, s31, s35
	v_lshlrev_b32_e32 v0, 3, v0
	global_store_dwordx2 v0, v[1:2], s[0:1]
	s_endpgm
	.section	.rodata,"a",@progbits
	.p2align	6, 0x0
	.amdhsa_kernel _Z16sort_keys_kernelI22helper_blocked_blockedN15benchmark_utils11custom_typeIiiEELj192ELj1ELj10EEvPKT0_PS4_
		.amdhsa_group_segment_fixed_size 3088
		.amdhsa_private_segment_fixed_size 0
		.amdhsa_kernarg_size 272
		.amdhsa_user_sgpr_count 6
		.amdhsa_user_sgpr_private_segment_buffer 1
		.amdhsa_user_sgpr_dispatch_ptr 0
		.amdhsa_user_sgpr_queue_ptr 0
		.amdhsa_user_sgpr_kernarg_segment_ptr 1
		.amdhsa_user_sgpr_dispatch_id 0
		.amdhsa_user_sgpr_flat_scratch_init 0
		.amdhsa_user_sgpr_private_segment_size 0
		.amdhsa_uses_dynamic_stack 0
		.amdhsa_system_sgpr_private_segment_wavefront_offset 0
		.amdhsa_system_sgpr_workgroup_id_x 1
		.amdhsa_system_sgpr_workgroup_id_y 0
		.amdhsa_system_sgpr_workgroup_id_z 0
		.amdhsa_system_sgpr_workgroup_info 0
		.amdhsa_system_vgpr_workitem_id 2
		.amdhsa_next_free_vgpr 29
		.amdhsa_next_free_sgpr 36
		.amdhsa_reserve_vcc 1
		.amdhsa_reserve_flat_scratch 0
		.amdhsa_float_round_mode_32 0
		.amdhsa_float_round_mode_16_64 0
		.amdhsa_float_denorm_mode_32 3
		.amdhsa_float_denorm_mode_16_64 3
		.amdhsa_dx10_clamp 1
		.amdhsa_ieee_mode 1
		.amdhsa_fp16_overflow 0
		.amdhsa_exception_fp_ieee_invalid_op 0
		.amdhsa_exception_fp_denorm_src 0
		.amdhsa_exception_fp_ieee_div_zero 0
		.amdhsa_exception_fp_ieee_overflow 0
		.amdhsa_exception_fp_ieee_underflow 0
		.amdhsa_exception_fp_ieee_inexact 0
		.amdhsa_exception_int_div_zero 0
	.end_amdhsa_kernel
	.section	.text._Z16sort_keys_kernelI22helper_blocked_blockedN15benchmark_utils11custom_typeIiiEELj192ELj1ELj10EEvPKT0_PS4_,"axG",@progbits,_Z16sort_keys_kernelI22helper_blocked_blockedN15benchmark_utils11custom_typeIiiEELj192ELj1ELj10EEvPKT0_PS4_,comdat
.Lfunc_end160:
	.size	_Z16sort_keys_kernelI22helper_blocked_blockedN15benchmark_utils11custom_typeIiiEELj192ELj1ELj10EEvPKT0_PS4_, .Lfunc_end160-_Z16sort_keys_kernelI22helper_blocked_blockedN15benchmark_utils11custom_typeIiiEELj192ELj1ELj10EEvPKT0_PS4_
                                        ; -- End function
	.set _Z16sort_keys_kernelI22helper_blocked_blockedN15benchmark_utils11custom_typeIiiEELj192ELj1ELj10EEvPKT0_PS4_.num_vgpr, 29
	.set _Z16sort_keys_kernelI22helper_blocked_blockedN15benchmark_utils11custom_typeIiiEELj192ELj1ELj10EEvPKT0_PS4_.num_agpr, 0
	.set _Z16sort_keys_kernelI22helper_blocked_blockedN15benchmark_utils11custom_typeIiiEELj192ELj1ELj10EEvPKT0_PS4_.numbered_sgpr, 36
	.set _Z16sort_keys_kernelI22helper_blocked_blockedN15benchmark_utils11custom_typeIiiEELj192ELj1ELj10EEvPKT0_PS4_.num_named_barrier, 0
	.set _Z16sort_keys_kernelI22helper_blocked_blockedN15benchmark_utils11custom_typeIiiEELj192ELj1ELj10EEvPKT0_PS4_.private_seg_size, 0
	.set _Z16sort_keys_kernelI22helper_blocked_blockedN15benchmark_utils11custom_typeIiiEELj192ELj1ELj10EEvPKT0_PS4_.uses_vcc, 1
	.set _Z16sort_keys_kernelI22helper_blocked_blockedN15benchmark_utils11custom_typeIiiEELj192ELj1ELj10EEvPKT0_PS4_.uses_flat_scratch, 0
	.set _Z16sort_keys_kernelI22helper_blocked_blockedN15benchmark_utils11custom_typeIiiEELj192ELj1ELj10EEvPKT0_PS4_.has_dyn_sized_stack, 0
	.set _Z16sort_keys_kernelI22helper_blocked_blockedN15benchmark_utils11custom_typeIiiEELj192ELj1ELj10EEvPKT0_PS4_.has_recursion, 0
	.set _Z16sort_keys_kernelI22helper_blocked_blockedN15benchmark_utils11custom_typeIiiEELj192ELj1ELj10EEvPKT0_PS4_.has_indirect_call, 0
	.section	.AMDGPU.csdata,"",@progbits
; Kernel info:
; codeLenInByte = 7404
; TotalNumSgprs: 40
; NumVgprs: 29
; ScratchSize: 0
; MemoryBound: 0
; FloatMode: 240
; IeeeMode: 1
; LDSByteSize: 3088 bytes/workgroup (compile time only)
; SGPRBlocks: 4
; VGPRBlocks: 7
; NumSGPRsForWavesPerEU: 40
; NumVGPRsForWavesPerEU: 29
; Occupancy: 8
; WaveLimiterHint : 0
; COMPUTE_PGM_RSRC2:SCRATCH_EN: 0
; COMPUTE_PGM_RSRC2:USER_SGPR: 6
; COMPUTE_PGM_RSRC2:TRAP_HANDLER: 0
; COMPUTE_PGM_RSRC2:TGID_X_EN: 1
; COMPUTE_PGM_RSRC2:TGID_Y_EN: 0
; COMPUTE_PGM_RSRC2:TGID_Z_EN: 0
; COMPUTE_PGM_RSRC2:TIDIG_COMP_CNT: 2
	.section	.text._Z17sort_pairs_kernelI22helper_blocked_blockedN15benchmark_utils11custom_typeIiiEELj192ELj1ELj10EEvPKT0_PS4_,"axG",@progbits,_Z17sort_pairs_kernelI22helper_blocked_blockedN15benchmark_utils11custom_typeIiiEELj192ELj1ELj10EEvPKT0_PS4_,comdat
	.protected	_Z17sort_pairs_kernelI22helper_blocked_blockedN15benchmark_utils11custom_typeIiiEELj192ELj1ELj10EEvPKT0_PS4_ ; -- Begin function _Z17sort_pairs_kernelI22helper_blocked_blockedN15benchmark_utils11custom_typeIiiEELj192ELj1ELj10EEvPKT0_PS4_
	.globl	_Z17sort_pairs_kernelI22helper_blocked_blockedN15benchmark_utils11custom_typeIiiEELj192ELj1ELj10EEvPKT0_PS4_
	.p2align	8
	.type	_Z17sort_pairs_kernelI22helper_blocked_blockedN15benchmark_utils11custom_typeIiiEELj192ELj1ELj10EEvPKT0_PS4_,@function
_Z17sort_pairs_kernelI22helper_blocked_blockedN15benchmark_utils11custom_typeIiiEELj192ELj1ELj10EEvPKT0_PS4_: ; @_Z17sort_pairs_kernelI22helper_blocked_blockedN15benchmark_utils11custom_typeIiiEELj192ELj1ELj10EEvPKT0_PS4_
; %bb.0:
	s_load_dwordx4 s[28:31], s[4:5], 0x0
	s_load_dword s24, s[4:5], 0x1c
	s_mul_i32 s36, s6, 0xc0
	s_mov_b32 s37, 0
	s_lshl_b64 s[34:35], s[36:37], 3
	s_waitcnt lgkmcnt(0)
	s_add_u32 s0, s28, s34
	s_addc_u32 s1, s29, s35
	v_lshlrev_b32_e32 v3, 3, v0
	global_load_dwordx2 v[3:4], v3, s[0:1]
	s_lshr_b32 s25, s24, 16
	s_and_b32 s24, s24, 0xffff
	v_mad_u32_u24 v1, v2, s25, v1
	v_mbcnt_lo_u32_b32 v5, -1, 0
	v_mad_u64_u32 v[1:2], s[24:25], v1, s24, v[0:1]
	v_mbcnt_hi_u32_b32 v5, -1, v5
	v_and_b32_e32 v6, 0xc0, v0
	v_subrev_co_u32_e64 v19, s[8:9], 1, v5
	v_and_b32_e32 v20, 64, v5
	v_lshlrev_b32_e32 v16, 4, v0
	v_lshrrev_b32_e32 v7, 4, v0
	v_lshlrev_b32_e32 v22, 3, v6
	v_min_u32_e32 v6, 0x80, v6
	v_cmp_lt_i32_e32 vcc, v19, v20
	v_lshlrev_b32_e32 v8, 2, v0
	v_and_b32_e32 v9, 15, v5
	v_and_b32_e32 v10, 16, v5
	v_cmp_lt_u32_e64 s[6:7], 31, v5
	v_and_b32_e32 v21, 3, v5
	v_and_b32_e32 v17, 12, v7
	v_mad_i32_i24 v18, v0, -12, v16
	v_cndmask_b32_e32 v7, v19, v5, vcc
	v_lshl_add_u32 v19, v5, 3, v22
	v_or_b32_e32 v5, 63, v6
	v_lshrrev_b32_e32 v1, 4, v1
	s_movk_i32 s28, 0xff
	v_mov_b32_e32 v11, 12
	v_mov_b32_e32 v12, 27
	;; [unrolled: 1-line block ×5, first 2 shown]
	v_cmp_gt_u32_e64 s[0:1], 3, v0
	v_cmp_lt_u32_e64 s[2:3], 63, v0
	v_cmp_eq_u32_e64 s[4:5], 0, v0
	v_cmp_eq_u32_e64 s[10:11], 0, v9
	v_cmp_lt_u32_e64 s[12:13], 1, v9
	v_cmp_lt_u32_e64 s[14:15], 3, v9
	;; [unrolled: 1-line block ×3, first 2 shown]
	v_cmp_eq_u32_e64 s[18:19], 0, v10
	v_cmp_eq_u32_e64 s[20:21], 0, v21
	v_cmp_lt_u32_e64 s[22:23], 1, v21
	v_add_u32_e32 v20, v18, v8
	v_add_u32_e32 v21, -4, v17
	v_cmp_eq_u32_e64 s[24:25], v0, v5
	v_lshlrev_b32_e32 v22, 2, v7
	v_and_b32_e32 v23, 0xffffffc, v1
	v_mov_b32_e32 v1, 0
	s_waitcnt vmcnt(0)
	v_add_u32_e32 v6, 1, v4
	v_add_u32_e32 v5, 1, v3
	v_xor_b32_e32 v3, 0x80000000, v3
	v_xor_b32_e32 v4, 0x80000000, v4
	s_branch .LBB161_2
.LBB161_1:                              ;   in Loop: Header=BB161_2 Depth=1
	s_barrier
	ds_write_b64 v2, v[9:10]
	s_waitcnt lgkmcnt(0)
	s_barrier
	ds_read_b64 v[3:4], v20
	s_waitcnt lgkmcnt(0)
	s_barrier
	ds_write_b64 v2, v[7:8]
	s_waitcnt lgkmcnt(0)
	s_barrier
	ds_read_b64 v[5:6], v20
	s_add_i32 s37, s37, 1
	s_cmp_eq_u32 s37, 10
	s_cbranch_scc1 .LBB161_38
.LBB161_2:                              ; =>This Loop Header: Depth=1
                                        ;     Child Loop BB161_28 Depth 2
	v_and_b32_e32 v2, 1, v4
	v_add_co_u32_e32 v7, vcc, -1, v2
	v_addc_co_u32_e64 v8, s[26:27], 0, -1, vcc
	v_cmp_ne_u32_e32 vcc, 0, v2
	v_xor_b32_e32 v2, vcc_hi, v8
	v_and_b32_e32 v8, exec_hi, v2
	v_lshlrev_b32_e32 v2, 30, v4
	v_xor_b32_e32 v7, vcc_lo, v7
	v_cmp_gt_i64_e32 vcc, 0, v[1:2]
	v_not_b32_e32 v2, v2
	v_ashrrev_i32_e32 v2, 31, v2
	v_and_b32_e32 v7, exec_lo, v7
	v_xor_b32_e32 v10, vcc_hi, v2
	v_xor_b32_e32 v2, vcc_lo, v2
	v_and_b32_e32 v7, v7, v2
	v_lshlrev_b32_e32 v2, 29, v4
	v_cmp_gt_i64_e32 vcc, 0, v[1:2]
	v_not_b32_e32 v2, v2
	v_ashrrev_i32_e32 v2, 31, v2
	v_and_b32_e32 v8, v8, v10
	v_xor_b32_e32 v10, vcc_hi, v2
	v_xor_b32_e32 v2, vcc_lo, v2
	v_and_b32_e32 v7, v7, v2
	v_lshlrev_b32_e32 v2, 28, v4
	v_cmp_gt_i64_e32 vcc, 0, v[1:2]
	v_not_b32_e32 v2, v2
	v_ashrrev_i32_e32 v2, 31, v2
	v_and_b32_e32 v8, v8, v10
	;; [unrolled: 8-line block ×6, first 2 shown]
	v_xor_b32_e32 v10, vcc_hi, v2
	v_xor_b32_e32 v2, vcc_lo, v2
	v_and_b32_e32 v7, v7, v2
	v_and_b32_e32 v8, v8, v10
	v_mbcnt_lo_u32_b32 v2, v7, 0
	v_mbcnt_hi_u32_b32 v2, v8, v2
	v_cmp_ne_u64_e32 vcc, 0, v[7:8]
	v_mul_u32_u24_sdwa v9, v4, v11 dst_sel:DWORD dst_unused:UNUSED_PAD src0_sel:BYTE_0 src1_sel:DWORD
	v_cmp_eq_u32_e64 s[26:27], 0, v2
	s_and_b64 s[38:39], s[26:27], vcc
	v_add_u32_e32 v24, v23, v9
	ds_write2_b32 v16, v1, v1 offset0:3 offset1:4
	ds_write2_b32 v16, v1, v1 offset0:5 offset1:6
	s_waitcnt lgkmcnt(0)
	s_barrier
	; wave barrier
	s_and_saveexec_b64 s[26:27], s[38:39]
; %bb.3:                                ;   in Loop: Header=BB161_2 Depth=1
	v_bcnt_u32_b32 v7, v7, 0
	v_bcnt_u32_b32 v7, v8, v7
	ds_write_b32 v24, v7 offset:12
; %bb.4:                                ;   in Loop: Header=BB161_2 Depth=1
	s_or_b64 exec, exec, s[26:27]
	; wave barrier
	s_waitcnt lgkmcnt(0)
	s_barrier
	ds_read2_b32 v[9:10], v16 offset0:3 offset1:4
	ds_read2_b32 v[7:8], v16 offset0:5 offset1:6
	s_waitcnt lgkmcnt(1)
	v_add_u32_e32 v25, v10, v9
	s_waitcnt lgkmcnt(0)
	v_add3_u32 v8, v25, v7, v8
	s_nop 1
	v_mov_b32_dpp v25, v8 row_shr:1 row_mask:0xf bank_mask:0xf
	v_cndmask_b32_e64 v25, v25, 0, s[10:11]
	v_add_u32_e32 v8, v25, v8
	s_nop 1
	v_mov_b32_dpp v25, v8 row_shr:2 row_mask:0xf bank_mask:0xf
	v_cndmask_b32_e64 v25, 0, v25, s[12:13]
	v_add_u32_e32 v8, v8, v25
	;; [unrolled: 4-line block ×4, first 2 shown]
	s_nop 1
	v_mov_b32_dpp v25, v8 row_bcast:15 row_mask:0xf bank_mask:0xf
	v_cndmask_b32_e64 v25, v25, 0, s[18:19]
	v_add_u32_e32 v8, v8, v25
	s_nop 1
	v_mov_b32_dpp v25, v8 row_bcast:31 row_mask:0xf bank_mask:0xf
	v_cndmask_b32_e64 v25, 0, v25, s[6:7]
	v_add_u32_e32 v8, v8, v25
	s_and_saveexec_b64 s[26:27], s[24:25]
; %bb.5:                                ;   in Loop: Header=BB161_2 Depth=1
	ds_write_b32 v17, v8
; %bb.6:                                ;   in Loop: Header=BB161_2 Depth=1
	s_or_b64 exec, exec, s[26:27]
	s_waitcnt lgkmcnt(0)
	s_barrier
	s_and_saveexec_b64 s[26:27], s[0:1]
	s_cbranch_execz .LBB161_8
; %bb.7:                                ;   in Loop: Header=BB161_2 Depth=1
	ds_read_b32 v25, v18
	s_waitcnt lgkmcnt(0)
	s_nop 0
	v_mov_b32_dpp v26, v25 row_shr:1 row_mask:0xf bank_mask:0xf
	v_cndmask_b32_e64 v26, v26, 0, s[20:21]
	v_add_u32_e32 v25, v26, v25
	s_nop 1
	v_mov_b32_dpp v26, v25 row_shr:2 row_mask:0xf bank_mask:0xf
	v_cndmask_b32_e64 v26, 0, v26, s[22:23]
	v_add_u32_e32 v25, v25, v26
	ds_write_b32 v18, v25
.LBB161_8:                              ;   in Loop: Header=BB161_2 Depth=1
	s_or_b64 exec, exec, s[26:27]
	v_mov_b32_e32 v25, 0
	s_waitcnt lgkmcnt(0)
	s_barrier
	s_and_saveexec_b64 s[26:27], s[2:3]
; %bb.9:                                ;   in Loop: Header=BB161_2 Depth=1
	ds_read_b32 v25, v21
; %bb.10:                               ;   in Loop: Header=BB161_2 Depth=1
	s_or_b64 exec, exec, s[26:27]
	s_waitcnt lgkmcnt(0)
	v_add_u32_e32 v8, v25, v8
	ds_bpermute_b32 v8, v22, v8
	v_lshlrev_b32_e32 v2, 3, v2
	s_waitcnt lgkmcnt(0)
	v_cndmask_b32_e64 v8, v8, v25, s[8:9]
	v_cndmask_b32_e64 v8, v8, 0, s[4:5]
	v_add_u32_e32 v9, v8, v9
	v_add_u32_e32 v10, v9, v10
	;; [unrolled: 1-line block ×3, first 2 shown]
	ds_write2_b32 v16, v8, v9 offset0:3 offset1:4
	ds_write2_b32 v16, v10, v7 offset0:5 offset1:6
	s_waitcnt lgkmcnt(0)
	s_barrier
	ds_read_b32 v7, v24 offset:12
	s_waitcnt lgkmcnt(0)
	s_barrier
	v_lshl_add_u32 v2, v7, 3, v2
	ds_write_b64 v2, v[3:4]
	s_waitcnt lgkmcnt(0)
	s_barrier
	ds_read_b64 v[3:4], v19
	s_waitcnt lgkmcnt(0)
	s_barrier
	ds_write_b64 v2, v[5:6]
	v_lshrrev_b32_e32 v7, 8, v4
	v_and_b32_e32 v2, 1, v7
	v_add_co_u32_e32 v8, vcc, -1, v2
	v_addc_co_u32_e64 v10, s[26:27], 0, -1, vcc
	v_cmp_ne_u32_e32 vcc, 0, v2
	v_xor_b32_e32 v2, vcc_hi, v10
	v_and_b32_e32 v10, exec_hi, v2
	v_lshlrev_b32_e32 v2, 30, v7
	v_xor_b32_e32 v8, vcc_lo, v8
	v_cmp_gt_i64_e32 vcc, 0, v[1:2]
	v_not_b32_e32 v2, v2
	v_ashrrev_i32_e32 v2, 31, v2
	v_and_b32_e32 v8, exec_lo, v8
	v_xor_b32_e32 v24, vcc_hi, v2
	v_xor_b32_e32 v2, vcc_lo, v2
	v_and_b32_e32 v8, v8, v2
	v_lshlrev_b32_e32 v2, 29, v7
	v_cmp_gt_i64_e32 vcc, 0, v[1:2]
	v_not_b32_e32 v2, v2
	v_ashrrev_i32_e32 v2, 31, v2
	v_and_b32_e32 v10, v10, v24
	v_xor_b32_e32 v24, vcc_hi, v2
	v_xor_b32_e32 v2, vcc_lo, v2
	v_and_b32_e32 v8, v8, v2
	v_lshlrev_b32_e32 v2, 28, v7
	v_cmp_gt_i64_e32 vcc, 0, v[1:2]
	v_not_b32_e32 v2, v2
	v_ashrrev_i32_e32 v2, 31, v2
	v_and_b32_e32 v10, v10, v24
	v_xor_b32_e32 v24, vcc_hi, v2
	v_xor_b32_e32 v2, vcc_lo, v2
	v_and_b32_e32 v8, v8, v2
	v_lshlrev_b32_e32 v2, 27, v7
	v_cmp_gt_i64_e32 vcc, 0, v[1:2]
	v_not_b32_e32 v2, v2
	v_ashrrev_i32_e32 v2, 31, v2
	v_and_b32_e32 v10, v10, v24
	v_xor_b32_e32 v24, vcc_hi, v2
	v_xor_b32_e32 v2, vcc_lo, v2
	v_and_b32_e32 v8, v8, v2
	v_lshlrev_b32_e32 v2, 26, v7
	v_cmp_gt_i64_e32 vcc, 0, v[1:2]
	v_not_b32_e32 v2, v2
	v_ashrrev_i32_e32 v2, 31, v2
	v_and_b32_e32 v10, v10, v24
	v_xor_b32_e32 v24, vcc_hi, v2
	v_xor_b32_e32 v2, vcc_lo, v2
	v_and_b32_e32 v8, v8, v2
	v_lshlrev_b32_e32 v2, 25, v7
	v_cmp_gt_i64_e32 vcc, 0, v[1:2]
	v_not_b32_e32 v2, v2
	v_ashrrev_i32_e32 v2, 31, v2
	v_and_b32_e32 v10, v10, v24
	v_xor_b32_e32 v24, vcc_hi, v2
	v_xor_b32_e32 v2, vcc_lo, v2
	v_and_b32_e32 v10, v10, v24
	v_and_b32_e32 v24, v8, v2
	v_lshlrev_b32_e32 v2, 24, v7
	v_cmp_gt_i64_e32 vcc, 0, v[1:2]
	v_not_b32_e32 v2, v2
	v_ashrrev_i32_e32 v2, 31, v2
	v_mul_u32_u24_sdwa v9, v7, v11 dst_sel:DWORD dst_unused:UNUSED_PAD src0_sel:BYTE_0 src1_sel:DWORD
	v_xor_b32_e32 v7, vcc_hi, v2
	v_xor_b32_e32 v2, vcc_lo, v2
	s_waitcnt lgkmcnt(0)
	s_barrier
	ds_read_b64 v[5:6], v19
	v_and_b32_e32 v8, v10, v7
	v_and_b32_e32 v7, v24, v2
	v_mbcnt_lo_u32_b32 v2, v7, 0
	v_mbcnt_hi_u32_b32 v2, v8, v2
	v_cmp_ne_u64_e32 vcc, 0, v[7:8]
	v_cmp_eq_u32_e64 s[26:27], 0, v2
	s_and_b64 s[38:39], s[26:27], vcc
	v_add_u32_e32 v24, v23, v9
	s_waitcnt lgkmcnt(0)
	s_barrier
	ds_write2_b32 v16, v1, v1 offset0:3 offset1:4
	ds_write2_b32 v16, v1, v1 offset0:5 offset1:6
	s_waitcnt lgkmcnt(0)
	s_barrier
	; wave barrier
	s_and_saveexec_b64 s[26:27], s[38:39]
; %bb.11:                               ;   in Loop: Header=BB161_2 Depth=1
	v_bcnt_u32_b32 v7, v7, 0
	v_bcnt_u32_b32 v7, v8, v7
	ds_write_b32 v24, v7 offset:12
; %bb.12:                               ;   in Loop: Header=BB161_2 Depth=1
	s_or_b64 exec, exec, s[26:27]
	; wave barrier
	s_waitcnt lgkmcnt(0)
	s_barrier
	ds_read2_b32 v[9:10], v16 offset0:3 offset1:4
	ds_read2_b32 v[7:8], v16 offset0:5 offset1:6
	s_waitcnt lgkmcnt(1)
	v_add_u32_e32 v25, v10, v9
	s_waitcnt lgkmcnt(0)
	v_add3_u32 v8, v25, v7, v8
	s_nop 1
	v_mov_b32_dpp v25, v8 row_shr:1 row_mask:0xf bank_mask:0xf
	v_cndmask_b32_e64 v25, v25, 0, s[10:11]
	v_add_u32_e32 v8, v25, v8
	s_nop 1
	v_mov_b32_dpp v25, v8 row_shr:2 row_mask:0xf bank_mask:0xf
	v_cndmask_b32_e64 v25, 0, v25, s[12:13]
	v_add_u32_e32 v8, v8, v25
	;; [unrolled: 4-line block ×4, first 2 shown]
	s_nop 1
	v_mov_b32_dpp v25, v8 row_bcast:15 row_mask:0xf bank_mask:0xf
	v_cndmask_b32_e64 v25, v25, 0, s[18:19]
	v_add_u32_e32 v8, v8, v25
	s_nop 1
	v_mov_b32_dpp v25, v8 row_bcast:31 row_mask:0xf bank_mask:0xf
	v_cndmask_b32_e64 v25, 0, v25, s[6:7]
	v_add_u32_e32 v8, v8, v25
	s_and_saveexec_b64 s[26:27], s[24:25]
; %bb.13:                               ;   in Loop: Header=BB161_2 Depth=1
	ds_write_b32 v17, v8
; %bb.14:                               ;   in Loop: Header=BB161_2 Depth=1
	s_or_b64 exec, exec, s[26:27]
	s_waitcnt lgkmcnt(0)
	s_barrier
	s_and_saveexec_b64 s[26:27], s[0:1]
	s_cbranch_execz .LBB161_16
; %bb.15:                               ;   in Loop: Header=BB161_2 Depth=1
	ds_read_b32 v25, v18
	s_waitcnt lgkmcnt(0)
	s_nop 0
	v_mov_b32_dpp v26, v25 row_shr:1 row_mask:0xf bank_mask:0xf
	v_cndmask_b32_e64 v26, v26, 0, s[20:21]
	v_add_u32_e32 v25, v26, v25
	s_nop 1
	v_mov_b32_dpp v26, v25 row_shr:2 row_mask:0xf bank_mask:0xf
	v_cndmask_b32_e64 v26, 0, v26, s[22:23]
	v_add_u32_e32 v25, v25, v26
	ds_write_b32 v18, v25
.LBB161_16:                             ;   in Loop: Header=BB161_2 Depth=1
	s_or_b64 exec, exec, s[26:27]
	v_mov_b32_e32 v25, 0
	s_waitcnt lgkmcnt(0)
	s_barrier
	s_and_saveexec_b64 s[26:27], s[2:3]
; %bb.17:                               ;   in Loop: Header=BB161_2 Depth=1
	ds_read_b32 v25, v21
; %bb.18:                               ;   in Loop: Header=BB161_2 Depth=1
	s_or_b64 exec, exec, s[26:27]
	s_waitcnt lgkmcnt(0)
	v_add_u32_e32 v8, v25, v8
	ds_bpermute_b32 v8, v22, v8
	v_lshlrev_b32_e32 v2, 3, v2
	s_waitcnt lgkmcnt(0)
	v_cndmask_b32_e64 v8, v8, v25, s[8:9]
	v_cndmask_b32_e64 v8, v8, 0, s[4:5]
	v_add_u32_e32 v9, v8, v9
	v_add_u32_e32 v10, v9, v10
	;; [unrolled: 1-line block ×3, first 2 shown]
	ds_write2_b32 v16, v8, v9 offset0:3 offset1:4
	ds_write2_b32 v16, v10, v7 offset0:5 offset1:6
	s_waitcnt lgkmcnt(0)
	s_barrier
	ds_read_b32 v7, v24 offset:12
	s_waitcnt lgkmcnt(0)
	s_barrier
	v_lshl_add_u32 v2, v7, 3, v2
	ds_write_b64 v2, v[3:4]
	s_waitcnt lgkmcnt(0)
	s_barrier
	ds_read_b64 v[3:4], v19
	s_waitcnt lgkmcnt(0)
	s_barrier
	ds_write_b64 v2, v[5:6]
	v_and_b32_sdwa v2, v4, s28 dst_sel:DWORD dst_unused:UNUSED_PAD src0_sel:WORD_1 src1_sel:DWORD
	v_mul_u32_u24_e32 v9, 12, v2
	v_mov_b32_e32 v2, 1
	v_and_b32_sdwa v2, v4, v2 dst_sel:DWORD dst_unused:UNUSED_PAD src0_sel:WORD_1 src1_sel:DWORD
	v_add_co_u32_e32 v7, vcc, -1, v2
	v_addc_co_u32_e64 v8, s[26:27], 0, -1, vcc
	v_cmp_ne_u32_e32 vcc, 0, v2
	v_xor_b32_e32 v2, vcc_hi, v8
	v_and_b32_e32 v8, exec_hi, v2
	v_mov_b32_e32 v2, 30
	v_lshlrev_b32_sdwa v2, v2, v4 dst_sel:DWORD dst_unused:UNUSED_PAD src0_sel:DWORD src1_sel:WORD_1
	v_xor_b32_e32 v7, vcc_lo, v7
	v_cmp_gt_i64_e32 vcc, 0, v[1:2]
	v_not_b32_e32 v2, v2
	v_ashrrev_i32_e32 v2, 31, v2
	v_and_b32_e32 v7, exec_lo, v7
	v_xor_b32_e32 v10, vcc_hi, v2
	v_xor_b32_e32 v2, vcc_lo, v2
	v_and_b32_e32 v7, v7, v2
	v_mov_b32_e32 v2, 29
	v_lshlrev_b32_sdwa v2, v2, v4 dst_sel:DWORD dst_unused:UNUSED_PAD src0_sel:DWORD src1_sel:WORD_1
	v_cmp_gt_i64_e32 vcc, 0, v[1:2]
	v_not_b32_e32 v2, v2
	v_ashrrev_i32_e32 v2, 31, v2
	v_and_b32_e32 v8, v8, v10
	v_xor_b32_e32 v10, vcc_hi, v2
	v_xor_b32_e32 v2, vcc_lo, v2
	v_and_b32_e32 v7, v7, v2
	v_mov_b32_e32 v2, 28
	v_lshlrev_b32_sdwa v2, v2, v4 dst_sel:DWORD dst_unused:UNUSED_PAD src0_sel:DWORD src1_sel:WORD_1
	v_cmp_gt_i64_e32 vcc, 0, v[1:2]
	v_not_b32_e32 v2, v2
	v_ashrrev_i32_e32 v2, 31, v2
	v_and_b32_e32 v8, v8, v10
	v_xor_b32_e32 v10, vcc_hi, v2
	v_xor_b32_e32 v2, vcc_lo, v2
	v_and_b32_e32 v7, v7, v2
	v_lshlrev_b32_sdwa v2, v12, v4 dst_sel:DWORD dst_unused:UNUSED_PAD src0_sel:DWORD src1_sel:WORD_1
	v_cmp_gt_i64_e32 vcc, 0, v[1:2]
	v_not_b32_e32 v2, v2
	v_ashrrev_i32_e32 v2, 31, v2
	v_and_b32_e32 v8, v8, v10
	v_xor_b32_e32 v10, vcc_hi, v2
	v_xor_b32_e32 v2, vcc_lo, v2
	v_and_b32_e32 v7, v7, v2
	;; [unrolled: 8-line block ×4, first 2 shown]
	v_lshlrev_b32_sdwa v2, v15, v4 dst_sel:DWORD dst_unused:UNUSED_PAD src0_sel:DWORD src1_sel:WORD_1
	v_cmp_gt_i64_e32 vcc, 0, v[1:2]
	v_not_b32_e32 v2, v2
	v_ashrrev_i32_e32 v2, 31, v2
	v_and_b32_e32 v8, v8, v10
	v_xor_b32_e32 v10, vcc_hi, v2
	v_xor_b32_e32 v2, vcc_lo, v2
	s_waitcnt lgkmcnt(0)
	s_barrier
	ds_read_b64 v[5:6], v19
	v_and_b32_e32 v7, v7, v2
	v_and_b32_e32 v8, v8, v10
	v_mbcnt_lo_u32_b32 v2, v7, 0
	v_mbcnt_hi_u32_b32 v2, v8, v2
	v_cmp_ne_u64_e32 vcc, 0, v[7:8]
	v_cmp_eq_u32_e64 s[26:27], 0, v2
	s_and_b64 s[38:39], s[26:27], vcc
	v_add_u32_e32 v24, v23, v9
	s_waitcnt lgkmcnt(0)
	s_barrier
	ds_write2_b32 v16, v1, v1 offset0:3 offset1:4
	ds_write2_b32 v16, v1, v1 offset0:5 offset1:6
	s_waitcnt lgkmcnt(0)
	s_barrier
	; wave barrier
	s_and_saveexec_b64 s[26:27], s[38:39]
; %bb.19:                               ;   in Loop: Header=BB161_2 Depth=1
	v_bcnt_u32_b32 v7, v7, 0
	v_bcnt_u32_b32 v7, v8, v7
	ds_write_b32 v24, v7 offset:12
; %bb.20:                               ;   in Loop: Header=BB161_2 Depth=1
	s_or_b64 exec, exec, s[26:27]
	; wave barrier
	s_waitcnt lgkmcnt(0)
	s_barrier
	ds_read2_b32 v[9:10], v16 offset0:3 offset1:4
	ds_read2_b32 v[7:8], v16 offset0:5 offset1:6
	s_waitcnt lgkmcnt(1)
	v_add_u32_e32 v25, v10, v9
	s_waitcnt lgkmcnt(0)
	v_add3_u32 v8, v25, v7, v8
	s_nop 1
	v_mov_b32_dpp v25, v8 row_shr:1 row_mask:0xf bank_mask:0xf
	v_cndmask_b32_e64 v25, v25, 0, s[10:11]
	v_add_u32_e32 v8, v25, v8
	s_nop 1
	v_mov_b32_dpp v25, v8 row_shr:2 row_mask:0xf bank_mask:0xf
	v_cndmask_b32_e64 v25, 0, v25, s[12:13]
	v_add_u32_e32 v8, v8, v25
	;; [unrolled: 4-line block ×4, first 2 shown]
	s_nop 1
	v_mov_b32_dpp v25, v8 row_bcast:15 row_mask:0xf bank_mask:0xf
	v_cndmask_b32_e64 v25, v25, 0, s[18:19]
	v_add_u32_e32 v8, v8, v25
	s_nop 1
	v_mov_b32_dpp v25, v8 row_bcast:31 row_mask:0xf bank_mask:0xf
	v_cndmask_b32_e64 v25, 0, v25, s[6:7]
	v_add_u32_e32 v8, v8, v25
	s_and_saveexec_b64 s[26:27], s[24:25]
; %bb.21:                               ;   in Loop: Header=BB161_2 Depth=1
	ds_write_b32 v17, v8
; %bb.22:                               ;   in Loop: Header=BB161_2 Depth=1
	s_or_b64 exec, exec, s[26:27]
	s_waitcnt lgkmcnt(0)
	s_barrier
	s_and_saveexec_b64 s[26:27], s[0:1]
	s_cbranch_execz .LBB161_24
; %bb.23:                               ;   in Loop: Header=BB161_2 Depth=1
	ds_read_b32 v25, v18
	s_waitcnt lgkmcnt(0)
	s_nop 0
	v_mov_b32_dpp v26, v25 row_shr:1 row_mask:0xf bank_mask:0xf
	v_cndmask_b32_e64 v26, v26, 0, s[20:21]
	v_add_u32_e32 v25, v26, v25
	s_nop 1
	v_mov_b32_dpp v26, v25 row_shr:2 row_mask:0xf bank_mask:0xf
	v_cndmask_b32_e64 v26, 0, v26, s[22:23]
	v_add_u32_e32 v25, v25, v26
	ds_write_b32 v18, v25
.LBB161_24:                             ;   in Loop: Header=BB161_2 Depth=1
	s_or_b64 exec, exec, s[26:27]
	v_mov_b32_e32 v25, 0
	s_waitcnt lgkmcnt(0)
	s_barrier
	s_and_saveexec_b64 s[26:27], s[2:3]
; %bb.25:                               ;   in Loop: Header=BB161_2 Depth=1
	ds_read_b32 v25, v21
; %bb.26:                               ;   in Loop: Header=BB161_2 Depth=1
	s_or_b64 exec, exec, s[26:27]
	s_waitcnt lgkmcnt(0)
	v_add_u32_e32 v8, v25, v8
	ds_bpermute_b32 v8, v22, v8
	v_lshlrev_b32_e32 v2, 3, v2
	s_mov_b32 s29, 24
	s_mov_b32 s33, 8
	s_waitcnt lgkmcnt(0)
	v_cndmask_b32_e64 v8, v8, v25, s[8:9]
	v_cndmask_b32_e64 v8, v8, 0, s[4:5]
	v_add_u32_e32 v9, v8, v9
	v_add_u32_e32 v10, v9, v10
	;; [unrolled: 1-line block ×3, first 2 shown]
	ds_write2_b32 v16, v8, v9 offset0:3 offset1:4
	ds_write2_b32 v16, v10, v7 offset0:5 offset1:6
	s_waitcnt lgkmcnt(0)
	s_barrier
	ds_read_b32 v7, v24 offset:12
	s_waitcnt lgkmcnt(0)
	s_barrier
	v_lshl_add_u32 v2, v7, 3, v2
	ds_write_b64 v2, v[3:4]
	s_waitcnt lgkmcnt(0)
	s_barrier
	ds_read_b64 v[3:4], v19
	s_waitcnt lgkmcnt(0)
	s_barrier
	ds_write_b64 v2, v[5:6]
	s_waitcnt lgkmcnt(0)
	s_barrier
	ds_read_b64 v[5:6], v19
	s_waitcnt lgkmcnt(0)
	s_barrier
	s_branch .LBB161_28
.LBB161_27:                             ;   in Loop: Header=BB161_28 Depth=2
	s_barrier
	ds_write_b64 v2, v[9:10]
	s_waitcnt lgkmcnt(0)
	s_barrier
	ds_read_b64 v[3:4], v19
	s_waitcnt lgkmcnt(0)
	s_barrier
	ds_write_b64 v2, v[7:8]
	s_waitcnt lgkmcnt(0)
	s_barrier
	ds_read_b64 v[5:6], v19
	s_add_i32 s33, s33, -8
	s_add_i32 s29, s29, 8
	s_waitcnt lgkmcnt(0)
	s_barrier
	s_cbranch_execz .LBB161_1
.LBB161_28:                             ;   Parent Loop BB161_2 Depth=1
                                        ; =>  This Inner Loop Header: Depth=2
	s_cmp_lt_u32 s29, 32
	s_cselect_b64 vcc, -1, 0
	s_cmp_gt_u32 s29, 31
	s_cselect_b64 s[26:27], -1, 0
	s_max_i32 s36, s33, 0
	s_max_i32 s38, s29, 32
	s_sub_i32 s39, s38, 32
	s_sub_i32 s38, s38, s36
	;; [unrolled: 1-line block ×3, first 2 shown]
	s_min_i32 s38, s38, 32
	s_sub_i32 s38, s38, s39
	s_lshl_b32 s40, -1, s38
	s_not_b32 s40, s40
	s_cmp_lg_u32 s38, 32
	s_cselect_b32 s38, s40, -1
	v_lshrrev_b32_e32 v7, s39, v3
	v_lshrrev_b32_e32 v2, s29, v4
	v_and_b32_e32 v7, s38, v7
	v_bfe_u32 v2, v2, 0, s33
	v_lshlrev_b32_e32 v7, s36, v7
	v_cndmask_b32_e32 v2, 0, v2, vcc
	v_cndmask_b32_e64 v7, 0, v7, s[26:27]
	v_or_b32_e32 v7, v2, v7
	v_and_b32_e32 v2, 1, v7
	v_add_co_u32_e32 v8, vcc, -1, v2
	v_addc_co_u32_e64 v10, s[26:27], 0, -1, vcc
	v_cmp_ne_u32_e32 vcc, 0, v2
	v_xor_b32_e32 v2, vcc_hi, v10
	v_and_b32_e32 v10, exec_hi, v2
	v_lshlrev_b32_e32 v2, 30, v7
	v_xor_b32_e32 v8, vcc_lo, v8
	v_cmp_gt_i64_e32 vcc, 0, v[1:2]
	v_not_b32_e32 v2, v2
	v_ashrrev_i32_e32 v2, 31, v2
	v_and_b32_e32 v8, exec_lo, v8
	v_xor_b32_e32 v24, vcc_hi, v2
	v_xor_b32_e32 v2, vcc_lo, v2
	v_and_b32_e32 v8, v8, v2
	v_lshlrev_b32_e32 v2, 29, v7
	v_cmp_gt_i64_e32 vcc, 0, v[1:2]
	v_not_b32_e32 v2, v2
	v_ashrrev_i32_e32 v2, 31, v2
	v_and_b32_e32 v10, v10, v24
	v_xor_b32_e32 v24, vcc_hi, v2
	v_xor_b32_e32 v2, vcc_lo, v2
	v_and_b32_e32 v8, v8, v2
	v_lshlrev_b32_e32 v2, 28, v7
	v_cmp_gt_i64_e32 vcc, 0, v[1:2]
	v_not_b32_e32 v2, v2
	v_ashrrev_i32_e32 v2, 31, v2
	v_and_b32_e32 v10, v10, v24
	;; [unrolled: 8-line block ×5, first 2 shown]
	v_xor_b32_e32 v24, vcc_hi, v2
	v_xor_b32_e32 v2, vcc_lo, v2
	v_and_b32_e32 v10, v10, v24
	v_and_b32_e32 v24, v8, v2
	v_lshlrev_b32_e32 v2, 24, v7
	v_cmp_gt_i64_e32 vcc, 0, v[1:2]
	v_not_b32_e32 v2, v2
	v_ashrrev_i32_e32 v2, 31, v2
	v_mul_lo_u32 v9, v7, 12
	v_xor_b32_e32 v7, vcc_hi, v2
	v_xor_b32_e32 v2, vcc_lo, v2
	v_and_b32_e32 v8, v10, v7
	v_and_b32_e32 v7, v24, v2
	v_mbcnt_lo_u32_b32 v2, v7, 0
	v_mbcnt_hi_u32_b32 v2, v8, v2
	v_cmp_ne_u64_e32 vcc, 0, v[7:8]
	v_cmp_eq_u32_e64 s[26:27], 0, v2
	s_and_b64 s[38:39], s[26:27], vcc
	v_add_u32_e32 v24, v23, v9
	ds_write2_b32 v16, v1, v1 offset0:3 offset1:4
	ds_write2_b32 v16, v1, v1 offset0:5 offset1:6
	s_waitcnt lgkmcnt(0)
	s_barrier
	; wave barrier
	s_and_saveexec_b64 s[26:27], s[38:39]
; %bb.29:                               ;   in Loop: Header=BB161_28 Depth=2
	v_bcnt_u32_b32 v7, v7, 0
	v_bcnt_u32_b32 v7, v8, v7
	ds_write_b32 v24, v7 offset:12
; %bb.30:                               ;   in Loop: Header=BB161_28 Depth=2
	s_or_b64 exec, exec, s[26:27]
	; wave barrier
	s_waitcnt lgkmcnt(0)
	s_barrier
	ds_read2_b32 v[9:10], v16 offset0:3 offset1:4
	ds_read2_b32 v[7:8], v16 offset0:5 offset1:6
	s_waitcnt lgkmcnt(1)
	v_add_u32_e32 v25, v10, v9
	s_waitcnt lgkmcnt(0)
	v_add3_u32 v8, v25, v7, v8
	s_nop 1
	v_mov_b32_dpp v25, v8 row_shr:1 row_mask:0xf bank_mask:0xf
	v_cndmask_b32_e64 v25, v25, 0, s[10:11]
	v_add_u32_e32 v8, v25, v8
	s_nop 1
	v_mov_b32_dpp v25, v8 row_shr:2 row_mask:0xf bank_mask:0xf
	v_cndmask_b32_e64 v25, 0, v25, s[12:13]
	v_add_u32_e32 v8, v8, v25
	;; [unrolled: 4-line block ×4, first 2 shown]
	s_nop 1
	v_mov_b32_dpp v25, v8 row_bcast:15 row_mask:0xf bank_mask:0xf
	v_cndmask_b32_e64 v25, v25, 0, s[18:19]
	v_add_u32_e32 v8, v8, v25
	s_nop 1
	v_mov_b32_dpp v25, v8 row_bcast:31 row_mask:0xf bank_mask:0xf
	v_cndmask_b32_e64 v25, 0, v25, s[6:7]
	v_add_u32_e32 v8, v8, v25
	s_and_saveexec_b64 s[26:27], s[24:25]
; %bb.31:                               ;   in Loop: Header=BB161_28 Depth=2
	ds_write_b32 v17, v8
; %bb.32:                               ;   in Loop: Header=BB161_28 Depth=2
	s_or_b64 exec, exec, s[26:27]
	s_waitcnt lgkmcnt(0)
	s_barrier
	s_and_saveexec_b64 s[26:27], s[0:1]
	s_cbranch_execz .LBB161_34
; %bb.33:                               ;   in Loop: Header=BB161_28 Depth=2
	ds_read_b32 v25, v18
	s_waitcnt lgkmcnt(0)
	s_nop 0
	v_mov_b32_dpp v26, v25 row_shr:1 row_mask:0xf bank_mask:0xf
	v_cndmask_b32_e64 v26, v26, 0, s[20:21]
	v_add_u32_e32 v25, v26, v25
	s_nop 1
	v_mov_b32_dpp v26, v25 row_shr:2 row_mask:0xf bank_mask:0xf
	v_cndmask_b32_e64 v26, 0, v26, s[22:23]
	v_add_u32_e32 v25, v25, v26
	ds_write_b32 v18, v25
.LBB161_34:                             ;   in Loop: Header=BB161_28 Depth=2
	s_or_b64 exec, exec, s[26:27]
	v_mov_b32_e32 v25, 0
	s_waitcnt lgkmcnt(0)
	s_barrier
	s_and_saveexec_b64 s[26:27], s[2:3]
; %bb.35:                               ;   in Loop: Header=BB161_28 Depth=2
	ds_read_b32 v25, v21
; %bb.36:                               ;   in Loop: Header=BB161_28 Depth=2
	s_or_b64 exec, exec, s[26:27]
	s_waitcnt lgkmcnt(0)
	v_add_u32_e32 v8, v25, v8
	ds_bpermute_b32 v8, v22, v8
	v_lshlrev_b32_e32 v2, 3, v2
	s_cmp_gt_u32 s29, 55
	s_waitcnt lgkmcnt(0)
	v_cndmask_b32_e64 v8, v8, v25, s[8:9]
	v_cndmask_b32_e64 v8, v8, 0, s[4:5]
	v_add_u32_e32 v9, v8, v9
	v_add_u32_e32 v10, v9, v10
	;; [unrolled: 1-line block ×3, first 2 shown]
	ds_write2_b32 v16, v8, v9 offset0:3 offset1:4
	ds_write2_b32 v16, v10, v7 offset0:5 offset1:6
	s_waitcnt lgkmcnt(0)
	s_barrier
	ds_read_b32 v7, v24 offset:12
	v_mov_b32_e32 v9, v3
	v_mov_b32_e32 v10, v4
	;; [unrolled: 1-line block ×3, first 2 shown]
	s_waitcnt lgkmcnt(0)
	v_lshl_add_u32 v2, v7, 3, v2
	v_mov_b32_e32 v7, v5
	s_cbranch_scc0 .LBB161_27
; %bb.37:                               ;   in Loop: Header=BB161_2 Depth=1
                                        ; implicit-def: $sgpr29
                                        ; implicit-def: $vgpr5
                                        ; implicit-def: $vgpr3
                                        ; implicit-def: $sgpr33
	s_branch .LBB161_1
.LBB161_38:
	s_brev_b32 s0, 1
	s_waitcnt lgkmcnt(0)
	v_add3_u32 v1, v5, v3, s0
	v_add3_u32 v2, v6, v4, s0
	s_add_u32 s0, s30, s34
	s_addc_u32 s1, s31, s35
	v_lshlrev_b32_e32 v0, 3, v0
	global_store_dwordx2 v0, v[1:2], s[0:1]
	s_endpgm
	.section	.rodata,"a",@progbits
	.p2align	6, 0x0
	.amdhsa_kernel _Z17sort_pairs_kernelI22helper_blocked_blockedN15benchmark_utils11custom_typeIiiEELj192ELj1ELj10EEvPKT0_PS4_
		.amdhsa_group_segment_fixed_size 3088
		.amdhsa_private_segment_fixed_size 0
		.amdhsa_kernarg_size 272
		.amdhsa_user_sgpr_count 6
		.amdhsa_user_sgpr_private_segment_buffer 1
		.amdhsa_user_sgpr_dispatch_ptr 0
		.amdhsa_user_sgpr_queue_ptr 0
		.amdhsa_user_sgpr_kernarg_segment_ptr 1
		.amdhsa_user_sgpr_dispatch_id 0
		.amdhsa_user_sgpr_flat_scratch_init 0
		.amdhsa_user_sgpr_private_segment_size 0
		.amdhsa_uses_dynamic_stack 0
		.amdhsa_system_sgpr_private_segment_wavefront_offset 0
		.amdhsa_system_sgpr_workgroup_id_x 1
		.amdhsa_system_sgpr_workgroup_id_y 0
		.amdhsa_system_sgpr_workgroup_id_z 0
		.amdhsa_system_sgpr_workgroup_info 0
		.amdhsa_system_vgpr_workitem_id 2
		.amdhsa_next_free_vgpr 27
		.amdhsa_next_free_sgpr 41
		.amdhsa_reserve_vcc 1
		.amdhsa_reserve_flat_scratch 0
		.amdhsa_float_round_mode_32 0
		.amdhsa_float_round_mode_16_64 0
		.amdhsa_float_denorm_mode_32 3
		.amdhsa_float_denorm_mode_16_64 3
		.amdhsa_dx10_clamp 1
		.amdhsa_ieee_mode 1
		.amdhsa_fp16_overflow 0
		.amdhsa_exception_fp_ieee_invalid_op 0
		.amdhsa_exception_fp_denorm_src 0
		.amdhsa_exception_fp_ieee_div_zero 0
		.amdhsa_exception_fp_ieee_overflow 0
		.amdhsa_exception_fp_ieee_underflow 0
		.amdhsa_exception_fp_ieee_inexact 0
		.amdhsa_exception_int_div_zero 0
	.end_amdhsa_kernel
	.section	.text._Z17sort_pairs_kernelI22helper_blocked_blockedN15benchmark_utils11custom_typeIiiEELj192ELj1ELj10EEvPKT0_PS4_,"axG",@progbits,_Z17sort_pairs_kernelI22helper_blocked_blockedN15benchmark_utils11custom_typeIiiEELj192ELj1ELj10EEvPKT0_PS4_,comdat
.Lfunc_end161:
	.size	_Z17sort_pairs_kernelI22helper_blocked_blockedN15benchmark_utils11custom_typeIiiEELj192ELj1ELj10EEvPKT0_PS4_, .Lfunc_end161-_Z17sort_pairs_kernelI22helper_blocked_blockedN15benchmark_utils11custom_typeIiiEELj192ELj1ELj10EEvPKT0_PS4_
                                        ; -- End function
	.set _Z17sort_pairs_kernelI22helper_blocked_blockedN15benchmark_utils11custom_typeIiiEELj192ELj1ELj10EEvPKT0_PS4_.num_vgpr, 27
	.set _Z17sort_pairs_kernelI22helper_blocked_blockedN15benchmark_utils11custom_typeIiiEELj192ELj1ELj10EEvPKT0_PS4_.num_agpr, 0
	.set _Z17sort_pairs_kernelI22helper_blocked_blockedN15benchmark_utils11custom_typeIiiEELj192ELj1ELj10EEvPKT0_PS4_.numbered_sgpr, 41
	.set _Z17sort_pairs_kernelI22helper_blocked_blockedN15benchmark_utils11custom_typeIiiEELj192ELj1ELj10EEvPKT0_PS4_.num_named_barrier, 0
	.set _Z17sort_pairs_kernelI22helper_blocked_blockedN15benchmark_utils11custom_typeIiiEELj192ELj1ELj10EEvPKT0_PS4_.private_seg_size, 0
	.set _Z17sort_pairs_kernelI22helper_blocked_blockedN15benchmark_utils11custom_typeIiiEELj192ELj1ELj10EEvPKT0_PS4_.uses_vcc, 1
	.set _Z17sort_pairs_kernelI22helper_blocked_blockedN15benchmark_utils11custom_typeIiiEELj192ELj1ELj10EEvPKT0_PS4_.uses_flat_scratch, 0
	.set _Z17sort_pairs_kernelI22helper_blocked_blockedN15benchmark_utils11custom_typeIiiEELj192ELj1ELj10EEvPKT0_PS4_.has_dyn_sized_stack, 0
	.set _Z17sort_pairs_kernelI22helper_blocked_blockedN15benchmark_utils11custom_typeIiiEELj192ELj1ELj10EEvPKT0_PS4_.has_recursion, 0
	.set _Z17sort_pairs_kernelI22helper_blocked_blockedN15benchmark_utils11custom_typeIiiEELj192ELj1ELj10EEvPKT0_PS4_.has_indirect_call, 0
	.section	.AMDGPU.csdata,"",@progbits
; Kernel info:
; codeLenInByte = 4072
; TotalNumSgprs: 45
; NumVgprs: 27
; ScratchSize: 0
; MemoryBound: 0
; FloatMode: 240
; IeeeMode: 1
; LDSByteSize: 3088 bytes/workgroup (compile time only)
; SGPRBlocks: 5
; VGPRBlocks: 6
; NumSGPRsForWavesPerEU: 45
; NumVGPRsForWavesPerEU: 27
; Occupancy: 9
; WaveLimiterHint : 0
; COMPUTE_PGM_RSRC2:SCRATCH_EN: 0
; COMPUTE_PGM_RSRC2:USER_SGPR: 6
; COMPUTE_PGM_RSRC2:TRAP_HANDLER: 0
; COMPUTE_PGM_RSRC2:TGID_X_EN: 1
; COMPUTE_PGM_RSRC2:TGID_Y_EN: 0
; COMPUTE_PGM_RSRC2:TGID_Z_EN: 0
; COMPUTE_PGM_RSRC2:TIDIG_COMP_CNT: 2
	.section	.text._Z16sort_keys_kernelI22helper_blocked_blockedN15benchmark_utils11custom_typeIiiEELj192ELj3ELj10EEvPKT0_PS4_,"axG",@progbits,_Z16sort_keys_kernelI22helper_blocked_blockedN15benchmark_utils11custom_typeIiiEELj192ELj3ELj10EEvPKT0_PS4_,comdat
	.protected	_Z16sort_keys_kernelI22helper_blocked_blockedN15benchmark_utils11custom_typeIiiEELj192ELj3ELj10EEvPKT0_PS4_ ; -- Begin function _Z16sort_keys_kernelI22helper_blocked_blockedN15benchmark_utils11custom_typeIiiEELj192ELj3ELj10EEvPKT0_PS4_
	.globl	_Z16sort_keys_kernelI22helper_blocked_blockedN15benchmark_utils11custom_typeIiiEELj192ELj3ELj10EEvPKT0_PS4_
	.p2align	8
	.type	_Z16sort_keys_kernelI22helper_blocked_blockedN15benchmark_utils11custom_typeIiiEELj192ELj3ELj10EEvPKT0_PS4_,@function
_Z16sort_keys_kernelI22helper_blocked_blockedN15benchmark_utils11custom_typeIiiEELj192ELj3ELj10EEvPKT0_PS4_: ; @_Z16sort_keys_kernelI22helper_blocked_blockedN15benchmark_utils11custom_typeIiiEELj192ELj3ELj10EEvPKT0_PS4_
; %bb.0:
	s_load_dwordx4 s[36:39], s[4:5], 0x0
	s_load_dword s2, s[4:5], 0x1c
	s_mul_i32 s34, s6, 0x240
	s_mov_b32 s35, 0
	s_lshl_b64 s[40:41], s[34:35], 3
	s_waitcnt lgkmcnt(0)
	s_add_u32 s0, s36, s40
	s_addc_u32 s1, s37, s41
	v_lshlrev_b32_e32 v5, 3, v0
	global_load_dwordx2 v[3:4], v5, s[0:1]
	global_load_dwordx2 v[6:7], v5, s[0:1] offset:1536
	global_load_dwordx2 v[8:9], v5, s[0:1] offset:3072
	s_lshr_b32 s0, s2, 16
	v_mbcnt_lo_u32_b32 v10, -1, 0
	s_and_b32 s1, s2, 0xffff
	v_mad_u32_u24 v1, v2, s0, v1
	v_mbcnt_hi_u32_b32 v10, -1, v10
	v_mad_u64_u32 v[1:2], s[0:1], v1, s1, v[0:1]
	v_lshrrev_b32_e32 v11, 6, v0
	v_and_b32_e32 v2, 15, v10
	v_mul_u32_u24_e32 v12, 0xc0, v11
	v_cmp_eq_u32_e64 s[0:1], 0, v2
	v_cmp_lt_u32_e64 s[2:3], 1, v2
	v_cmp_lt_u32_e64 s[4:5], 3, v2
	v_cmp_lt_u32_e64 s[6:7], 7, v2
	v_and_b32_e32 v2, 16, v10
	v_lshlrev_b32_e32 v12, 3, v12
	v_lshlrev_b32_e32 v13, 3, v10
	v_cmp_eq_u32_e64 s[8:9], 0, v2
	v_and_b32_e32 v2, 0xc0, v0
	v_mad_u32_u24 v15, v10, 24, v12
	v_add_u32_e32 v16, v13, v12
	v_min_u32_e32 v12, 0x80, v2
	v_or_b32_e32 v12, 63, v12
	v_cmp_eq_u32_e64 s[10:11], v0, v12
	v_subrev_co_u32_e64 v12, s[12:13], 1, v10
	v_and_b32_e32 v14, 64, v10
	v_cmp_lt_i32_e32 vcc, v12, v14
	v_lshlrev_b32_e32 v17, 4, v0
	v_lshrrev_b32_e32 v1, 4, v1
	v_cmp_lt_u32_e64 s[14:15], 31, v10
	v_cndmask_b32_e32 v12, v12, v10, vcc
	v_and_b32_e32 v10, 3, v10
	v_mad_i32_i24 v20, v0, -12, v17
	v_mul_u32_u24_e32 v2, 24, v2
	v_and_b32_e32 v21, 0xffffffc, v1
	v_mul_u32_u24_e32 v1, 20, v0
	v_mov_b32_e32 v5, 0
	v_cmp_gt_u32_e64 s[16:17], 3, v0
	v_cmp_lt_u32_e64 s[18:19], 63, v0
	v_lshlrev_b32_e32 v18, 2, v12
	v_cmp_eq_u32_e64 s[20:21], 0, v0
	v_lshlrev_b32_e32 v19, 2, v11
	v_cmp_eq_u32_e64 s[22:23], 0, v10
	v_cmp_lt_u32_e64 s[24:25], 1, v10
	v_add_u32_e32 v22, v13, v2
	v_add_u32_e32 v23, v20, v1
	s_branch .LBB162_2
.LBB162_1:                              ;   in Loop: Header=BB162_2 Depth=1
	s_barrier
	ds_write_b64 v25, v[11:12]
	ds_write_b64 v24, v[9:10]
	;; [unrolled: 1-line block ×3, first 2 shown]
	s_waitcnt lgkmcnt(0)
	s_barrier
	ds_read2_b64 v[6:9], v23 offset1:1
	ds_read_b64 v[1:2], v23 offset:16
	s_add_i32 s35, s35, 1
	s_cmp_eq_u32 s35, 10
	s_waitcnt lgkmcnt(1)
	v_xor_b32_e32 v3, 0x80000000, v6
	v_xor_b32_e32 v4, 0x80000000, v7
	;; [unrolled: 1-line block ×4, first 2 shown]
	s_waitcnt lgkmcnt(0)
	v_xor_b32_e32 v8, 0x80000000, v1
	v_xor_b32_e32 v9, 0x80000000, v2
	s_cbranch_scc1 .LBB162_18
.LBB162_2:                              ; =>This Loop Header: Depth=1
                                        ;     Child Loop BB162_4 Depth 2
	s_waitcnt vmcnt(2)
	v_xor_b32_e32 v2, 0x80000000, v4
	v_xor_b32_e32 v1, 0x80000000, v3
	s_waitcnt vmcnt(1)
	v_xor_b32_e32 v4, 0x80000000, v7
	v_xor_b32_e32 v3, 0x80000000, v6
	;; [unrolled: 3-line block ×3, first 2 shown]
	ds_write2_b64 v15, v[1:2], v[3:4] offset1:1
	ds_write_b64 v15, v[6:7] offset:16
	; wave barrier
	ds_read2st64_b64 v[1:4], v16 offset1:1
	ds_read_b64 v[13:14], v16 offset:1024
	s_mov_b32 s33, 8
	s_mov_b32 s34, 32
	;; [unrolled: 1-line block ×3, first 2 shown]
	s_waitcnt lgkmcnt(0)
	s_barrier
	; wave barrier
	s_barrier
	s_branch .LBB162_4
.LBB162_3:                              ;   in Loop: Header=BB162_4 Depth=2
	s_andn2_b64 vcc, exec, s[26:27]
	s_cbranch_vccz .LBB162_1
.LBB162_4:                              ;   Parent Loop BB162_2 Depth=1
                                        ; =>  This Inner Loop Header: Depth=2
	s_min_i32 s28, s33, 32
	s_cmp_lt_u32 s36, 32
	s_cselect_b64 s[26:27], -1, 0
	s_cmp_gt_u32 s36, 31
	s_cselect_b64 vcc, -1, 0
	s_sub_i32 s28, s28, 32
	s_add_i32 s29, s28, s34
	s_lshl_b32 s29, -1, s29
	s_not_b32 s29, s29
	s_cmp_lg_u32 s28, s36
	s_cselect_b32 s42, s29, -1
	s_max_i32 s37, s34, 0
	s_max_i32 s28, s36, 32
	s_sub_i32 s43, s28, 32
	s_sub_i32 s28, s28, s37
	;; [unrolled: 1-line block ×3, first 2 shown]
	s_min_i32 s28, s28, 32
	s_sub_i32 s28, s28, s43
	s_lshl_b32 s29, -1, s28
	v_mov_b32_e32 v12, v2
	s_not_b32 s29, s29
	v_mov_b32_e32 v11, v1
	s_cmp_lg_u32 s28, 32
	s_cselect_b32 s44, s29, -1
	v_lshrrev_b32_e32 v2, s43, v11
	v_lshrrev_b32_e32 v1, s36, v12
	v_and_b32_e32 v2, s44, v2
	v_and_b32_e32 v1, s42, v1
	v_lshlrev_b32_e32 v2, s37, v2
	v_cndmask_b32_e64 v1, 0, v1, s[26:27]
	v_cndmask_b32_e32 v2, 0, v2, vcc
	v_or_b32_e32 v1, v1, v2
	v_mov_b32_e32 v10, v4
	v_and_b32_e32 v2, 1, v1
	v_mov_b32_e32 v9, v3
	v_add_co_u32_e64 v4, s[28:29], -1, v2
	v_addc_co_u32_e64 v6, s[28:29], 0, -1, s[28:29]
	v_cmp_ne_u32_e64 s[28:29], 0, v2
	v_xor_b32_e32 v2, s29, v6
	v_lshlrev_b32_e32 v6, 30, v1
	v_xor_b32_e32 v4, s28, v4
	v_cmp_gt_i64_e64 s[28:29], 0, v[5:6]
	v_not_b32_e32 v6, v6
	v_mov_b32_e32 v7, v13
	v_ashrrev_i32_e32 v6, 31, v6
	v_mov_b32_e32 v8, v14
	v_and_b32_e32 v4, exec_lo, v4
	v_xor_b32_e32 v13, s29, v6
	v_xor_b32_e32 v6, s28, v6
	v_and_b32_e32 v4, v4, v6
	v_lshlrev_b32_e32 v6, 29, v1
	v_cmp_gt_i64_e64 s[28:29], 0, v[5:6]
	v_not_b32_e32 v6, v6
	v_and_b32_e32 v2, exec_hi, v2
	v_ashrrev_i32_e32 v6, 31, v6
	v_and_b32_e32 v2, v2, v13
	v_xor_b32_e32 v13, s29, v6
	v_xor_b32_e32 v6, s28, v6
	v_and_b32_e32 v4, v4, v6
	v_lshlrev_b32_e32 v6, 28, v1
	v_cmp_gt_i64_e64 s[28:29], 0, v[5:6]
	v_not_b32_e32 v6, v6
	v_ashrrev_i32_e32 v6, 31, v6
	v_and_b32_e32 v2, v2, v13
	v_xor_b32_e32 v13, s29, v6
	v_xor_b32_e32 v6, s28, v6
	v_and_b32_e32 v4, v4, v6
	v_lshlrev_b32_e32 v6, 27, v1
	v_cmp_gt_i64_e64 s[28:29], 0, v[5:6]
	v_not_b32_e32 v6, v6
	;; [unrolled: 8-line block ×4, first 2 shown]
	v_ashrrev_i32_e32 v6, 31, v6
	v_and_b32_e32 v2, v2, v13
	v_xor_b32_e32 v13, s29, v6
	v_xor_b32_e32 v6, s28, v6
	v_and_b32_e32 v4, v4, v6
	v_lshlrev_b32_e32 v6, 24, v1
	v_mul_lo_u32 v3, v1, 12
	v_cmp_gt_i64_e64 s[28:29], 0, v[5:6]
	v_not_b32_e32 v1, v6
	v_ashrrev_i32_e32 v1, 31, v1
	v_xor_b32_e32 v6, s29, v1
	v_xor_b32_e32 v1, s28, v1
	v_and_b32_e32 v2, v2, v13
	v_and_b32_e32 v1, v4, v1
	;; [unrolled: 1-line block ×3, first 2 shown]
	v_mbcnt_lo_u32_b32 v4, v1, 0
	v_mbcnt_hi_u32_b32 v13, v2, v4
	v_cmp_ne_u64_e64 s[28:29], 0, v[1:2]
	v_cmp_eq_u32_e64 s[30:31], 0, v13
	s_and_b64 s[30:31], s[30:31], s[28:29]
	v_add_u32_e32 v14, v21, v3
	ds_write2_b32 v17, v5, v5 offset0:3 offset1:4
	ds_write2_b32 v17, v5, v5 offset0:5 offset1:6
	s_waitcnt lgkmcnt(0)
	s_barrier
	; wave barrier
	s_and_saveexec_b64 s[28:29], s[30:31]
; %bb.5:                                ;   in Loop: Header=BB162_4 Depth=2
	v_bcnt_u32_b32 v1, v1, 0
	v_bcnt_u32_b32 v1, v2, v1
	ds_write_b32 v14, v1 offset:12
; %bb.6:                                ;   in Loop: Header=BB162_4 Depth=2
	s_or_b64 exec, exec, s[28:29]
	v_lshrrev_b32_e32 v2, s43, v9
	v_lshrrev_b32_e32 v1, s36, v10
	v_and_b32_e32 v2, s44, v2
	v_and_b32_e32 v1, s42, v1
	v_lshlrev_b32_e32 v2, s37, v2
	v_cndmask_b32_e64 v1, 0, v1, s[26:27]
	v_cndmask_b32_e32 v2, 0, v2, vcc
	v_or_b32_e32 v1, v1, v2
	v_mul_lo_u32 v2, v1, 12
	v_lshlrev_b32_e32 v6, 30, v1
	; wave barrier
	v_add_u32_e32 v25, v21, v2
	v_and_b32_e32 v2, 1, v1
	v_add_co_u32_e64 v3, s[28:29], -1, v2
	v_addc_co_u32_e64 v4, s[28:29], 0, -1, s[28:29]
	v_cmp_ne_u32_e64 s[28:29], 0, v2
	v_xor_b32_e32 v2, s29, v4
	v_xor_b32_e32 v3, s28, v3
	v_cmp_gt_i64_e64 s[28:29], 0, v[5:6]
	v_not_b32_e32 v4, v6
	v_ashrrev_i32_e32 v4, 31, v4
	v_and_b32_e32 v2, exec_hi, v2
	v_xor_b32_e32 v6, s29, v4
	v_and_b32_e32 v3, exec_lo, v3
	v_xor_b32_e32 v4, s28, v4
	v_and_b32_e32 v2, v2, v6
	v_lshlrev_b32_e32 v6, 29, v1
	v_and_b32_e32 v3, v3, v4
	v_cmp_gt_i64_e64 s[28:29], 0, v[5:6]
	v_not_b32_e32 v4, v6
	v_ashrrev_i32_e32 v4, 31, v4
	v_xor_b32_e32 v6, s29, v4
	v_xor_b32_e32 v4, s28, v4
	v_and_b32_e32 v2, v2, v6
	v_lshlrev_b32_e32 v6, 28, v1
	v_and_b32_e32 v3, v3, v4
	v_cmp_gt_i64_e64 s[28:29], 0, v[5:6]
	v_not_b32_e32 v4, v6
	v_ashrrev_i32_e32 v4, 31, v4
	v_xor_b32_e32 v6, s29, v4
	;; [unrolled: 8-line block ×5, first 2 shown]
	v_and_b32_e32 v2, v2, v6
	v_lshlrev_b32_e32 v6, 24, v1
	v_xor_b32_e32 v4, s28, v4
	v_cmp_gt_i64_e64 s[28:29], 0, v[5:6]
	v_not_b32_e32 v1, v6
	v_ashrrev_i32_e32 v1, 31, v1
	v_and_b32_e32 v3, v3, v4
	v_xor_b32_e32 v4, s29, v1
	v_xor_b32_e32 v1, s28, v1
	ds_read_b32 v24, v25 offset:12
	v_and_b32_e32 v1, v3, v1
	v_and_b32_e32 v2, v2, v4
	v_mbcnt_lo_u32_b32 v3, v1, 0
	v_mbcnt_hi_u32_b32 v26, v2, v3
	v_cmp_ne_u64_e64 s[28:29], 0, v[1:2]
	v_cmp_eq_u32_e64 s[30:31], 0, v26
	s_and_b64 s[30:31], s[30:31], s[28:29]
	; wave barrier
	s_and_saveexec_b64 s[28:29], s[30:31]
	s_cbranch_execz .LBB162_8
; %bb.7:                                ;   in Loop: Header=BB162_4 Depth=2
	v_bcnt_u32_b32 v1, v1, 0
	v_bcnt_u32_b32 v1, v2, v1
	s_waitcnt lgkmcnt(0)
	v_add_u32_e32 v1, v24, v1
	ds_write_b32 v25, v1 offset:12
.LBB162_8:                              ;   in Loop: Header=BB162_4 Depth=2
	s_or_b64 exec, exec, s[28:29]
	v_lshrrev_b32_e32 v2, s43, v7
	v_lshrrev_b32_e32 v1, s36, v8
	v_and_b32_e32 v2, s44, v2
	v_and_b32_e32 v1, s42, v1
	v_lshlrev_b32_e32 v2, s37, v2
	v_cndmask_b32_e64 v1, 0, v1, s[26:27]
	v_cndmask_b32_e32 v2, 0, v2, vcc
	v_or_b32_e32 v1, v1, v2
	v_mul_lo_u32 v2, v1, 12
	v_lshlrev_b32_e32 v6, 30, v1
	; wave barrier
	v_add_u32_e32 v28, v21, v2
	v_and_b32_e32 v2, 1, v1
	v_add_co_u32_e32 v3, vcc, -1, v2
	v_addc_co_u32_e64 v4, s[26:27], 0, -1, vcc
	v_cmp_ne_u32_e32 vcc, 0, v2
	v_xor_b32_e32 v2, vcc_hi, v4
	v_xor_b32_e32 v3, vcc_lo, v3
	v_cmp_gt_i64_e32 vcc, 0, v[5:6]
	v_not_b32_e32 v4, v6
	v_ashrrev_i32_e32 v4, 31, v4
	v_and_b32_e32 v2, exec_hi, v2
	v_xor_b32_e32 v6, vcc_hi, v4
	v_and_b32_e32 v3, exec_lo, v3
	v_xor_b32_e32 v4, vcc_lo, v4
	v_and_b32_e32 v2, v2, v6
	v_lshlrev_b32_e32 v6, 29, v1
	v_and_b32_e32 v3, v3, v4
	v_cmp_gt_i64_e32 vcc, 0, v[5:6]
	v_not_b32_e32 v4, v6
	v_ashrrev_i32_e32 v4, 31, v4
	v_xor_b32_e32 v6, vcc_hi, v4
	v_xor_b32_e32 v4, vcc_lo, v4
	v_and_b32_e32 v2, v2, v6
	v_lshlrev_b32_e32 v6, 28, v1
	v_and_b32_e32 v3, v3, v4
	v_cmp_gt_i64_e32 vcc, 0, v[5:6]
	v_not_b32_e32 v4, v6
	v_ashrrev_i32_e32 v4, 31, v4
	v_xor_b32_e32 v6, vcc_hi, v4
	;; [unrolled: 8-line block ×5, first 2 shown]
	v_and_b32_e32 v2, v2, v6
	v_lshlrev_b32_e32 v6, 24, v1
	v_xor_b32_e32 v4, vcc_lo, v4
	v_cmp_gt_i64_e32 vcc, 0, v[5:6]
	v_not_b32_e32 v1, v6
	v_ashrrev_i32_e32 v1, 31, v1
	v_and_b32_e32 v3, v3, v4
	v_xor_b32_e32 v4, vcc_hi, v1
	v_xor_b32_e32 v1, vcc_lo, v1
	ds_read_b32 v27, v28 offset:12
	v_and_b32_e32 v1, v3, v1
	v_and_b32_e32 v2, v2, v4
	v_mbcnt_lo_u32_b32 v3, v1, 0
	v_mbcnt_hi_u32_b32 v6, v2, v3
	v_cmp_ne_u64_e32 vcc, 0, v[1:2]
	v_cmp_eq_u32_e64 s[26:27], 0, v6
	s_and_b64 s[28:29], s[26:27], vcc
	; wave barrier
	s_and_saveexec_b64 s[26:27], s[28:29]
	s_cbranch_execz .LBB162_10
; %bb.9:                                ;   in Loop: Header=BB162_4 Depth=2
	v_bcnt_u32_b32 v1, v1, 0
	v_bcnt_u32_b32 v1, v2, v1
	s_waitcnt lgkmcnt(0)
	v_add_u32_e32 v1, v27, v1
	ds_write_b32 v28, v1 offset:12
.LBB162_10:                             ;   in Loop: Header=BB162_4 Depth=2
	s_or_b64 exec, exec, s[26:27]
	; wave barrier
	s_waitcnt lgkmcnt(0)
	s_barrier
	ds_read2_b32 v[3:4], v17 offset0:3 offset1:4
	ds_read2_b32 v[1:2], v17 offset0:5 offset1:6
	s_waitcnt lgkmcnt(1)
	v_add_u32_e32 v29, v4, v3
	s_waitcnt lgkmcnt(0)
	v_add3_u32 v2, v29, v1, v2
	s_nop 1
	v_mov_b32_dpp v29, v2 row_shr:1 row_mask:0xf bank_mask:0xf
	v_cndmask_b32_e64 v29, v29, 0, s[0:1]
	v_add_u32_e32 v2, v29, v2
	s_nop 1
	v_mov_b32_dpp v29, v2 row_shr:2 row_mask:0xf bank_mask:0xf
	v_cndmask_b32_e64 v29, 0, v29, s[2:3]
	v_add_u32_e32 v2, v2, v29
	;; [unrolled: 4-line block ×4, first 2 shown]
	s_nop 1
	v_mov_b32_dpp v29, v2 row_bcast:15 row_mask:0xf bank_mask:0xf
	v_cndmask_b32_e64 v29, v29, 0, s[8:9]
	v_add_u32_e32 v2, v2, v29
	s_nop 1
	v_mov_b32_dpp v29, v2 row_bcast:31 row_mask:0xf bank_mask:0xf
	v_cndmask_b32_e64 v29, 0, v29, s[14:15]
	v_add_u32_e32 v2, v2, v29
	s_and_saveexec_b64 s[26:27], s[10:11]
; %bb.11:                               ;   in Loop: Header=BB162_4 Depth=2
	ds_write_b32 v19, v2
; %bb.12:                               ;   in Loop: Header=BB162_4 Depth=2
	s_or_b64 exec, exec, s[26:27]
	s_waitcnt lgkmcnt(0)
	s_barrier
	s_and_saveexec_b64 s[26:27], s[16:17]
	s_cbranch_execz .LBB162_14
; %bb.13:                               ;   in Loop: Header=BB162_4 Depth=2
	ds_read_b32 v29, v20
	s_waitcnt lgkmcnt(0)
	s_nop 0
	v_mov_b32_dpp v30, v29 row_shr:1 row_mask:0xf bank_mask:0xf
	v_cndmask_b32_e64 v30, v30, 0, s[22:23]
	v_add_u32_e32 v29, v30, v29
	s_nop 1
	v_mov_b32_dpp v30, v29 row_shr:2 row_mask:0xf bank_mask:0xf
	v_cndmask_b32_e64 v30, 0, v30, s[24:25]
	v_add_u32_e32 v29, v29, v30
	ds_write_b32 v20, v29
.LBB162_14:                             ;   in Loop: Header=BB162_4 Depth=2
	s_or_b64 exec, exec, s[26:27]
	v_mov_b32_e32 v29, 0
	s_waitcnt lgkmcnt(0)
	s_barrier
	s_and_saveexec_b64 s[26:27], s[18:19]
; %bb.15:                               ;   in Loop: Header=BB162_4 Depth=2
	v_add_u32_e32 v29, -4, v19
	ds_read_b32 v29, v29
; %bb.16:                               ;   in Loop: Header=BB162_4 Depth=2
	s_or_b64 exec, exec, s[26:27]
	s_waitcnt lgkmcnt(0)
	v_add_u32_e32 v2, v29, v2
	ds_bpermute_b32 v2, v18, v2
	s_cmp_gt_u32 s36, 55
	s_mov_b64 s[26:27], -1
	s_waitcnt lgkmcnt(0)
	v_cndmask_b32_e64 v2, v2, v29, s[12:13]
	v_cndmask_b32_e64 v2, v2, 0, s[20:21]
	v_add_u32_e32 v3, v2, v3
	v_add_u32_e32 v4, v3, v4
	;; [unrolled: 1-line block ×3, first 2 shown]
	ds_write2_b32 v17, v2, v3 offset0:3 offset1:4
	ds_write2_b32 v17, v4, v1 offset0:5 offset1:6
	s_waitcnt lgkmcnt(0)
	s_barrier
	ds_read_b32 v1, v14 offset:12
	ds_read_b32 v2, v25 offset:12
	;; [unrolled: 1-line block ×3, first 2 shown]
	v_lshlrev_b32_e32 v4, 3, v13
	s_waitcnt lgkmcnt(0)
	v_lshl_add_u32 v25, v1, 3, v4
	v_lshlrev_b32_e32 v1, 3, v26
	v_lshlrev_b32_e32 v4, 3, v24
	v_lshlrev_b32_e32 v2, 3, v2
	v_add3_u32 v24, v1, v4, v2
	v_lshlrev_b32_e32 v1, 3, v6
	v_lshlrev_b32_e32 v2, 3, v27
	;; [unrolled: 1-line block ×3, first 2 shown]
	v_add3_u32 v6, v1, v2, v3
                                        ; implicit-def: $vgpr1_vgpr2
                                        ; implicit-def: $vgpr13_vgpr14
	s_cbranch_scc1 .LBB162_3
; %bb.17:                               ;   in Loop: Header=BB162_4 Depth=2
	s_barrier
	ds_write_b64 v25, v[11:12]
	ds_write_b64 v24, v[9:10]
	;; [unrolled: 1-line block ×3, first 2 shown]
	s_waitcnt lgkmcnt(0)
	s_barrier
	ds_read2st64_b64 v[1:4], v22 offset1:1
	ds_read_b64 v[13:14], v22 offset:1024
	s_add_i32 s34, s34, -8
	s_add_i32 s33, s33, 8
	s_add_i32 s36, s36, 8
	s_mov_b64 s[26:27], 0
	s_waitcnt lgkmcnt(0)
	s_barrier
	s_branch .LBB162_3
.LBB162_18:
	s_add_u32 s0, s38, s40
	s_addc_u32 s1, s39, s41
	v_lshlrev_b32_e32 v0, 3, v0
	global_store_dwordx2 v0, v[3:4], s[0:1]
	global_store_dwordx2 v0, v[6:7], s[0:1] offset:1536
	global_store_dwordx2 v0, v[8:9], s[0:1] offset:3072
	s_endpgm
	.section	.rodata,"a",@progbits
	.p2align	6, 0x0
	.amdhsa_kernel _Z16sort_keys_kernelI22helper_blocked_blockedN15benchmark_utils11custom_typeIiiEELj192ELj3ELj10EEvPKT0_PS4_
		.amdhsa_group_segment_fixed_size 4608
		.amdhsa_private_segment_fixed_size 0
		.amdhsa_kernarg_size 272
		.amdhsa_user_sgpr_count 6
		.amdhsa_user_sgpr_private_segment_buffer 1
		.amdhsa_user_sgpr_dispatch_ptr 0
		.amdhsa_user_sgpr_queue_ptr 0
		.amdhsa_user_sgpr_kernarg_segment_ptr 1
		.amdhsa_user_sgpr_dispatch_id 0
		.amdhsa_user_sgpr_flat_scratch_init 0
		.amdhsa_user_sgpr_private_segment_size 0
		.amdhsa_uses_dynamic_stack 0
		.amdhsa_system_sgpr_private_segment_wavefront_offset 0
		.amdhsa_system_sgpr_workgroup_id_x 1
		.amdhsa_system_sgpr_workgroup_id_y 0
		.amdhsa_system_sgpr_workgroup_id_z 0
		.amdhsa_system_sgpr_workgroup_info 0
		.amdhsa_system_vgpr_workitem_id 2
		.amdhsa_next_free_vgpr 31
		.amdhsa_next_free_sgpr 45
		.amdhsa_reserve_vcc 1
		.amdhsa_reserve_flat_scratch 0
		.amdhsa_float_round_mode_32 0
		.amdhsa_float_round_mode_16_64 0
		.amdhsa_float_denorm_mode_32 3
		.amdhsa_float_denorm_mode_16_64 3
		.amdhsa_dx10_clamp 1
		.amdhsa_ieee_mode 1
		.amdhsa_fp16_overflow 0
		.amdhsa_exception_fp_ieee_invalid_op 0
		.amdhsa_exception_fp_denorm_src 0
		.amdhsa_exception_fp_ieee_div_zero 0
		.amdhsa_exception_fp_ieee_overflow 0
		.amdhsa_exception_fp_ieee_underflow 0
		.amdhsa_exception_fp_ieee_inexact 0
		.amdhsa_exception_int_div_zero 0
	.end_amdhsa_kernel
	.section	.text._Z16sort_keys_kernelI22helper_blocked_blockedN15benchmark_utils11custom_typeIiiEELj192ELj3ELj10EEvPKT0_PS4_,"axG",@progbits,_Z16sort_keys_kernelI22helper_blocked_blockedN15benchmark_utils11custom_typeIiiEELj192ELj3ELj10EEvPKT0_PS4_,comdat
.Lfunc_end162:
	.size	_Z16sort_keys_kernelI22helper_blocked_blockedN15benchmark_utils11custom_typeIiiEELj192ELj3ELj10EEvPKT0_PS4_, .Lfunc_end162-_Z16sort_keys_kernelI22helper_blocked_blockedN15benchmark_utils11custom_typeIiiEELj192ELj3ELj10EEvPKT0_PS4_
                                        ; -- End function
	.set _Z16sort_keys_kernelI22helper_blocked_blockedN15benchmark_utils11custom_typeIiiEELj192ELj3ELj10EEvPKT0_PS4_.num_vgpr, 31
	.set _Z16sort_keys_kernelI22helper_blocked_blockedN15benchmark_utils11custom_typeIiiEELj192ELj3ELj10EEvPKT0_PS4_.num_agpr, 0
	.set _Z16sort_keys_kernelI22helper_blocked_blockedN15benchmark_utils11custom_typeIiiEELj192ELj3ELj10EEvPKT0_PS4_.numbered_sgpr, 45
	.set _Z16sort_keys_kernelI22helper_blocked_blockedN15benchmark_utils11custom_typeIiiEELj192ELj3ELj10EEvPKT0_PS4_.num_named_barrier, 0
	.set _Z16sort_keys_kernelI22helper_blocked_blockedN15benchmark_utils11custom_typeIiiEELj192ELj3ELj10EEvPKT0_PS4_.private_seg_size, 0
	.set _Z16sort_keys_kernelI22helper_blocked_blockedN15benchmark_utils11custom_typeIiiEELj192ELj3ELj10EEvPKT0_PS4_.uses_vcc, 1
	.set _Z16sort_keys_kernelI22helper_blocked_blockedN15benchmark_utils11custom_typeIiiEELj192ELj3ELj10EEvPKT0_PS4_.uses_flat_scratch, 0
	.set _Z16sort_keys_kernelI22helper_blocked_blockedN15benchmark_utils11custom_typeIiiEELj192ELj3ELj10EEvPKT0_PS4_.has_dyn_sized_stack, 0
	.set _Z16sort_keys_kernelI22helper_blocked_blockedN15benchmark_utils11custom_typeIiiEELj192ELj3ELj10EEvPKT0_PS4_.has_recursion, 0
	.set _Z16sort_keys_kernelI22helper_blocked_blockedN15benchmark_utils11custom_typeIiiEELj192ELj3ELj10EEvPKT0_PS4_.has_indirect_call, 0
	.section	.AMDGPU.csdata,"",@progbits
; Kernel info:
; codeLenInByte = 2580
; TotalNumSgprs: 49
; NumVgprs: 31
; ScratchSize: 0
; MemoryBound: 0
; FloatMode: 240
; IeeeMode: 1
; LDSByteSize: 4608 bytes/workgroup (compile time only)
; SGPRBlocks: 6
; VGPRBlocks: 7
; NumSGPRsForWavesPerEU: 49
; NumVGPRsForWavesPerEU: 31
; Occupancy: 8
; WaveLimiterHint : 1
; COMPUTE_PGM_RSRC2:SCRATCH_EN: 0
; COMPUTE_PGM_RSRC2:USER_SGPR: 6
; COMPUTE_PGM_RSRC2:TRAP_HANDLER: 0
; COMPUTE_PGM_RSRC2:TGID_X_EN: 1
; COMPUTE_PGM_RSRC2:TGID_Y_EN: 0
; COMPUTE_PGM_RSRC2:TGID_Z_EN: 0
; COMPUTE_PGM_RSRC2:TIDIG_COMP_CNT: 2
	.section	.text._Z17sort_pairs_kernelI22helper_blocked_blockedN15benchmark_utils11custom_typeIiiEELj192ELj3ELj10EEvPKT0_PS4_,"axG",@progbits,_Z17sort_pairs_kernelI22helper_blocked_blockedN15benchmark_utils11custom_typeIiiEELj192ELj3ELj10EEvPKT0_PS4_,comdat
	.protected	_Z17sort_pairs_kernelI22helper_blocked_blockedN15benchmark_utils11custom_typeIiiEELj192ELj3ELj10EEvPKT0_PS4_ ; -- Begin function _Z17sort_pairs_kernelI22helper_blocked_blockedN15benchmark_utils11custom_typeIiiEELj192ELj3ELj10EEvPKT0_PS4_
	.globl	_Z17sort_pairs_kernelI22helper_blocked_blockedN15benchmark_utils11custom_typeIiiEELj192ELj3ELj10EEvPKT0_PS4_
	.p2align	8
	.type	_Z17sort_pairs_kernelI22helper_blocked_blockedN15benchmark_utils11custom_typeIiiEELj192ELj3ELj10EEvPKT0_PS4_,@function
_Z17sort_pairs_kernelI22helper_blocked_blockedN15benchmark_utils11custom_typeIiiEELj192ELj3ELj10EEvPKT0_PS4_: ; @_Z17sort_pairs_kernelI22helper_blocked_blockedN15benchmark_utils11custom_typeIiiEELj192ELj3ELj10EEvPKT0_PS4_
; %bb.0:
	s_load_dwordx4 s[36:39], s[4:5], 0x0
	s_load_dword s24, s[4:5], 0x1c
	s_mul_i32 s40, s6, 0x240
	s_mov_b32 s41, 0
	s_lshl_b64 s[34:35], s[40:41], 3
	s_waitcnt lgkmcnt(0)
	s_add_u32 s0, s36, s34
	s_addc_u32 s1, s37, s35
	v_lshlrev_b32_e32 v5, 3, v0
	global_load_dwordx2 v[3:4], v5, s[0:1]
	global_load_dwordx2 v[10:11], v5, s[0:1] offset:1536
	global_load_dwordx2 v[12:13], v5, s[0:1] offset:3072
	s_lshr_b32 s25, s24, 16
	s_and_b32 s24, s24, 0xffff
	v_mad_u32_u24 v1, v2, s25, v1
	v_mbcnt_lo_u32_b32 v5, -1, 0
	v_mad_u64_u32 v[1:2], s[24:25], v1, s24, v[0:1]
	v_mbcnt_hi_u32_b32 v5, -1, v5
	v_lshrrev_b32_e32 v6, 6, v0
	v_and_b32_e32 v7, 0xc0, v0
	v_subrev_co_u32_e64 v18, s[8:9], 1, v5
	v_and_b32_e32 v19, 64, v5
	v_lshlrev_b32_e32 v27, 4, v0
	v_mul_u32_u24_e32 v9, 0xc0, v6
	v_and_b32_e32 v15, 15, v5
	v_min_u32_e32 v17, 0x80, v7
	v_lshlrev_b32_e32 v28, 2, v6
	v_and_b32_e32 v6, 3, v5
	v_cmp_lt_i32_e32 vcc, v18, v19
	v_mul_u32_u24_e32 v8, 20, v0
	v_lshlrev_b32_e32 v14, 3, v5
	v_and_b32_e32 v16, 16, v5
	v_mad_i32_i24 v29, v0, -12, v27
	v_mul_u32_u24_e32 v7, 24, v7
	v_cmp_eq_u32_e64 s[10:11], 0, v15
	v_cmp_lt_u32_e64 s[12:13], 1, v15
	v_cmp_lt_u32_e64 s[14:15], 3, v15
	;; [unrolled: 1-line block ×3, first 2 shown]
	v_cmp_eq_u32_e64 s[20:21], 0, v6
	v_cmp_lt_u32_e64 s[22:23], 1, v6
	v_lshlrev_b32_e32 v6, 3, v9
	v_or_b32_e32 v9, 63, v17
	v_cndmask_b32_e32 v15, v18, v5, vcc
	v_lshrrev_b32_e32 v1, 4, v1
	v_cmp_gt_u32_e64 s[0:1], 3, v0
	v_cmp_lt_u32_e64 s[2:3], 63, v0
	v_cmp_eq_u32_e64 s[4:5], 0, v0
	v_cmp_lt_u32_e64 s[6:7], 31, v5
	v_cmp_eq_u32_e64 s[18:19], 0, v16
	v_add_u32_e32 v30, v14, v7
	v_add_u32_e32 v31, v29, v8
	v_add_u32_e32 v32, -4, v28
	v_mad_u32_u24 v33, v5, 24, v6
	v_add_u32_e32 v34, v14, v6
	v_cmp_eq_u32_e64 s[24:25], v0, v9
	v_lshlrev_b32_e32 v35, 2, v15
	v_and_b32_e32 v36, 0xffffffc, v1
	v_mov_b32_e32 v9, 0
	s_waitcnt vmcnt(2)
	v_add_u32_e32 v6, 1, v4
	v_add_u32_e32 v5, 1, v3
	s_waitcnt vmcnt(1)
	v_add_u32_e32 v8, 1, v11
	v_add_u32_e32 v7, 1, v10
	;; [unrolled: 3-line block ×3, first 2 shown]
	s_branch .LBB163_2
.LBB163_1:                              ;   in Loop: Header=BB163_2 Depth=1
	s_barrier
	ds_write_b64 v37, v[21:22]
	ds_write_b64 v38, v[19:20]
	;; [unrolled: 1-line block ×3, first 2 shown]
	s_waitcnt lgkmcnt(0)
	s_barrier
	ds_read2_b64 v[17:20], v31 offset1:1
	ds_read_b64 v[1:2], v31 offset:16
	s_waitcnt lgkmcnt(0)
	s_barrier
	ds_write_b64 v37, v[15:16]
	ds_write_b64 v38, v[13:14]
	;; [unrolled: 1-line block ×3, first 2 shown]
	s_waitcnt lgkmcnt(0)
	s_barrier
	ds_read2_b64 v[5:8], v31 offset1:1
	ds_read_b64 v[14:15], v31 offset:16
	s_add_i32 s41, s41, 1
	v_xor_b32_e32 v3, 0x80000000, v17
	v_xor_b32_e32 v4, 0x80000000, v18
	;; [unrolled: 1-line block ×5, first 2 shown]
	s_cmp_lg_u32 s41, 10
	v_xor_b32_e32 v13, 0x80000000, v2
	s_cbranch_scc0 .LBB163_18
.LBB163_2:                              ; =>This Loop Header: Depth=1
                                        ;     Child Loop BB163_4 Depth 2
	v_xor_b32_e32 v2, 0x80000000, v4
	v_xor_b32_e32 v1, 0x80000000, v3
	;; [unrolled: 1-line block ×6, first 2 shown]
	ds_write2_b64 v33, v[1:2], v[3:4] offset1:1
	ds_write_b64 v33, v[10:11] offset:16
	; wave barrier
	ds_read2st64_b64 v[1:4], v34 offset1:1
	ds_read_b64 v[23:24], v34 offset:1024
	; wave barrier
	s_waitcnt lgkmcnt(5)
	ds_write2_b64 v33, v[5:6], v[7:8] offset1:1
	s_waitcnt lgkmcnt(5)
	ds_write_b64 v33, v[14:15] offset:16
	; wave barrier
	ds_read2st64_b64 v[5:8], v34 offset1:1
	ds_read_b64 v[25:26], v34 offset:1024
	s_mov_b32 s33, 8
	s_mov_b32 s36, 32
	s_mov_b32 s37, 0
	s_waitcnt lgkmcnt(0)
	s_barrier
	s_branch .LBB163_4
.LBB163_3:                              ;   in Loop: Header=BB163_4 Depth=2
	s_andn2_b64 vcc, exec, s[26:27]
	s_cbranch_vccz .LBB163_1
.LBB163_4:                              ;   Parent Loop BB163_2 Depth=1
                                        ; =>  This Inner Loop Header: Depth=2
	s_min_i32 s28, s33, 32
	s_cmp_lt_u32 s37, 32
	s_cselect_b64 s[26:27], -1, 0
	s_cmp_gt_u32 s37, 31
	s_cselect_b64 vcc, -1, 0
	s_sub_i32 s28, s28, 32
	s_add_i32 s29, s28, s36
	s_lshl_b32 s29, -1, s29
	s_not_b32 s29, s29
	s_cmp_lg_u32 s28, s37
	s_cselect_b32 s42, s29, -1
	s_max_i32 s40, s36, 0
	s_max_i32 s28, s37, 32
	s_sub_i32 s43, s28, 32
	s_sub_i32 s28, s28, s40
	;; [unrolled: 1-line block ×3, first 2 shown]
	s_min_i32 s28, s28, 32
	s_sub_i32 s28, s28, s43
	s_lshl_b32 s29, -1, s28
	v_mov_b32_e32 v22, v2
	s_not_b32 s29, s29
	v_mov_b32_e32 v21, v1
	s_cmp_lg_u32 s28, 32
	s_cselect_b32 s44, s29, -1
	v_lshrrev_b32_e32 v2, s43, v21
	v_lshrrev_b32_e32 v1, s37, v22
	v_and_b32_e32 v2, s44, v2
	v_and_b32_e32 v1, s42, v1
	v_lshlrev_b32_e32 v2, s40, v2
	v_cndmask_b32_e64 v1, 0, v1, s[26:27]
	v_cndmask_b32_e32 v2, 0, v2, vcc
	v_or_b32_e32 v1, v1, v2
	v_mov_b32_e32 v20, v4
	v_and_b32_e32 v2, 1, v1
	v_mov_b32_e32 v16, v6
	v_mov_b32_e32 v19, v3
	v_add_co_u32_e64 v4, s[28:29], -1, v2
	v_mov_b32_e32 v15, v5
	v_addc_co_u32_e64 v5, s[28:29], 0, -1, s[28:29]
	v_cmp_ne_u32_e64 s[28:29], 0, v2
	v_lshlrev_b32_e32 v10, 30, v1
	v_xor_b32_e32 v2, s29, v5
	v_xor_b32_e32 v4, s28, v4
	v_cmp_gt_i64_e64 s[28:29], 0, v[9:10]
	v_not_b32_e32 v5, v10
	v_ashrrev_i32_e32 v5, 31, v5
	v_and_b32_e32 v4, exec_lo, v4
	v_xor_b32_e32 v6, s29, v5
	v_xor_b32_e32 v5, s28, v5
	v_lshlrev_b32_e32 v10, 29, v1
	v_and_b32_e32 v4, v4, v5
	v_cmp_gt_i64_e64 s[28:29], 0, v[9:10]
	v_not_b32_e32 v5, v10
	v_and_b32_e32 v2, exec_hi, v2
	v_ashrrev_i32_e32 v5, 31, v5
	v_and_b32_e32 v2, v2, v6
	v_xor_b32_e32 v6, s29, v5
	v_xor_b32_e32 v5, s28, v5
	v_lshlrev_b32_e32 v10, 28, v1
	v_and_b32_e32 v4, v4, v5
	v_cmp_gt_i64_e64 s[28:29], 0, v[9:10]
	v_not_b32_e32 v5, v10
	v_ashrrev_i32_e32 v5, 31, v5
	v_and_b32_e32 v2, v2, v6
	v_xor_b32_e32 v6, s29, v5
	v_xor_b32_e32 v5, s28, v5
	v_lshlrev_b32_e32 v10, 27, v1
	v_and_b32_e32 v4, v4, v5
	v_cmp_gt_i64_e64 s[28:29], 0, v[9:10]
	v_not_b32_e32 v5, v10
	;; [unrolled: 8-line block ×4, first 2 shown]
	v_ashrrev_i32_e32 v5, 31, v5
	v_lshlrev_b32_e32 v10, 24, v1
	v_mul_lo_u32 v3, v1, 12
	v_and_b32_e32 v2, v2, v6
	v_xor_b32_e32 v6, s29, v5
	v_xor_b32_e32 v5, s28, v5
	v_cmp_gt_i64_e64 s[28:29], 0, v[9:10]
	v_not_b32_e32 v1, v10
	v_ashrrev_i32_e32 v1, 31, v1
	v_and_b32_e32 v4, v4, v5
	v_xor_b32_e32 v5, s29, v1
	v_xor_b32_e32 v1, s28, v1
	v_and_b32_e32 v2, v2, v6
	v_and_b32_e32 v1, v4, v1
	;; [unrolled: 1-line block ×3, first 2 shown]
	v_mbcnt_lo_u32_b32 v4, v1, 0
	v_mbcnt_hi_u32_b32 v5, v2, v4
	v_cmp_ne_u64_e64 s[28:29], 0, v[1:2]
	v_mov_b32_e32 v14, v8
	v_mov_b32_e32 v11, v25
	;; [unrolled: 1-line block ×3, first 2 shown]
	v_cmp_eq_u32_e64 s[30:31], 0, v5
	v_mov_b32_e32 v13, v7
	v_mov_b32_e32 v12, v26
	;; [unrolled: 1-line block ×3, first 2 shown]
	s_and_b64 s[30:31], s[30:31], s[28:29]
	v_add_u32_e32 v6, v36, v3
	ds_write2_b32 v27, v9, v9 offset0:3 offset1:4
	ds_write2_b32 v27, v9, v9 offset0:5 offset1:6
	s_waitcnt lgkmcnt(0)
	s_barrier
	; wave barrier
	s_and_saveexec_b64 s[28:29], s[30:31]
; %bb.5:                                ;   in Loop: Header=BB163_4 Depth=2
	v_bcnt_u32_b32 v1, v1, 0
	v_bcnt_u32_b32 v1, v2, v1
	ds_write_b32 v6, v1 offset:12
; %bb.6:                                ;   in Loop: Header=BB163_4 Depth=2
	s_or_b64 exec, exec, s[28:29]
	v_lshrrev_b32_e32 v2, s43, v19
	v_lshrrev_b32_e32 v1, s37, v20
	v_and_b32_e32 v2, s44, v2
	v_and_b32_e32 v1, s42, v1
	v_lshlrev_b32_e32 v2, s40, v2
	v_cndmask_b32_e64 v1, 0, v1, s[26:27]
	v_cndmask_b32_e32 v2, 0, v2, vcc
	v_or_b32_e32 v1, v1, v2
	v_mul_lo_u32 v2, v1, 12
	v_lshlrev_b32_e32 v10, 30, v1
	; wave barrier
	v_add_u32_e32 v8, v36, v2
	v_and_b32_e32 v2, 1, v1
	v_add_co_u32_e64 v3, s[28:29], -1, v2
	v_addc_co_u32_e64 v4, s[28:29], 0, -1, s[28:29]
	v_cmp_ne_u32_e64 s[28:29], 0, v2
	v_xor_b32_e32 v2, s29, v4
	v_xor_b32_e32 v3, s28, v3
	v_cmp_gt_i64_e64 s[28:29], 0, v[9:10]
	v_not_b32_e32 v4, v10
	v_ashrrev_i32_e32 v4, 31, v4
	v_and_b32_e32 v2, exec_hi, v2
	v_xor_b32_e32 v10, s29, v4
	v_and_b32_e32 v3, exec_lo, v3
	v_xor_b32_e32 v4, s28, v4
	v_and_b32_e32 v2, v2, v10
	v_lshlrev_b32_e32 v10, 29, v1
	v_and_b32_e32 v3, v3, v4
	v_cmp_gt_i64_e64 s[28:29], 0, v[9:10]
	v_not_b32_e32 v4, v10
	v_ashrrev_i32_e32 v4, 31, v4
	v_xor_b32_e32 v10, s29, v4
	v_xor_b32_e32 v4, s28, v4
	v_and_b32_e32 v2, v2, v10
	v_lshlrev_b32_e32 v10, 28, v1
	v_and_b32_e32 v3, v3, v4
	v_cmp_gt_i64_e64 s[28:29], 0, v[9:10]
	v_not_b32_e32 v4, v10
	v_ashrrev_i32_e32 v4, 31, v4
	v_xor_b32_e32 v10, s29, v4
	;; [unrolled: 8-line block ×5, first 2 shown]
	v_and_b32_e32 v2, v2, v10
	v_lshlrev_b32_e32 v10, 24, v1
	v_xor_b32_e32 v4, s28, v4
	v_cmp_gt_i64_e64 s[28:29], 0, v[9:10]
	v_not_b32_e32 v1, v10
	v_ashrrev_i32_e32 v1, 31, v1
	v_and_b32_e32 v3, v3, v4
	v_xor_b32_e32 v4, s29, v1
	v_xor_b32_e32 v1, s28, v1
	ds_read_b32 v7, v8 offset:12
	v_and_b32_e32 v1, v3, v1
	v_and_b32_e32 v2, v2, v4
	v_mbcnt_lo_u32_b32 v3, v1, 0
	v_mbcnt_hi_u32_b32 v23, v2, v3
	v_cmp_ne_u64_e64 s[28:29], 0, v[1:2]
	v_cmp_eq_u32_e64 s[30:31], 0, v23
	s_and_b64 s[30:31], s[30:31], s[28:29]
	; wave barrier
	s_and_saveexec_b64 s[28:29], s[30:31]
	s_cbranch_execz .LBB163_8
; %bb.7:                                ;   in Loop: Header=BB163_4 Depth=2
	v_bcnt_u32_b32 v1, v1, 0
	v_bcnt_u32_b32 v1, v2, v1
	s_waitcnt lgkmcnt(0)
	v_add_u32_e32 v1, v7, v1
	ds_write_b32 v8, v1 offset:12
.LBB163_8:                              ;   in Loop: Header=BB163_4 Depth=2
	s_or_b64 exec, exec, s[28:29]
	v_lshrrev_b32_e32 v2, s43, v17
	v_lshrrev_b32_e32 v1, s37, v18
	v_and_b32_e32 v2, s44, v2
	v_and_b32_e32 v1, s42, v1
	v_lshlrev_b32_e32 v2, s40, v2
	v_cndmask_b32_e64 v1, 0, v1, s[26:27]
	v_cndmask_b32_e32 v2, 0, v2, vcc
	v_or_b32_e32 v1, v1, v2
	v_mul_lo_u32 v2, v1, 12
	v_lshlrev_b32_e32 v10, 30, v1
	; wave barrier
	v_add_u32_e32 v25, v36, v2
	v_and_b32_e32 v2, 1, v1
	v_add_co_u32_e32 v3, vcc, -1, v2
	v_addc_co_u32_e64 v4, s[26:27], 0, -1, vcc
	v_cmp_ne_u32_e32 vcc, 0, v2
	v_xor_b32_e32 v2, vcc_hi, v4
	v_xor_b32_e32 v3, vcc_lo, v3
	v_cmp_gt_i64_e32 vcc, 0, v[9:10]
	v_not_b32_e32 v4, v10
	v_ashrrev_i32_e32 v4, 31, v4
	v_and_b32_e32 v2, exec_hi, v2
	v_xor_b32_e32 v10, vcc_hi, v4
	v_and_b32_e32 v3, exec_lo, v3
	v_xor_b32_e32 v4, vcc_lo, v4
	v_and_b32_e32 v2, v2, v10
	v_lshlrev_b32_e32 v10, 29, v1
	v_and_b32_e32 v3, v3, v4
	v_cmp_gt_i64_e32 vcc, 0, v[9:10]
	v_not_b32_e32 v4, v10
	v_ashrrev_i32_e32 v4, 31, v4
	v_xor_b32_e32 v10, vcc_hi, v4
	v_xor_b32_e32 v4, vcc_lo, v4
	v_and_b32_e32 v2, v2, v10
	v_lshlrev_b32_e32 v10, 28, v1
	v_and_b32_e32 v3, v3, v4
	v_cmp_gt_i64_e32 vcc, 0, v[9:10]
	v_not_b32_e32 v4, v10
	v_ashrrev_i32_e32 v4, 31, v4
	v_xor_b32_e32 v10, vcc_hi, v4
	;; [unrolled: 8-line block ×5, first 2 shown]
	v_and_b32_e32 v2, v2, v10
	v_lshlrev_b32_e32 v10, 24, v1
	v_xor_b32_e32 v4, vcc_lo, v4
	v_cmp_gt_i64_e32 vcc, 0, v[9:10]
	v_not_b32_e32 v1, v10
	v_ashrrev_i32_e32 v1, 31, v1
	v_and_b32_e32 v3, v3, v4
	v_xor_b32_e32 v4, vcc_hi, v1
	v_xor_b32_e32 v1, vcc_lo, v1
	ds_read_b32 v24, v25 offset:12
	v_and_b32_e32 v1, v3, v1
	v_and_b32_e32 v2, v2, v4
	v_mbcnt_lo_u32_b32 v3, v1, 0
	v_mbcnt_hi_u32_b32 v10, v2, v3
	v_cmp_ne_u64_e32 vcc, 0, v[1:2]
	v_cmp_eq_u32_e64 s[26:27], 0, v10
	s_and_b64 s[28:29], s[26:27], vcc
	; wave barrier
	s_and_saveexec_b64 s[26:27], s[28:29]
	s_cbranch_execz .LBB163_10
; %bb.9:                                ;   in Loop: Header=BB163_4 Depth=2
	v_bcnt_u32_b32 v1, v1, 0
	v_bcnt_u32_b32 v1, v2, v1
	s_waitcnt lgkmcnt(0)
	v_add_u32_e32 v1, v24, v1
	ds_write_b32 v25, v1 offset:12
.LBB163_10:                             ;   in Loop: Header=BB163_4 Depth=2
	s_or_b64 exec, exec, s[26:27]
	; wave barrier
	s_waitcnt lgkmcnt(0)
	s_barrier
	ds_read2_b32 v[3:4], v27 offset0:3 offset1:4
	ds_read2_b32 v[1:2], v27 offset0:5 offset1:6
	s_waitcnt lgkmcnt(1)
	v_add_u32_e32 v26, v4, v3
	s_waitcnt lgkmcnt(0)
	v_add3_u32 v2, v26, v1, v2
	s_nop 1
	v_mov_b32_dpp v26, v2 row_shr:1 row_mask:0xf bank_mask:0xf
	v_cndmask_b32_e64 v26, v26, 0, s[10:11]
	v_add_u32_e32 v2, v26, v2
	s_nop 1
	v_mov_b32_dpp v26, v2 row_shr:2 row_mask:0xf bank_mask:0xf
	v_cndmask_b32_e64 v26, 0, v26, s[12:13]
	v_add_u32_e32 v2, v2, v26
	;; [unrolled: 4-line block ×4, first 2 shown]
	s_nop 1
	v_mov_b32_dpp v26, v2 row_bcast:15 row_mask:0xf bank_mask:0xf
	v_cndmask_b32_e64 v26, v26, 0, s[18:19]
	v_add_u32_e32 v2, v2, v26
	s_nop 1
	v_mov_b32_dpp v26, v2 row_bcast:31 row_mask:0xf bank_mask:0xf
	v_cndmask_b32_e64 v26, 0, v26, s[6:7]
	v_add_u32_e32 v2, v2, v26
	s_and_saveexec_b64 s[26:27], s[24:25]
; %bb.11:                               ;   in Loop: Header=BB163_4 Depth=2
	ds_write_b32 v28, v2
; %bb.12:                               ;   in Loop: Header=BB163_4 Depth=2
	s_or_b64 exec, exec, s[26:27]
	s_waitcnt lgkmcnt(0)
	s_barrier
	s_and_saveexec_b64 s[26:27], s[0:1]
	s_cbranch_execz .LBB163_14
; %bb.13:                               ;   in Loop: Header=BB163_4 Depth=2
	ds_read_b32 v26, v29
	s_waitcnt lgkmcnt(0)
	s_nop 0
	v_mov_b32_dpp v37, v26 row_shr:1 row_mask:0xf bank_mask:0xf
	v_cndmask_b32_e64 v37, v37, 0, s[20:21]
	v_add_u32_e32 v26, v37, v26
	s_nop 1
	v_mov_b32_dpp v37, v26 row_shr:2 row_mask:0xf bank_mask:0xf
	v_cndmask_b32_e64 v37, 0, v37, s[22:23]
	v_add_u32_e32 v26, v26, v37
	ds_write_b32 v29, v26
.LBB163_14:                             ;   in Loop: Header=BB163_4 Depth=2
	s_or_b64 exec, exec, s[26:27]
	v_mov_b32_e32 v26, 0
	s_waitcnt lgkmcnt(0)
	s_barrier
	s_and_saveexec_b64 s[26:27], s[2:3]
; %bb.15:                               ;   in Loop: Header=BB163_4 Depth=2
	ds_read_b32 v26, v32
; %bb.16:                               ;   in Loop: Header=BB163_4 Depth=2
	s_or_b64 exec, exec, s[26:27]
	s_waitcnt lgkmcnt(0)
	v_add_u32_e32 v2, v26, v2
	ds_bpermute_b32 v2, v35, v2
	s_cmp_gt_u32 s37, 55
	s_mov_b64 s[26:27], -1
	s_waitcnt lgkmcnt(0)
	v_cndmask_b32_e64 v2, v2, v26, s[8:9]
	v_cndmask_b32_e64 v2, v2, 0, s[4:5]
	v_add_u32_e32 v3, v2, v3
	v_add_u32_e32 v4, v3, v4
	v_add_u32_e32 v1, v4, v1
	ds_write2_b32 v27, v2, v3 offset0:3 offset1:4
	ds_write2_b32 v27, v4, v1 offset0:5 offset1:6
	s_waitcnt lgkmcnt(0)
	s_barrier
	ds_read_b32 v1, v6 offset:12
	ds_read_b32 v2, v8 offset:12
	;; [unrolled: 1-line block ×3, first 2 shown]
	v_lshlrev_b32_e32 v4, 3, v5
	s_waitcnt lgkmcnt(0)
	v_lshl_add_u32 v37, v1, 3, v4
	v_lshlrev_b32_e32 v1, 3, v23
	v_lshlrev_b32_e32 v4, 3, v7
	;; [unrolled: 1-line block ×3, first 2 shown]
	v_add3_u32 v38, v1, v4, v2
	v_lshlrev_b32_e32 v1, 3, v10
	v_lshlrev_b32_e32 v2, 3, v24
	;; [unrolled: 1-line block ×3, first 2 shown]
	v_add3_u32 v10, v1, v2, v3
                                        ; implicit-def: $vgpr5_vgpr6
                                        ; implicit-def: $vgpr25_vgpr26
                                        ; implicit-def: $vgpr1_vgpr2
                                        ; implicit-def: $vgpr23_vgpr24
	s_cbranch_scc1 .LBB163_3
; %bb.17:                               ;   in Loop: Header=BB163_4 Depth=2
	s_barrier
	ds_write_b64 v37, v[21:22]
	ds_write_b64 v38, v[19:20]
	;; [unrolled: 1-line block ×3, first 2 shown]
	s_waitcnt lgkmcnt(0)
	s_barrier
	ds_read2st64_b64 v[1:4], v30 offset1:1
	ds_read_b64 v[23:24], v30 offset:1024
	s_waitcnt lgkmcnt(0)
	s_barrier
	ds_write_b64 v37, v[15:16]
	ds_write_b64 v38, v[13:14]
	;; [unrolled: 1-line block ×3, first 2 shown]
	s_waitcnt lgkmcnt(0)
	s_barrier
	ds_read2st64_b64 v[5:8], v30 offset1:1
	ds_read_b64 v[25:26], v30 offset:1024
	s_add_i32 s36, s36, -8
	s_add_i32 s33, s33, 8
	s_add_i32 s37, s37, 8
	s_mov_b64 s[26:27], 0
	s_waitcnt lgkmcnt(0)
	s_barrier
	s_branch .LBB163_3
.LBB163_18:
	s_add_u32 s0, s38, s34
	s_waitcnt lgkmcnt(1)
	v_add_u32_e32 v1, v3, v5
	v_add_u32_e32 v2, v4, v6
	s_addc_u32 s1, s39, s35
	v_lshlrev_b32_e32 v0, 3, v0
	v_add_u32_e32 v3, v10, v7
	v_add_u32_e32 v4, v11, v8
	s_waitcnt lgkmcnt(0)
	v_add_u32_e32 v5, v12, v14
	v_add_u32_e32 v6, v13, v15
	global_store_dwordx2 v0, v[1:2], s[0:1]
	global_store_dwordx2 v0, v[3:4], s[0:1] offset:1536
	global_store_dwordx2 v0, v[5:6], s[0:1] offset:3072
	s_endpgm
	.section	.rodata,"a",@progbits
	.p2align	6, 0x0
	.amdhsa_kernel _Z17sort_pairs_kernelI22helper_blocked_blockedN15benchmark_utils11custom_typeIiiEELj192ELj3ELj10EEvPKT0_PS4_
		.amdhsa_group_segment_fixed_size 4608
		.amdhsa_private_segment_fixed_size 0
		.amdhsa_kernarg_size 272
		.amdhsa_user_sgpr_count 6
		.amdhsa_user_sgpr_private_segment_buffer 1
		.amdhsa_user_sgpr_dispatch_ptr 0
		.amdhsa_user_sgpr_queue_ptr 0
		.amdhsa_user_sgpr_kernarg_segment_ptr 1
		.amdhsa_user_sgpr_dispatch_id 0
		.amdhsa_user_sgpr_flat_scratch_init 0
		.amdhsa_user_sgpr_private_segment_size 0
		.amdhsa_uses_dynamic_stack 0
		.amdhsa_system_sgpr_private_segment_wavefront_offset 0
		.amdhsa_system_sgpr_workgroup_id_x 1
		.amdhsa_system_sgpr_workgroup_id_y 0
		.amdhsa_system_sgpr_workgroup_id_z 0
		.amdhsa_system_sgpr_workgroup_info 0
		.amdhsa_system_vgpr_workitem_id 2
		.amdhsa_next_free_vgpr 39
		.amdhsa_next_free_sgpr 45
		.amdhsa_reserve_vcc 1
		.amdhsa_reserve_flat_scratch 0
		.amdhsa_float_round_mode_32 0
		.amdhsa_float_round_mode_16_64 0
		.amdhsa_float_denorm_mode_32 3
		.amdhsa_float_denorm_mode_16_64 3
		.amdhsa_dx10_clamp 1
		.amdhsa_ieee_mode 1
		.amdhsa_fp16_overflow 0
		.amdhsa_exception_fp_ieee_invalid_op 0
		.amdhsa_exception_fp_denorm_src 0
		.amdhsa_exception_fp_ieee_div_zero 0
		.amdhsa_exception_fp_ieee_overflow 0
		.amdhsa_exception_fp_ieee_underflow 0
		.amdhsa_exception_fp_ieee_inexact 0
		.amdhsa_exception_int_div_zero 0
	.end_amdhsa_kernel
	.section	.text._Z17sort_pairs_kernelI22helper_blocked_blockedN15benchmark_utils11custom_typeIiiEELj192ELj3ELj10EEvPKT0_PS4_,"axG",@progbits,_Z17sort_pairs_kernelI22helper_blocked_blockedN15benchmark_utils11custom_typeIiiEELj192ELj3ELj10EEvPKT0_PS4_,comdat
.Lfunc_end163:
	.size	_Z17sort_pairs_kernelI22helper_blocked_blockedN15benchmark_utils11custom_typeIiiEELj192ELj3ELj10EEvPKT0_PS4_, .Lfunc_end163-_Z17sort_pairs_kernelI22helper_blocked_blockedN15benchmark_utils11custom_typeIiiEELj192ELj3ELj10EEvPKT0_PS4_
                                        ; -- End function
	.set _Z17sort_pairs_kernelI22helper_blocked_blockedN15benchmark_utils11custom_typeIiiEELj192ELj3ELj10EEvPKT0_PS4_.num_vgpr, 39
	.set _Z17sort_pairs_kernelI22helper_blocked_blockedN15benchmark_utils11custom_typeIiiEELj192ELj3ELj10EEvPKT0_PS4_.num_agpr, 0
	.set _Z17sort_pairs_kernelI22helper_blocked_blockedN15benchmark_utils11custom_typeIiiEELj192ELj3ELj10EEvPKT0_PS4_.numbered_sgpr, 45
	.set _Z17sort_pairs_kernelI22helper_blocked_blockedN15benchmark_utils11custom_typeIiiEELj192ELj3ELj10EEvPKT0_PS4_.num_named_barrier, 0
	.set _Z17sort_pairs_kernelI22helper_blocked_blockedN15benchmark_utils11custom_typeIiiEELj192ELj3ELj10EEvPKT0_PS4_.private_seg_size, 0
	.set _Z17sort_pairs_kernelI22helper_blocked_blockedN15benchmark_utils11custom_typeIiiEELj192ELj3ELj10EEvPKT0_PS4_.uses_vcc, 1
	.set _Z17sort_pairs_kernelI22helper_blocked_blockedN15benchmark_utils11custom_typeIiiEELj192ELj3ELj10EEvPKT0_PS4_.uses_flat_scratch, 0
	.set _Z17sort_pairs_kernelI22helper_blocked_blockedN15benchmark_utils11custom_typeIiiEELj192ELj3ELj10EEvPKT0_PS4_.has_dyn_sized_stack, 0
	.set _Z17sort_pairs_kernelI22helper_blocked_blockedN15benchmark_utils11custom_typeIiiEELj192ELj3ELj10EEvPKT0_PS4_.has_recursion, 0
	.set _Z17sort_pairs_kernelI22helper_blocked_blockedN15benchmark_utils11custom_typeIiiEELj192ELj3ELj10EEvPKT0_PS4_.has_indirect_call, 0
	.section	.AMDGPU.csdata,"",@progbits
; Kernel info:
; codeLenInByte = 2800
; TotalNumSgprs: 49
; NumVgprs: 39
; ScratchSize: 0
; MemoryBound: 0
; FloatMode: 240
; IeeeMode: 1
; LDSByteSize: 4608 bytes/workgroup (compile time only)
; SGPRBlocks: 6
; VGPRBlocks: 9
; NumSGPRsForWavesPerEU: 49
; NumVGPRsForWavesPerEU: 39
; Occupancy: 6
; WaveLimiterHint : 1
; COMPUTE_PGM_RSRC2:SCRATCH_EN: 0
; COMPUTE_PGM_RSRC2:USER_SGPR: 6
; COMPUTE_PGM_RSRC2:TRAP_HANDLER: 0
; COMPUTE_PGM_RSRC2:TGID_X_EN: 1
; COMPUTE_PGM_RSRC2:TGID_Y_EN: 0
; COMPUTE_PGM_RSRC2:TGID_Z_EN: 0
; COMPUTE_PGM_RSRC2:TIDIG_COMP_CNT: 2
	.section	.text._Z16sort_keys_kernelI22helper_blocked_blockedN15benchmark_utils11custom_typeIiiEELj192ELj4ELj10EEvPKT0_PS4_,"axG",@progbits,_Z16sort_keys_kernelI22helper_blocked_blockedN15benchmark_utils11custom_typeIiiEELj192ELj4ELj10EEvPKT0_PS4_,comdat
	.protected	_Z16sort_keys_kernelI22helper_blocked_blockedN15benchmark_utils11custom_typeIiiEELj192ELj4ELj10EEvPKT0_PS4_ ; -- Begin function _Z16sort_keys_kernelI22helper_blocked_blockedN15benchmark_utils11custom_typeIiiEELj192ELj4ELj10EEvPKT0_PS4_
	.globl	_Z16sort_keys_kernelI22helper_blocked_blockedN15benchmark_utils11custom_typeIiiEELj192ELj4ELj10EEvPKT0_PS4_
	.p2align	8
	.type	_Z16sort_keys_kernelI22helper_blocked_blockedN15benchmark_utils11custom_typeIiiEELj192ELj4ELj10EEvPKT0_PS4_,@function
_Z16sort_keys_kernelI22helper_blocked_blockedN15benchmark_utils11custom_typeIiiEELj192ELj4ELj10EEvPKT0_PS4_: ; @_Z16sort_keys_kernelI22helper_blocked_blockedN15benchmark_utils11custom_typeIiiEELj192ELj4ELj10EEvPKT0_PS4_
; %bb.0:
	s_load_dwordx4 s[40:43], s[4:5], 0x0
	s_load_dword s8, s[4:5], 0x1c
	s_mul_i32 s44, s6, 0x300
	s_mov_b32 s45, 0
	s_lshl_b64 s[46:47], s[44:45], 3
	s_waitcnt lgkmcnt(0)
	s_add_u32 s0, s40, s46
	s_addc_u32 s1, s41, s47
	v_lshlrev_b32_e32 v3, 3, v0
	v_mov_b32_e32 v4, s1
	v_add_co_u32_e32 v5, vcc, s0, v3
	v_addc_co_u32_e32 v4, vcc, 0, v4, vcc
	s_movk_i32 s2, 0x1000
	v_add_co_u32_e32 v12, vcc, s2, v5
	v_addc_co_u32_e32 v13, vcc, 0, v4, vcc
	global_load_dwordx2 v[6:7], v3, s[0:1]
	global_load_dwordx2 v[10:11], v3, s[0:1] offset:1536
	global_load_dwordx2 v[8:9], v3, s[0:1] offset:3072
	global_load_dwordx2 v[4:5], v[12:13], off offset:512
	v_mbcnt_lo_u32_b32 v12, -1, 0
	v_mbcnt_hi_u32_b32 v12, -1, v12
	v_lshrrev_b32_e32 v13, 2, v12
	v_and_b32_e32 v15, 64, v12
	v_or_b32_e32 v16, v13, v15
	v_add_u32_e32 v13, 48, v13
	s_lshr_b32 s9, s8, 16
	v_and_or_b32 v13, v13, 63, v15
	s_and_b32 s8, s8, 0xffff
	v_mad_u32_u24 v1, v2, s9, v1
	v_lshlrev_b32_e32 v22, 2, v13
	v_mad_u64_u32 v[1:2], s[8:9], v1, s8, v[0:1]
	v_and_b32_e32 v13, 15, v12
	v_cmp_eq_u32_e64 s[8:9], 0, v13
	v_cmp_lt_u32_e64 s[10:11], 1, v13
	v_cmp_lt_u32_e64 s[12:13], 3, v13
	;; [unrolled: 1-line block ×3, first 2 shown]
	v_and_b32_e32 v13, 16, v12
	v_cmp_eq_u32_e64 s[16:17], 0, v13
	v_and_b32_e32 v13, 0xc0, v0
	v_min_u32_e32 v13, 0x80, v13
	v_or_b32_e32 v13, 63, v13
	s_movk_i32 s33, 0x300
	v_lshlrev_b32_e32 v2, 2, v0
	v_cmp_eq_u32_e64 s[20:21], v0, v13
	v_subrev_co_u32_e64 v13, s[26:27], 1, v12
	v_cmp_lt_i32_e32 vcc, v13, v15
	v_and_or_b32 v2, v2, s33, v12
	v_and_b32_e32 v14, 3, v12
	v_cmp_lt_u32_e64 s[18:19], 31, v12
	v_cndmask_b32_e32 v13, v13, v12, vcc
	v_lshrrev_b32_e32 v12, 2, v2
	v_cmp_eq_u32_e64 s[0:1], 0, v14
	v_cmp_eq_u32_e64 s[2:3], 1, v14
	;; [unrolled: 1-line block ×4, first 2 shown]
	v_cmp_lt_u32_e64 s[30:31], 1, v14
	v_and_b32_e32 v12, 0xd8, v12
	v_lshlrev_b32_e32 v14, 3, v2
	v_add_u32_e32 v27, v12, v14
	v_add_u32_e32 v12, 64, v2
	v_lshrrev_b32_e32 v12, 2, v12
	v_and_b32_e32 v12, 0xf8, v12
	v_add_u32_e32 v28, v12, v14
	v_or_b32_e32 v12, 0x80, v2
	v_add_u32_e32 v2, 0xc0, v2
	v_lshlrev_b32_e32 v24, 2, v13
	v_lshrrev_b32_e32 v13, 4, v0
	v_lshrrev_b32_e32 v12, 2, v12
	;; [unrolled: 1-line block ×4, first 2 shown]
	v_lshlrev_b32_e32 v19, 2, v16
	v_lshlrev_b32_e32 v23, 4, v0
	v_and_b32_e32 v25, 12, v13
	v_mul_i32_i24_e32 v13, -12, v0
	v_and_b32_e32 v12, 0xf8, v12
	v_and_b32_e32 v2, 0x1f8, v2
	;; [unrolled: 1-line block ×4, first 2 shown]
	v_mov_b32_e32 v3, 0
	v_add_u32_e32 v20, 64, v19
	v_or_b32_e32 v21, 0x80, v19
	v_cmp_gt_u32_e64 s[22:23], 3, v0
	v_cmp_lt_u32_e64 s[24:25], 63, v0
	v_cmp_eq_u32_e64 s[28:29], 0, v0
	v_add_u32_e32 v26, -4, v25
	v_add_u32_e32 v29, v12, v14
	v_add_u32_e32 v30, v2, v14
	v_lshl_add_u32 v32, v0, 5, v1
	v_add_u32_e32 v33, v23, v13
	s_branch .LBB164_2
.LBB164_1:                              ;   in Loop: Header=BB164_2 Depth=1
	s_barrier
	ds_write_b64 v4, v[9:10]
	ds_write_b64 v34, v[7:8]
	;; [unrolled: 1-line block ×4, first 2 shown]
	s_waitcnt lgkmcnt(0)
	s_barrier
	ds_read2_b64 v[6:9], v32 offset1:1
	ds_read2_b64 v[12:15], v32 offset0:2 offset1:3
	s_add_i32 s45, s45, 1
	s_cmp_eq_u32 s45, 10
	s_waitcnt lgkmcnt(1)
	v_xor_b32_e32 v6, 0x80000000, v6
	v_xor_b32_e32 v7, 0x80000000, v7
	;; [unrolled: 1-line block ×4, first 2 shown]
	s_waitcnt lgkmcnt(0)
	v_xor_b32_e32 v8, 0x80000000, v12
	v_xor_b32_e32 v9, 0x80000000, v13
	;; [unrolled: 1-line block ×4, first 2 shown]
	s_cbranch_scc1 .LBB164_20
.LBB164_2:                              ; =>This Loop Header: Depth=1
                                        ;     Child Loop BB164_4 Depth 2
	s_waitcnt vmcnt(3)
	v_xor_b32_e32 v2, 0x80000000, v7
	v_xor_b32_e32 v1, 0x80000000, v6
	s_waitcnt vmcnt(2)
	v_xor_b32_e32 v6, 0x80000000, v10
	v_xor_b32_e32 v7, 0x80000000, v11
	ds_bpermute_b32 v10, v19, v2
	ds_bpermute_b32 v12, v19, v7
	;; [unrolled: 1-line block ×4, first 2 shown]
	s_waitcnt vmcnt(1)
	v_xor_b32_e32 v9, 0x80000000, v9
	s_waitcnt vmcnt(0)
	v_xor_b32_e32 v5, 0x80000000, v5
	s_waitcnt lgkmcnt(3)
	v_cndmask_b32_e64 v10, 0, v10, s[0:1]
	ds_bpermute_b32 v14, v19, v9
	v_xor_b32_e32 v8, 0x80000000, v8
	s_waitcnt lgkmcnt(3)
	v_cndmask_b32_e64 v10, v10, v12, s[2:3]
	ds_bpermute_b32 v12, v19, v5
	;; [unrolled: 4-line block ×3, first 2 shown]
	s_waitcnt lgkmcnt(3)
	v_cndmask_b32_e64 v11, v11, v13, s[2:3]
	ds_bpermute_b32 v13, v19, v4
	s_waitcnt lgkmcnt(3)
	v_cndmask_b32_e64 v10, v10, v14, s[4:5]
	s_waitcnt lgkmcnt(2)
	v_cndmask_b32_e64 v12, v10, v12, s[6:7]
	ds_bpermute_b32 v10, v20, v2
	s_waitcnt lgkmcnt(2)
	v_cndmask_b32_e64 v11, v11, v15, s[4:5]
	ds_bpermute_b32 v14, v20, v1
	ds_bpermute_b32 v15, v20, v7
	s_waitcnt lgkmcnt(3)
	v_cndmask_b32_e64 v11, v11, v13, s[6:7]
	ds_bpermute_b32 v13, v20, v6
	s_waitcnt lgkmcnt(3)
	v_cndmask_b32_e64 v10, 0, v10, s[0:1]
	s_waitcnt lgkmcnt(2)
	v_cndmask_b32_e64 v14, 0, v14, s[0:1]
	s_waitcnt lgkmcnt(1)
	v_cndmask_b32_e64 v10, v10, v15, s[2:3]
	ds_bpermute_b32 v15, v20, v9
	s_waitcnt lgkmcnt(1)
	v_cndmask_b32_e64 v13, v14, v13, s[2:3]
	ds_bpermute_b32 v14, v20, v8
	ds_bpermute_b32 v16, v20, v5
	ds_bpermute_b32 v17, v20, v4
	s_waitcnt lgkmcnt(3)
	v_cndmask_b32_e64 v10, v10, v15, s[4:5]
	ds_bpermute_b32 v15, v21, v2
	ds_bpermute_b32 v2, v22, v2
	s_waitcnt lgkmcnt(4)
	v_cndmask_b32_e64 v13, v13, v14, s[4:5]
	s_waitcnt lgkmcnt(3)
	v_cndmask_b32_e64 v14, v10, v16, s[6:7]
	ds_bpermute_b32 v10, v21, v1
	ds_bpermute_b32 v16, v21, v7
	;; [unrolled: 1-line block ×3, first 2 shown]
	s_waitcnt lgkmcnt(5)
	v_cndmask_b32_e64 v13, v13, v17, s[6:7]
	ds_bpermute_b32 v17, v21, v6
	ds_bpermute_b32 v1, v22, v1
	s_waitcnt lgkmcnt(5)
	v_cndmask_b32_e64 v2, 0, v2, s[0:1]
	ds_bpermute_b32 v6, v22, v6
	v_cndmask_b32_e64 v15, 0, v15, s[0:1]
	ds_bpermute_b32 v18, v21, v9
	s_waitcnt lgkmcnt(6)
	v_cndmask_b32_e64 v10, 0, v10, s[0:1]
	ds_bpermute_b32 v34, v21, v8
	s_waitcnt lgkmcnt(5)
	v_cndmask_b32_e64 v2, v2, v7, s[2:3]
	ds_bpermute_b32 v7, v22, v9
	ds_bpermute_b32 v8, v22, v8
	v_cndmask_b32_e64 v15, v15, v16, s[2:3]
	s_waitcnt lgkmcnt(6)
	v_cndmask_b32_e64 v10, v10, v17, s[2:3]
	ds_bpermute_b32 v16, v21, v5
	ds_bpermute_b32 v17, v21, v4
	;; [unrolled: 1-line block ×4, first 2 shown]
	s_waitcnt lgkmcnt(9)
	v_cndmask_b32_e64 v1, 0, v1, s[0:1]
	s_waitcnt lgkmcnt(8)
	v_cndmask_b32_e64 v1, v1, v6, s[2:3]
	;; [unrolled: 2-line block ×10, first 2 shown]
	s_mov_b32 s33, 8
	s_mov_b32 s40, 32
	;; [unrolled: 1-line block ×3, first 2 shown]
	s_barrier
	s_branch .LBB164_4
.LBB164_3:                              ;   in Loop: Header=BB164_4 Depth=2
	s_andn2_b64 vcc, exec, s[34:35]
	s_cbranch_vccz .LBB164_1
.LBB164_4:                              ;   Parent Loop BB164_2 Depth=1
                                        ; =>  This Inner Loop Header: Depth=2
	s_min_i32 s36, s33, 32
	s_cmp_lt_u32 s41, 32
	s_cselect_b64 s[34:35], -1, 0
	s_cmp_gt_u32 s41, 31
	s_cselect_b64 vcc, -1, 0
	s_sub_i32 s36, s36, 32
	s_add_i32 s37, s36, s40
	s_lshl_b32 s37, -1, s37
	s_not_b32 s37, s37
	s_cmp_lg_u32 s36, s41
	s_cselect_b32 s48, s37, -1
	s_max_i32 s44, s40, 0
	s_max_i32 s36, s41, 32
	s_sub_i32 s49, s36, 32
	s_sub_i32 s36, s36, s44
	;; [unrolled: 1-line block ×3, first 2 shown]
	s_min_i32 s36, s36, 32
	s_sub_i32 s36, s36, s49
	s_lshl_b32 s37, -1, s36
	s_not_b32 s37, s37
	v_mov_b32_e32 v9, v11
	s_cmp_lg_u32 s36, 32
	v_mov_b32_e32 v10, v12
	s_cselect_b32 s50, s37, -1
	v_lshrrev_b32_e32 v11, s49, v9
	v_lshrrev_b32_e32 v4, s41, v10
	v_and_b32_e32 v11, s50, v11
	v_and_b32_e32 v4, s48, v4
	v_lshlrev_b32_e32 v11, s44, v11
	v_cndmask_b32_e64 v4, 0, v4, s[34:35]
	v_cndmask_b32_e32 v11, 0, v11, vcc
	v_or_b32_e32 v11, v4, v11
	v_and_b32_e32 v4, 1, v11
	v_mov_b32_e32 v7, v13
	v_add_co_u32_e64 v12, s[36:37], -1, v4
	v_mov_b32_e32 v8, v14
	v_addc_co_u32_e64 v14, s[36:37], 0, -1, s[36:37]
	v_cmp_ne_u32_e64 s[36:37], 0, v4
	v_xor_b32_e32 v4, s37, v14
	v_and_b32_e32 v14, exec_hi, v4
	v_lshlrev_b32_e32 v4, 30, v11
	v_xor_b32_e32 v12, s36, v12
	v_cmp_gt_i64_e64 s[36:37], 0, v[3:4]
	v_not_b32_e32 v4, v4
	v_mov_b32_e32 v5, v15
	v_ashrrev_i32_e32 v4, 31, v4
	v_mov_b32_e32 v6, v16
	v_and_b32_e32 v12, exec_lo, v12
	v_xor_b32_e32 v15, s37, v4
	v_xor_b32_e32 v4, s36, v4
	v_and_b32_e32 v12, v12, v4
	v_lshlrev_b32_e32 v4, 29, v11
	v_cmp_gt_i64_e64 s[36:37], 0, v[3:4]
	v_not_b32_e32 v4, v4
	v_ashrrev_i32_e32 v4, 31, v4
	v_and_b32_e32 v14, v14, v15
	v_xor_b32_e32 v15, s37, v4
	v_xor_b32_e32 v4, s36, v4
	v_and_b32_e32 v12, v12, v4
	v_lshlrev_b32_e32 v4, 28, v11
	v_cmp_gt_i64_e64 s[36:37], 0, v[3:4]
	v_not_b32_e32 v4, v4
	v_ashrrev_i32_e32 v4, 31, v4
	v_and_b32_e32 v14, v14, v15
	;; [unrolled: 8-line block ×5, first 2 shown]
	v_xor_b32_e32 v15, s37, v4
	v_xor_b32_e32 v4, s36, v4
	v_and_b32_e32 v14, v14, v15
	v_and_b32_e32 v15, v12, v4
	v_lshlrev_b32_e32 v4, 24, v11
	v_cmp_gt_i64_e64 s[36:37], 0, v[3:4]
	v_not_b32_e32 v4, v4
	v_ashrrev_i32_e32 v4, 31, v4
	v_mul_lo_u32 v13, v11, 12
	v_xor_b32_e32 v11, s37, v4
	v_xor_b32_e32 v4, s36, v4
	v_and_b32_e32 v12, v14, v11
	v_and_b32_e32 v11, v15, v4
	v_mbcnt_lo_u32_b32 v4, v11, 0
	v_mbcnt_hi_u32_b32 v15, v12, v4
	v_cmp_ne_u64_e64 s[36:37], 0, v[11:12]
	v_mov_b32_e32 v1, v17
	v_cmp_eq_u32_e64 s[38:39], 0, v15
	v_mov_b32_e32 v2, v18
	s_and_b64 s[38:39], s[38:39], s[36:37]
	v_add_u32_e32 v16, v31, v13
	ds_write2_b32 v23, v3, v3 offset0:3 offset1:4
	ds_write2_b32 v23, v3, v3 offset0:5 offset1:6
	s_waitcnt lgkmcnt(0)
	s_barrier
	; wave barrier
	s_and_saveexec_b64 s[36:37], s[38:39]
; %bb.5:                                ;   in Loop: Header=BB164_4 Depth=2
	v_bcnt_u32_b32 v4, v11, 0
	v_bcnt_u32_b32 v4, v12, v4
	ds_write_b32 v16, v4 offset:12
; %bb.6:                                ;   in Loop: Header=BB164_4 Depth=2
	s_or_b64 exec, exec, s[36:37]
	v_lshrrev_b32_e32 v11, s49, v7
	v_lshrrev_b32_e32 v4, s41, v8
	v_and_b32_e32 v11, s50, v11
	v_and_b32_e32 v4, s48, v4
	v_lshlrev_b32_e32 v11, s44, v11
	v_cndmask_b32_e64 v4, 0, v4, s[34:35]
	v_cndmask_b32_e32 v11, 0, v11, vcc
	v_or_b32_e32 v11, v4, v11
	v_mul_lo_u32 v4, v11, 12
	; wave barrier
	v_add_u32_e32 v18, v31, v4
	v_and_b32_e32 v4, 1, v11
	v_add_co_u32_e64 v12, s[36:37], -1, v4
	v_addc_co_u32_e64 v13, s[36:37], 0, -1, s[36:37]
	v_cmp_ne_u32_e64 s[36:37], 0, v4
	v_xor_b32_e32 v4, s37, v13
	v_and_b32_e32 v13, exec_hi, v4
	v_lshlrev_b32_e32 v4, 30, v11
	v_xor_b32_e32 v12, s36, v12
	v_cmp_gt_i64_e64 s[36:37], 0, v[3:4]
	v_not_b32_e32 v4, v4
	v_ashrrev_i32_e32 v4, 31, v4
	v_and_b32_e32 v12, exec_lo, v12
	v_xor_b32_e32 v14, s37, v4
	v_xor_b32_e32 v4, s36, v4
	v_and_b32_e32 v12, v12, v4
	v_lshlrev_b32_e32 v4, 29, v11
	v_cmp_gt_i64_e64 s[36:37], 0, v[3:4]
	v_not_b32_e32 v4, v4
	v_ashrrev_i32_e32 v4, 31, v4
	v_and_b32_e32 v13, v13, v14
	v_xor_b32_e32 v14, s37, v4
	v_xor_b32_e32 v4, s36, v4
	v_and_b32_e32 v12, v12, v4
	v_lshlrev_b32_e32 v4, 28, v11
	v_cmp_gt_i64_e64 s[36:37], 0, v[3:4]
	v_not_b32_e32 v4, v4
	v_ashrrev_i32_e32 v4, 31, v4
	v_and_b32_e32 v13, v13, v14
	;; [unrolled: 8-line block ×5, first 2 shown]
	v_xor_b32_e32 v14, s37, v4
	v_xor_b32_e32 v4, s36, v4
	v_and_b32_e32 v13, v13, v14
	v_and_b32_e32 v14, v12, v4
	v_lshlrev_b32_e32 v4, 24, v11
	v_cmp_gt_i64_e64 s[36:37], 0, v[3:4]
	v_not_b32_e32 v4, v4
	v_ashrrev_i32_e32 v4, 31, v4
	v_xor_b32_e32 v11, s37, v4
	v_xor_b32_e32 v4, s36, v4
	ds_read_b32 v17, v18 offset:12
	v_and_b32_e32 v12, v13, v11
	v_and_b32_e32 v11, v14, v4
	v_mbcnt_lo_u32_b32 v4, v11, 0
	v_mbcnt_hi_u32_b32 v34, v12, v4
	v_cmp_ne_u64_e64 s[36:37], 0, v[11:12]
	v_cmp_eq_u32_e64 s[38:39], 0, v34
	s_and_b64 s[38:39], s[38:39], s[36:37]
	; wave barrier
	s_and_saveexec_b64 s[36:37], s[38:39]
	s_cbranch_execz .LBB164_8
; %bb.7:                                ;   in Loop: Header=BB164_4 Depth=2
	v_bcnt_u32_b32 v4, v11, 0
	v_bcnt_u32_b32 v4, v12, v4
	s_waitcnt lgkmcnt(0)
	v_add_u32_e32 v4, v17, v4
	ds_write_b32 v18, v4 offset:12
.LBB164_8:                              ;   in Loop: Header=BB164_4 Depth=2
	s_or_b64 exec, exec, s[36:37]
	v_lshrrev_b32_e32 v11, s49, v5
	v_lshrrev_b32_e32 v4, s41, v6
	v_and_b32_e32 v11, s50, v11
	v_and_b32_e32 v4, s48, v4
	v_lshlrev_b32_e32 v11, s44, v11
	v_cndmask_b32_e64 v4, 0, v4, s[34:35]
	v_cndmask_b32_e32 v11, 0, v11, vcc
	v_or_b32_e32 v11, v4, v11
	v_mul_lo_u32 v4, v11, 12
	; wave barrier
	v_add_u32_e32 v36, v31, v4
	v_and_b32_e32 v4, 1, v11
	v_add_co_u32_e64 v12, s[36:37], -1, v4
	v_addc_co_u32_e64 v13, s[36:37], 0, -1, s[36:37]
	v_cmp_ne_u32_e64 s[36:37], 0, v4
	v_xor_b32_e32 v4, s37, v13
	v_and_b32_e32 v13, exec_hi, v4
	v_lshlrev_b32_e32 v4, 30, v11
	v_xor_b32_e32 v12, s36, v12
	v_cmp_gt_i64_e64 s[36:37], 0, v[3:4]
	v_not_b32_e32 v4, v4
	v_ashrrev_i32_e32 v4, 31, v4
	v_and_b32_e32 v12, exec_lo, v12
	v_xor_b32_e32 v14, s37, v4
	v_xor_b32_e32 v4, s36, v4
	v_and_b32_e32 v12, v12, v4
	v_lshlrev_b32_e32 v4, 29, v11
	v_cmp_gt_i64_e64 s[36:37], 0, v[3:4]
	v_not_b32_e32 v4, v4
	v_ashrrev_i32_e32 v4, 31, v4
	v_and_b32_e32 v13, v13, v14
	v_xor_b32_e32 v14, s37, v4
	v_xor_b32_e32 v4, s36, v4
	v_and_b32_e32 v12, v12, v4
	v_lshlrev_b32_e32 v4, 28, v11
	v_cmp_gt_i64_e64 s[36:37], 0, v[3:4]
	v_not_b32_e32 v4, v4
	v_ashrrev_i32_e32 v4, 31, v4
	v_and_b32_e32 v13, v13, v14
	;; [unrolled: 8-line block ×5, first 2 shown]
	v_xor_b32_e32 v14, s37, v4
	v_xor_b32_e32 v4, s36, v4
	v_and_b32_e32 v13, v13, v14
	v_and_b32_e32 v14, v12, v4
	v_lshlrev_b32_e32 v4, 24, v11
	v_cmp_gt_i64_e64 s[36:37], 0, v[3:4]
	v_not_b32_e32 v4, v4
	v_ashrrev_i32_e32 v4, 31, v4
	v_xor_b32_e32 v11, s37, v4
	v_xor_b32_e32 v4, s36, v4
	ds_read_b32 v35, v36 offset:12
	v_and_b32_e32 v12, v13, v11
	v_and_b32_e32 v11, v14, v4
	v_mbcnt_lo_u32_b32 v4, v11, 0
	v_mbcnt_hi_u32_b32 v37, v12, v4
	v_cmp_ne_u64_e64 s[36:37], 0, v[11:12]
	v_cmp_eq_u32_e64 s[38:39], 0, v37
	s_and_b64 s[38:39], s[38:39], s[36:37]
	; wave barrier
	s_and_saveexec_b64 s[36:37], s[38:39]
	s_cbranch_execz .LBB164_10
; %bb.9:                                ;   in Loop: Header=BB164_4 Depth=2
	v_bcnt_u32_b32 v4, v11, 0
	v_bcnt_u32_b32 v4, v12, v4
	s_waitcnt lgkmcnt(0)
	v_add_u32_e32 v4, v35, v4
	ds_write_b32 v36, v4 offset:12
.LBB164_10:                             ;   in Loop: Header=BB164_4 Depth=2
	s_or_b64 exec, exec, s[36:37]
	v_lshrrev_b32_e32 v11, s49, v1
	v_lshrrev_b32_e32 v4, s41, v2
	v_and_b32_e32 v11, s50, v11
	v_and_b32_e32 v4, s48, v4
	v_lshlrev_b32_e32 v11, s44, v11
	v_cndmask_b32_e64 v4, 0, v4, s[34:35]
	v_cndmask_b32_e32 v11, 0, v11, vcc
	v_or_b32_e32 v11, v4, v11
	v_mul_lo_u32 v4, v11, 12
	; wave barrier
	v_add_u32_e32 v39, v31, v4
	v_and_b32_e32 v4, 1, v11
	v_add_co_u32_e32 v12, vcc, -1, v4
	v_addc_co_u32_e64 v13, s[34:35], 0, -1, vcc
	v_cmp_ne_u32_e32 vcc, 0, v4
	v_xor_b32_e32 v4, vcc_hi, v13
	v_and_b32_e32 v13, exec_hi, v4
	v_lshlrev_b32_e32 v4, 30, v11
	v_xor_b32_e32 v12, vcc_lo, v12
	v_cmp_gt_i64_e32 vcc, 0, v[3:4]
	v_not_b32_e32 v4, v4
	v_ashrrev_i32_e32 v4, 31, v4
	v_and_b32_e32 v12, exec_lo, v12
	v_xor_b32_e32 v14, vcc_hi, v4
	v_xor_b32_e32 v4, vcc_lo, v4
	v_and_b32_e32 v12, v12, v4
	v_lshlrev_b32_e32 v4, 29, v11
	v_cmp_gt_i64_e32 vcc, 0, v[3:4]
	v_not_b32_e32 v4, v4
	v_ashrrev_i32_e32 v4, 31, v4
	v_and_b32_e32 v13, v13, v14
	v_xor_b32_e32 v14, vcc_hi, v4
	v_xor_b32_e32 v4, vcc_lo, v4
	v_and_b32_e32 v12, v12, v4
	v_lshlrev_b32_e32 v4, 28, v11
	v_cmp_gt_i64_e32 vcc, 0, v[3:4]
	v_not_b32_e32 v4, v4
	v_ashrrev_i32_e32 v4, 31, v4
	v_and_b32_e32 v13, v13, v14
	;; [unrolled: 8-line block ×5, first 2 shown]
	v_xor_b32_e32 v14, vcc_hi, v4
	v_xor_b32_e32 v4, vcc_lo, v4
	v_and_b32_e32 v13, v13, v14
	v_and_b32_e32 v14, v12, v4
	v_lshlrev_b32_e32 v4, 24, v11
	v_cmp_gt_i64_e32 vcc, 0, v[3:4]
	v_not_b32_e32 v4, v4
	v_ashrrev_i32_e32 v4, 31, v4
	v_xor_b32_e32 v11, vcc_hi, v4
	v_xor_b32_e32 v4, vcc_lo, v4
	ds_read_b32 v38, v39 offset:12
	v_and_b32_e32 v12, v13, v11
	v_and_b32_e32 v11, v14, v4
	v_mbcnt_lo_u32_b32 v4, v11, 0
	v_mbcnt_hi_u32_b32 v4, v12, v4
	v_cmp_ne_u64_e32 vcc, 0, v[11:12]
	v_cmp_eq_u32_e64 s[34:35], 0, v4
	s_and_b64 s[36:37], s[34:35], vcc
	; wave barrier
	s_and_saveexec_b64 s[34:35], s[36:37]
	s_cbranch_execz .LBB164_12
; %bb.11:                               ;   in Loop: Header=BB164_4 Depth=2
	v_bcnt_u32_b32 v11, v11, 0
	v_bcnt_u32_b32 v11, v12, v11
	s_waitcnt lgkmcnt(0)
	v_add_u32_e32 v11, v38, v11
	ds_write_b32 v39, v11 offset:12
.LBB164_12:                             ;   in Loop: Header=BB164_4 Depth=2
	s_or_b64 exec, exec, s[34:35]
	; wave barrier
	s_waitcnt lgkmcnt(0)
	s_barrier
	ds_read2_b32 v[13:14], v23 offset0:3 offset1:4
	ds_read2_b32 v[11:12], v23 offset0:5 offset1:6
	s_waitcnt lgkmcnt(1)
	v_add_u32_e32 v40, v14, v13
	s_waitcnt lgkmcnt(0)
	v_add3_u32 v12, v40, v11, v12
	s_nop 1
	v_mov_b32_dpp v40, v12 row_shr:1 row_mask:0xf bank_mask:0xf
	v_cndmask_b32_e64 v40, v40, 0, s[8:9]
	v_add_u32_e32 v12, v40, v12
	s_nop 1
	v_mov_b32_dpp v40, v12 row_shr:2 row_mask:0xf bank_mask:0xf
	v_cndmask_b32_e64 v40, 0, v40, s[10:11]
	v_add_u32_e32 v12, v12, v40
	s_nop 1
	v_mov_b32_dpp v40, v12 row_shr:4 row_mask:0xf bank_mask:0xf
	v_cndmask_b32_e64 v40, 0, v40, s[12:13]
	v_add_u32_e32 v12, v12, v40
	s_nop 1
	v_mov_b32_dpp v40, v12 row_shr:8 row_mask:0xf bank_mask:0xf
	v_cndmask_b32_e64 v40, 0, v40, s[14:15]
	v_add_u32_e32 v12, v12, v40
	s_nop 1
	v_mov_b32_dpp v40, v12 row_bcast:15 row_mask:0xf bank_mask:0xf
	v_cndmask_b32_e64 v40, v40, 0, s[16:17]
	v_add_u32_e32 v12, v12, v40
	s_nop 1
	v_mov_b32_dpp v40, v12 row_bcast:31 row_mask:0xf bank_mask:0xf
	v_cndmask_b32_e64 v40, 0, v40, s[18:19]
	v_add_u32_e32 v12, v12, v40
	s_and_saveexec_b64 s[34:35], s[20:21]
; %bb.13:                               ;   in Loop: Header=BB164_4 Depth=2
	ds_write_b32 v25, v12
; %bb.14:                               ;   in Loop: Header=BB164_4 Depth=2
	s_or_b64 exec, exec, s[34:35]
	s_waitcnt lgkmcnt(0)
	s_barrier
	s_and_saveexec_b64 s[34:35], s[22:23]
	s_cbranch_execz .LBB164_16
; %bb.15:                               ;   in Loop: Header=BB164_4 Depth=2
	ds_read_b32 v40, v33
	s_waitcnt lgkmcnt(0)
	s_nop 0
	v_mov_b32_dpp v41, v40 row_shr:1 row_mask:0xf bank_mask:0xf
	v_cndmask_b32_e64 v41, v41, 0, s[0:1]
	v_add_u32_e32 v40, v41, v40
	s_nop 1
	v_mov_b32_dpp v41, v40 row_shr:2 row_mask:0xf bank_mask:0xf
	v_cndmask_b32_e64 v41, 0, v41, s[30:31]
	v_add_u32_e32 v40, v40, v41
	ds_write_b32 v33, v40
.LBB164_16:                             ;   in Loop: Header=BB164_4 Depth=2
	s_or_b64 exec, exec, s[34:35]
	v_mov_b32_e32 v40, 0
	s_waitcnt lgkmcnt(0)
	s_barrier
	s_and_saveexec_b64 s[34:35], s[24:25]
; %bb.17:                               ;   in Loop: Header=BB164_4 Depth=2
	ds_read_b32 v40, v26
; %bb.18:                               ;   in Loop: Header=BB164_4 Depth=2
	s_or_b64 exec, exec, s[34:35]
	s_waitcnt lgkmcnt(0)
	v_add_u32_e32 v12, v40, v12
	ds_bpermute_b32 v12, v24, v12
	s_cmp_gt_u32 s41, 55
	s_mov_b64 s[34:35], -1
	s_waitcnt lgkmcnt(0)
	v_cndmask_b32_e64 v12, v12, v40, s[26:27]
	v_cndmask_b32_e64 v12, v12, 0, s[28:29]
	v_add_u32_e32 v13, v12, v13
	v_add_u32_e32 v14, v13, v14
	;; [unrolled: 1-line block ×3, first 2 shown]
	ds_write2_b32 v23, v12, v13 offset0:3 offset1:4
	ds_write2_b32 v23, v14, v11 offset0:5 offset1:6
	s_waitcnt lgkmcnt(0)
	s_barrier
	ds_read_b32 v11, v16 offset:12
	ds_read_b32 v12, v18 offset:12
	;; [unrolled: 1-line block ×4, first 2 shown]
	s_waitcnt lgkmcnt(0)
	v_add_u32_e32 v11, v11, v15
	v_add3_u32 v12, v34, v17, v12
	v_add3_u32 v13, v37, v35, v13
	;; [unrolled: 1-line block ×3, first 2 shown]
	v_lshrrev_b32_e32 v4, 2, v11
	v_and_b32_e32 v4, 0x3ffffff8, v4
	v_lshl_add_u32 v4, v11, 3, v4
	v_lshrrev_b32_e32 v11, 2, v12
	v_and_b32_e32 v11, 0x3ffffff8, v11
	v_lshl_add_u32 v34, v12, 3, v11
	;; [unrolled: 3-line block ×4, first 2 shown]
                                        ; implicit-def: $vgpr11_vgpr12
                                        ; implicit-def: $vgpr13_vgpr14
                                        ; implicit-def: $vgpr15_vgpr16
                                        ; implicit-def: $vgpr17_vgpr18
	s_cbranch_scc1 .LBB164_3
; %bb.19:                               ;   in Loop: Header=BB164_4 Depth=2
	s_barrier
	ds_write_b64 v4, v[9:10]
	ds_write_b64 v34, v[7:8]
	;; [unrolled: 1-line block ×4, first 2 shown]
	s_waitcnt lgkmcnt(0)
	s_barrier
	ds_read_b64 v[11:12], v27
	ds_read_b64 v[13:14], v28 offset:512
	ds_read_b64 v[15:16], v29 offset:1024
	;; [unrolled: 1-line block ×3, first 2 shown]
	s_add_i32 s40, s40, -8
	s_add_i32 s33, s33, 8
	s_add_i32 s41, s41, 8
	s_mov_b64 s[34:35], 0
	s_waitcnt lgkmcnt(0)
	s_barrier
	s_branch .LBB164_3
.LBB164_20:
	s_add_u32 s0, s42, s46
	s_addc_u32 s1, s43, s47
	v_lshlrev_b32_e32 v0, 3, v0
	v_mov_b32_e32 v1, s1
	v_add_co_u32_e32 v2, vcc, s0, v0
	v_addc_co_u32_e32 v1, vcc, 0, v1, vcc
	global_store_dwordx2 v0, v[6:7], s[0:1]
	global_store_dwordx2 v0, v[10:11], s[0:1] offset:1536
	global_store_dwordx2 v0, v[8:9], s[0:1] offset:3072
	v_add_co_u32_e32 v0, vcc, 0x1000, v2
	v_addc_co_u32_e32 v1, vcc, 0, v1, vcc
	global_store_dwordx2 v[0:1], v[4:5], off offset:512
	s_endpgm
	.section	.rodata,"a",@progbits
	.p2align	6, 0x0
	.amdhsa_kernel _Z16sort_keys_kernelI22helper_blocked_blockedN15benchmark_utils11custom_typeIiiEELj192ELj4ELj10EEvPKT0_PS4_
		.amdhsa_group_segment_fixed_size 6336
		.amdhsa_private_segment_fixed_size 0
		.amdhsa_kernarg_size 272
		.amdhsa_user_sgpr_count 6
		.amdhsa_user_sgpr_private_segment_buffer 1
		.amdhsa_user_sgpr_dispatch_ptr 0
		.amdhsa_user_sgpr_queue_ptr 0
		.amdhsa_user_sgpr_kernarg_segment_ptr 1
		.amdhsa_user_sgpr_dispatch_id 0
		.amdhsa_user_sgpr_flat_scratch_init 0
		.amdhsa_user_sgpr_private_segment_size 0
		.amdhsa_uses_dynamic_stack 0
		.amdhsa_system_sgpr_private_segment_wavefront_offset 0
		.amdhsa_system_sgpr_workgroup_id_x 1
		.amdhsa_system_sgpr_workgroup_id_y 0
		.amdhsa_system_sgpr_workgroup_id_z 0
		.amdhsa_system_sgpr_workgroup_info 0
		.amdhsa_system_vgpr_workitem_id 2
		.amdhsa_next_free_vgpr 42
		.amdhsa_next_free_sgpr 61
		.amdhsa_reserve_vcc 1
		.amdhsa_reserve_flat_scratch 0
		.amdhsa_float_round_mode_32 0
		.amdhsa_float_round_mode_16_64 0
		.amdhsa_float_denorm_mode_32 3
		.amdhsa_float_denorm_mode_16_64 3
		.amdhsa_dx10_clamp 1
		.amdhsa_ieee_mode 1
		.amdhsa_fp16_overflow 0
		.amdhsa_exception_fp_ieee_invalid_op 0
		.amdhsa_exception_fp_denorm_src 0
		.amdhsa_exception_fp_ieee_div_zero 0
		.amdhsa_exception_fp_ieee_overflow 0
		.amdhsa_exception_fp_ieee_underflow 0
		.amdhsa_exception_fp_ieee_inexact 0
		.amdhsa_exception_int_div_zero 0
	.end_amdhsa_kernel
	.section	.text._Z16sort_keys_kernelI22helper_blocked_blockedN15benchmark_utils11custom_typeIiiEELj192ELj4ELj10EEvPKT0_PS4_,"axG",@progbits,_Z16sort_keys_kernelI22helper_blocked_blockedN15benchmark_utils11custom_typeIiiEELj192ELj4ELj10EEvPKT0_PS4_,comdat
.Lfunc_end164:
	.size	_Z16sort_keys_kernelI22helper_blocked_blockedN15benchmark_utils11custom_typeIiiEELj192ELj4ELj10EEvPKT0_PS4_, .Lfunc_end164-_Z16sort_keys_kernelI22helper_blocked_blockedN15benchmark_utils11custom_typeIiiEELj192ELj4ELj10EEvPKT0_PS4_
                                        ; -- End function
	.set _Z16sort_keys_kernelI22helper_blocked_blockedN15benchmark_utils11custom_typeIiiEELj192ELj4ELj10EEvPKT0_PS4_.num_vgpr, 42
	.set _Z16sort_keys_kernelI22helper_blocked_blockedN15benchmark_utils11custom_typeIiiEELj192ELj4ELj10EEvPKT0_PS4_.num_agpr, 0
	.set _Z16sort_keys_kernelI22helper_blocked_blockedN15benchmark_utils11custom_typeIiiEELj192ELj4ELj10EEvPKT0_PS4_.numbered_sgpr, 51
	.set _Z16sort_keys_kernelI22helper_blocked_blockedN15benchmark_utils11custom_typeIiiEELj192ELj4ELj10EEvPKT0_PS4_.num_named_barrier, 0
	.set _Z16sort_keys_kernelI22helper_blocked_blockedN15benchmark_utils11custom_typeIiiEELj192ELj4ELj10EEvPKT0_PS4_.private_seg_size, 0
	.set _Z16sort_keys_kernelI22helper_blocked_blockedN15benchmark_utils11custom_typeIiiEELj192ELj4ELj10EEvPKT0_PS4_.uses_vcc, 1
	.set _Z16sort_keys_kernelI22helper_blocked_blockedN15benchmark_utils11custom_typeIiiEELj192ELj4ELj10EEvPKT0_PS4_.uses_flat_scratch, 0
	.set _Z16sort_keys_kernelI22helper_blocked_blockedN15benchmark_utils11custom_typeIiiEELj192ELj4ELj10EEvPKT0_PS4_.has_dyn_sized_stack, 0
	.set _Z16sort_keys_kernelI22helper_blocked_blockedN15benchmark_utils11custom_typeIiiEELj192ELj4ELj10EEvPKT0_PS4_.has_recursion, 0
	.set _Z16sort_keys_kernelI22helper_blocked_blockedN15benchmark_utils11custom_typeIiiEELj192ELj4ELj10EEvPKT0_PS4_.has_indirect_call, 0
	.section	.AMDGPU.csdata,"",@progbits
; Kernel info:
; codeLenInByte = 3948
; TotalNumSgprs: 55
; NumVgprs: 42
; ScratchSize: 0
; MemoryBound: 0
; FloatMode: 240
; IeeeMode: 1
; LDSByteSize: 6336 bytes/workgroup (compile time only)
; SGPRBlocks: 8
; VGPRBlocks: 10
; NumSGPRsForWavesPerEU: 65
; NumVGPRsForWavesPerEU: 42
; Occupancy: 5
; WaveLimiterHint : 1
; COMPUTE_PGM_RSRC2:SCRATCH_EN: 0
; COMPUTE_PGM_RSRC2:USER_SGPR: 6
; COMPUTE_PGM_RSRC2:TRAP_HANDLER: 0
; COMPUTE_PGM_RSRC2:TGID_X_EN: 1
; COMPUTE_PGM_RSRC2:TGID_Y_EN: 0
; COMPUTE_PGM_RSRC2:TGID_Z_EN: 0
; COMPUTE_PGM_RSRC2:TIDIG_COMP_CNT: 2
	.section	.text._Z17sort_pairs_kernelI22helper_blocked_blockedN15benchmark_utils11custom_typeIiiEELj192ELj4ELj10EEvPKT0_PS4_,"axG",@progbits,_Z17sort_pairs_kernelI22helper_blocked_blockedN15benchmark_utils11custom_typeIiiEELj192ELj4ELj10EEvPKT0_PS4_,comdat
	.protected	_Z17sort_pairs_kernelI22helper_blocked_blockedN15benchmark_utils11custom_typeIiiEELj192ELj4ELj10EEvPKT0_PS4_ ; -- Begin function _Z17sort_pairs_kernelI22helper_blocked_blockedN15benchmark_utils11custom_typeIiiEELj192ELj4ELj10EEvPKT0_PS4_
	.globl	_Z17sort_pairs_kernelI22helper_blocked_blockedN15benchmark_utils11custom_typeIiiEELj192ELj4ELj10EEvPKT0_PS4_
	.p2align	8
	.type	_Z17sort_pairs_kernelI22helper_blocked_blockedN15benchmark_utils11custom_typeIiiEELj192ELj4ELj10EEvPKT0_PS4_,@function
_Z17sort_pairs_kernelI22helper_blocked_blockedN15benchmark_utils11custom_typeIiiEELj192ELj4ELj10EEvPKT0_PS4_: ; @_Z17sort_pairs_kernelI22helper_blocked_blockedN15benchmark_utils11custom_typeIiiEELj192ELj4ELj10EEvPKT0_PS4_
; %bb.0:
	s_load_dwordx4 s[40:43], s[4:5], 0x0
	s_load_dword s33, s[4:5], 0x1c
	s_mul_i32 s46, s6, 0x300
	s_mov_b32 s47, 0
	s_lshl_b64 s[44:45], s[46:47], 3
	s_waitcnt lgkmcnt(0)
	s_add_u32 s0, s40, s44
	s_addc_u32 s1, s41, s45
	v_lshlrev_b32_e32 v3, 3, v0
	v_mov_b32_e32 v4, s1
	v_add_co_u32_e32 v5, vcc, s0, v3
	v_addc_co_u32_e32 v4, vcc, 0, v4, vcc
	global_load_dwordx2 v[10:11], v3, s[0:1]
	global_load_dwordx2 v[12:13], v3, s[0:1] offset:1536
	global_load_dwordx2 v[14:15], v3, s[0:1] offset:3072
	s_movk_i32 s0, 0x1000
	v_add_co_u32_e32 v3, vcc, s0, v5
	v_addc_co_u32_e32 v4, vcc, 0, v4, vcc
	global_load_dwordx2 v[16:17], v[3:4], off offset:512
	v_mbcnt_lo_u32_b32 v3, -1, 0
	v_mbcnt_hi_u32_b32 v3, -1, v3
	s_movk_i32 s10, 0x300
	v_lshlrev_b32_e32 v4, 2, v0
	v_and_b32_e32 v5, 0xc0, v0
	v_and_b32_e32 v8, 64, v3
	v_subrev_co_u32_e64 v19, s[8:9], 1, v3
	v_and_b32_e32 v7, 3, v3
	v_and_b32_e32 v18, 16, v3
	v_min_u32_e32 v5, 0x80, v5
	v_and_or_b32 v4, v4, s10, v3
	v_cmp_lt_i32_e32 vcc, v19, v8
	s_lshr_b32 s34, s33, 16
	v_lshrrev_b32_e32 v6, 2, v3
	v_and_b32_e32 v9, 15, v3
	v_cmp_lt_u32_e64 s[6:7], 31, v3
	v_cmp_eq_u32_e64 s[10:11], 0, v7
	v_cmp_eq_u32_e64 s[12:13], 1, v7
	v_cmp_eq_u32_e64 s[14:15], 2, v7
	v_cmp_eq_u32_e64 s[16:17], 3, v7
	v_cmp_eq_u32_e64 s[26:27], 0, v18
	v_or_b32_e32 v5, 63, v5
	v_cndmask_b32_e32 v3, v19, v3, vcc
	v_cmp_lt_u32_e64 s[28:29], 1, v7
	v_lshrrev_b32_e32 v7, 2, v4
	v_add_u32_e32 v18, 64, v4
	v_or_b32_e32 v19, 0x80, v4
	s_and_b32 s33, s33, 0xffff
	v_mad_u32_u24 v1, v2, s34, v1
	v_or_b32_e32 v20, v6, v8
	v_cmp_eq_u32_e64 s[18:19], 0, v9
	v_cmp_lt_u32_e64 s[20:21], 1, v9
	v_cmp_lt_u32_e64 s[22:23], 3, v9
	;; [unrolled: 1-line block ×3, first 2 shown]
	v_lshlrev_b32_e32 v9, 3, v4
	v_add_u32_e32 v4, 0xc0, v4
	v_cmp_eq_u32_e64 s[30:31], v0, v5
	v_lshlrev_b32_e32 v36, 2, v3
	v_and_b32_e32 v3, 0xd8, v7
	v_lshrrev_b32_e32 v5, 2, v18
	v_lshrrev_b32_e32 v7, 2, v19
	v_mad_u64_u32 v[18:19], s[34:35], v1, s33, v[0:1]
	v_lshlrev_b32_e32 v35, 2, v20
	v_lshrrev_b32_e32 v20, 2, v4
	v_add_u32_e32 v38, v3, v9
	v_and_b32_e32 v3, 0xf8, v5
	v_and_b32_e32 v4, 0xf8, v7
	;; [unrolled: 1-line block ×3, first 2 shown]
	v_add_u32_e32 v39, v3, v9
	v_add_u32_e32 v40, v4, v9
	;; [unrolled: 1-line block ×3, first 2 shown]
	v_lshrrev_b32_e32 v9, 4, v0
	v_and_b32_e32 v42, 12, v9
	v_lshrrev_b32_e32 v9, 4, v18
	v_add_u32_e32 v6, 48, v6
	v_and_b32_e32 v43, 0xffffffc, v9
	v_and_b32_e32 v9, 0xf8, v0
	v_and_or_b32 v6, v6, 63, v8
	v_lshl_add_u32 v44, v0, 5, v9
	v_lshlrev_b32_e32 v45, 4, v0
	v_mul_i32_i24_e32 v9, -12, v0
	v_cmp_gt_u32_e64 s[0:1], 3, v0
	v_cmp_lt_u32_e64 s[2:3], 63, v0
	v_cmp_eq_u32_e64 s[4:5], 0, v0
	v_lshlrev_b32_e32 v37, 2, v6
	v_add_u32_e32 v46, v45, v9
	v_add_u32_e32 v47, 64, v35
	v_or_b32_e32 v48, 0x80, v35
	v_add_u32_e32 v49, -4, v42
	s_waitcnt vmcnt(3)
	v_add_u32_e32 v6, 1, v11
	v_add_u32_e32 v5, 1, v10
	s_waitcnt vmcnt(2)
	v_add_u32_e32 v8, 1, v13
	v_add_u32_e32 v7, 1, v12
	;; [unrolled: 3-line block ×3, first 2 shown]
	v_mov_b32_e32 v9, 0
	s_waitcnt vmcnt(0)
	v_add_u32_e32 v4, 1, v17
	v_add_u32_e32 v3, 1, v16
	s_branch .LBB165_2
.LBB165_1:                              ;   in Loop: Header=BB165_2 Depth=1
	s_barrier
	ds_write_b64 v10, v[17:18]
	ds_write_b64 v50, v[15:16]
	;; [unrolled: 1-line block ×4, first 2 shown]
	s_waitcnt lgkmcnt(0)
	s_barrier
	ds_read2_b64 v[11:14], v44 offset1:1
	ds_read2_b64 v[15:18], v44 offset0:2 offset1:3
	s_waitcnt lgkmcnt(0)
	s_barrier
	ds_write_b64 v10, v[7:8]
	ds_write_b64 v50, v[5:6]
	;; [unrolled: 1-line block ×4, first 2 shown]
	s_waitcnt lgkmcnt(0)
	s_barrier
	ds_read2_b64 v[5:8], v44 offset1:1
	ds_read2_b64 v[1:4], v44 offset0:2 offset1:3
	s_add_i32 s47, s47, 1
	v_xor_b32_e32 v10, 0x80000000, v11
	v_xor_b32_e32 v11, 0x80000000, v12
	v_xor_b32_e32 v12, 0x80000000, v13
	v_xor_b32_e32 v13, 0x80000000, v14
	v_xor_b32_e32 v14, 0x80000000, v15
	v_xor_b32_e32 v15, 0x80000000, v16
	v_xor_b32_e32 v16, 0x80000000, v17
	s_cmp_lg_u32 s47, 10
	v_xor_b32_e32 v17, 0x80000000, v18
	s_cbranch_scc0 .LBB165_20
.LBB165_2:                              ; =>This Loop Header: Depth=1
                                        ;     Child Loop BB165_4 Depth 2
	v_xor_b32_e32 v11, 0x80000000, v11
	v_xor_b32_e32 v10, 0x80000000, v10
	;; [unrolled: 1-line block ×3, first 2 shown]
	ds_bpermute_b32 v18, v35, v11
	v_xor_b32_e32 v12, 0x80000000, v12
	ds_bpermute_b32 v19, v35, v10
	ds_bpermute_b32 v20, v35, v13
	;; [unrolled: 1-line block ×3, first 2 shown]
	v_xor_b32_e32 v15, 0x80000000, v15
	s_waitcnt lgkmcnt(3)
	v_cndmask_b32_e64 v18, 0, v18, s[10:11]
	v_xor_b32_e32 v14, 0x80000000, v14
	v_xor_b32_e32 v17, 0x80000000, v17
	s_waitcnt lgkmcnt(2)
	v_cndmask_b32_e64 v19, 0, v19, s[10:11]
	s_waitcnt lgkmcnt(1)
	v_cndmask_b32_e64 v18, v18, v20, s[12:13]
	ds_bpermute_b32 v20, v35, v15
	v_xor_b32_e32 v16, 0x80000000, v16
	s_waitcnt lgkmcnt(1)
	v_cndmask_b32_e64 v19, v19, v21, s[12:13]
	ds_bpermute_b32 v21, v35, v14
	ds_bpermute_b32 v22, v35, v17
	;; [unrolled: 1-line block ×4, first 2 shown]
	s_waitcnt lgkmcnt(4)
	v_cndmask_b32_e64 v18, v18, v20, s[14:15]
	s_waitcnt lgkmcnt(3)
	v_cndmask_b32_e64 v19, v19, v21, s[14:15]
	;; [unrolled: 2-line block ×3, first 2 shown]
	ds_bpermute_b32 v18, v47, v10
	ds_bpermute_b32 v22, v47, v13
	s_waitcnt lgkmcnt(3)
	v_cndmask_b32_e64 v19, v19, v23, s[16:17]
	s_waitcnt lgkmcnt(2)
	v_cndmask_b32_e64 v21, 0, v24, s[10:11]
	ds_bpermute_b32 v23, v47, v12
	ds_bpermute_b32 v24, v47, v15
	s_waitcnt lgkmcnt(3)
	v_cndmask_b32_e64 v18, 0, v18, s[10:11]
	ds_bpermute_b32 v25, v47, v14
	s_waitcnt lgkmcnt(3)
	v_cndmask_b32_e64 v21, v21, v22, s[12:13]
	s_waitcnt lgkmcnt(2)
	v_cndmask_b32_e64 v18, v18, v23, s[12:13]
	s_waitcnt lgkmcnt(1)
	v_cndmask_b32_e64 v21, v21, v24, s[14:15]
	ds_bpermute_b32 v22, v47, v17
	ds_bpermute_b32 v23, v47, v16
	;; [unrolled: 1-line block ×3, first 2 shown]
	s_waitcnt lgkmcnt(3)
	v_cndmask_b32_e64 v18, v18, v25, s[14:15]
	ds_bpermute_b32 v25, v48, v10
	ds_bpermute_b32 v11, v37, v11
	;; [unrolled: 1-line block ×3, first 2 shown]
	s_waitcnt lgkmcnt(5)
	v_cndmask_b32_e64 v22, v21, v22, s[16:17]
	ds_bpermute_b32 v26, v48, v13
	s_waitcnt lgkmcnt(5)
	v_cndmask_b32_e64 v21, v18, v23, s[16:17]
	s_waitcnt lgkmcnt(4)
	v_cndmask_b32_e64 v18, 0, v24, s[10:11]
	ds_bpermute_b32 v24, v48, v12
	ds_bpermute_b32 v13, v37, v13
	;; [unrolled: 1-line block ×3, first 2 shown]
	s_waitcnt lgkmcnt(6)
	v_cndmask_b32_e64 v23, 0, v25, s[10:11]
	ds_bpermute_b32 v25, v48, v15
	s_waitcnt lgkmcnt(6)
	v_cndmask_b32_e64 v11, 0, v11, s[10:11]
	ds_bpermute_b32 v15, v37, v15
	s_waitcnt lgkmcnt(6)
	v_cndmask_b32_e64 v10, 0, v10, s[10:11]
	s_waitcnt lgkmcnt(5)
	v_cndmask_b32_e64 v18, v18, v26, s[12:13]
	ds_bpermute_b32 v26, v48, v14
	s_waitcnt lgkmcnt(4)
	v_cndmask_b32_e64 v11, v11, v13, s[12:13]
	s_waitcnt lgkmcnt(3)
	v_cndmask_b32_e64 v10, v10, v12, s[12:13]
	ds_bpermute_b32 v12, v37, v14
	ds_bpermute_b32 v13, v37, v17
	v_cndmask_b32_e64 v23, v23, v24, s[12:13]
	s_waitcnt lgkmcnt(3)
	v_cndmask_b32_e64 v11, v11, v15, s[14:15]
	ds_bpermute_b32 v14, v37, v16
	ds_bpermute_b32 v15, v35, v6
	s_waitcnt lgkmcnt(4)
	v_cndmask_b32_e64 v23, v23, v26, s[14:15]
	s_waitcnt lgkmcnt(3)
	v_cndmask_b32_e64 v10, v10, v12, s[14:15]
	ds_bpermute_b32 v12, v35, v5
	s_waitcnt lgkmcnt(3)
	v_cndmask_b32_e64 v26, v11, v13, s[16:17]
	ds_bpermute_b32 v11, v35, v8
	ds_bpermute_b32 v13, v35, v7
	v_cndmask_b32_e64 v18, v18, v25, s[14:15]
	s_waitcnt lgkmcnt(4)
	v_cndmask_b32_e64 v25, v10, v14, s[16:17]
	s_waitcnt lgkmcnt(3)
	v_cndmask_b32_e64 v10, 0, v15, s[10:11]
	ds_bpermute_b32 v14, v35, v2
	ds_bpermute_b32 v28, v48, v16
	s_waitcnt lgkmcnt(4)
	v_cndmask_b32_e64 v12, 0, v12, s[10:11]
	ds_bpermute_b32 v15, v35, v1
	s_waitcnt lgkmcnt(4)
	v_cndmask_b32_e64 v10, v10, v11, s[12:13]
	ds_bpermute_b32 v11, v35, v4
	ds_bpermute_b32 v27, v48, v17
	s_waitcnt lgkmcnt(5)
	v_cndmask_b32_e64 v12, v12, v13, s[12:13]
	ds_bpermute_b32 v13, v35, v3
	s_waitcnt lgkmcnt(5)
	v_cndmask_b32_e64 v10, v10, v14, s[14:15]
	s_waitcnt lgkmcnt(4)
	v_cndmask_b32_e64 v23, v23, v28, s[16:17]
	;; [unrolled: 2-line block ×4, first 2 shown]
	ds_bpermute_b32 v10, v47, v6
	ds_bpermute_b32 v11, v47, v5
	s_waitcnt lgkmcnt(3)
	v_cndmask_b32_e64 v24, v18, v27, s[16:17]
	ds_bpermute_b32 v14, v47, v8
	s_waitcnt lgkmcnt(3)
	v_cndmask_b32_e64 v27, v12, v13, s[16:17]
	ds_bpermute_b32 v12, v47, v7
	ds_bpermute_b32 v13, v47, v2
	s_waitcnt lgkmcnt(4)
	v_cndmask_b32_e64 v10, 0, v10, s[10:11]
	s_waitcnt lgkmcnt(3)
	v_cndmask_b32_e64 v11, 0, v11, s[10:11]
	;; [unrolled: 2-line block ×4, first 2 shown]
	ds_bpermute_b32 v12, v47, v1
	ds_bpermute_b32 v14, v47, v4
	;; [unrolled: 1-line block ×3, first 2 shown]
	s_waitcnt lgkmcnt(3)
	v_cndmask_b32_e64 v10, v10, v13, s[14:15]
	ds_bpermute_b32 v13, v48, v6
	s_waitcnt lgkmcnt(3)
	v_cndmask_b32_e64 v11, v11, v12, s[14:15]
	s_waitcnt lgkmcnt(2)
	v_cndmask_b32_e64 v30, v10, v14, s[16:17]
	ds_bpermute_b32 v10, v48, v5
	s_waitcnt lgkmcnt(2)
	v_cndmask_b32_e64 v29, v11, v15, s[16:17]
	s_waitcnt lgkmcnt(1)
	v_cndmask_b32_e64 v11, 0, v13, s[10:11]
	ds_bpermute_b32 v12, v48, v8
	ds_bpermute_b32 v13, v48, v7
	;; [unrolled: 1-line block ×7, first 2 shown]
	s_waitcnt lgkmcnt(7)
	v_cndmask_b32_e64 v10, 0, v10, s[10:11]
	ds_bpermute_b32 v15, v48, v1
	ds_bpermute_b32 v2, v37, v2
	;; [unrolled: 1-line block ×3, first 2 shown]
	s_waitcnt lgkmcnt(9)
	v_cndmask_b32_e64 v11, v11, v12, s[12:13]
	s_waitcnt lgkmcnt(8)
	v_cndmask_b32_e64 v10, v10, v13, s[12:13]
	ds_bpermute_b32 v12, v48, v4
	ds_bpermute_b32 v13, v48, v3
	;; [unrolled: 1-line block ×4, first 2 shown]
	s_waitcnt lgkmcnt(11)
	v_cndmask_b32_e64 v6, 0, v6, s[10:11]
	s_waitcnt lgkmcnt(10)
	v_cndmask_b32_e64 v5, 0, v5, s[10:11]
	;; [unrolled: 2-line block ×12, first 2 shown]
	s_mov_b32 s33, 8
	s_mov_b32 s40, 32
	;; [unrolled: 1-line block ×3, first 2 shown]
	s_barrier
	s_branch .LBB165_4
.LBB165_3:                              ;   in Loop: Header=BB165_4 Depth=2
	s_andn2_b64 vcc, exec, s[34:35]
	s_cbranch_vccz .LBB165_1
.LBB165_4:                              ;   Parent Loop BB165_2 Depth=1
                                        ; =>  This Inner Loop Header: Depth=2
	s_min_i32 s36, s33, 32
	s_cmp_lt_u32 s41, 32
	s_cselect_b64 s[34:35], -1, 0
	s_cmp_gt_u32 s41, 31
	s_cselect_b64 vcc, -1, 0
	s_sub_i32 s36, s36, 32
	s_add_i32 s37, s36, s40
	s_lshl_b32 s37, -1, s37
	s_not_b32 s37, s37
	s_cmp_lg_u32 s36, s41
	s_cselect_b32 s48, s37, -1
	s_max_i32 s46, s40, 0
	s_max_i32 s36, s41, 32
	s_sub_i32 s49, s36, 32
	s_sub_i32 s36, s36, s46
	;; [unrolled: 1-line block ×3, first 2 shown]
	s_min_i32 s36, s36, 32
	s_sub_i32 s36, s36, s49
	s_lshl_b32 s37, -1, s36
	s_not_b32 s37, s37
	v_mov_b32_e32 v17, v19
	s_cmp_lg_u32 s36, 32
	v_mov_b32_e32 v18, v20
	s_cselect_b32 s50, s37, -1
	v_lshrrev_b32_e32 v19, s49, v17
	v_lshrrev_b32_e32 v10, s41, v18
	v_and_b32_e32 v19, s50, v19
	v_and_b32_e32 v10, s48, v10
	v_lshlrev_b32_e32 v19, s46, v19
	v_cndmask_b32_e64 v10, 0, v10, s[34:35]
	v_cndmask_b32_e32 v19, 0, v19, vcc
	v_or_b32_e32 v19, v10, v19
	v_and_b32_e32 v10, 1, v19
	v_mov_b32_e32 v15, v21
	v_add_co_u32_e64 v20, s[36:37], -1, v10
	v_mov_b32_e32 v16, v22
	v_addc_co_u32_e64 v22, s[36:37], 0, -1, s[36:37]
	v_cmp_ne_u32_e64 s[36:37], 0, v10
	v_xor_b32_e32 v10, s37, v22
	v_and_b32_e32 v22, exec_hi, v10
	v_lshlrev_b32_e32 v10, 30, v19
	v_xor_b32_e32 v20, s36, v20
	v_cmp_gt_i64_e64 s[36:37], 0, v[9:10]
	v_not_b32_e32 v10, v10
	v_mov_b32_e32 v13, v23
	v_ashrrev_i32_e32 v10, 31, v10
	v_mov_b32_e32 v14, v24
	v_and_b32_e32 v20, exec_lo, v20
	v_xor_b32_e32 v23, s37, v10
	v_xor_b32_e32 v10, s36, v10
	v_and_b32_e32 v20, v20, v10
	v_lshlrev_b32_e32 v10, 29, v19
	v_cmp_gt_i64_e64 s[36:37], 0, v[9:10]
	v_not_b32_e32 v10, v10
	v_ashrrev_i32_e32 v10, 31, v10
	v_and_b32_e32 v22, v22, v23
	v_xor_b32_e32 v23, s37, v10
	v_xor_b32_e32 v10, s36, v10
	v_and_b32_e32 v20, v20, v10
	v_lshlrev_b32_e32 v10, 28, v19
	v_cmp_gt_i64_e64 s[36:37], 0, v[9:10]
	v_not_b32_e32 v10, v10
	v_ashrrev_i32_e32 v10, 31, v10
	v_and_b32_e32 v22, v22, v23
	;; [unrolled: 8-line block ×5, first 2 shown]
	v_xor_b32_e32 v23, s37, v10
	v_xor_b32_e32 v10, s36, v10
	v_and_b32_e32 v22, v22, v23
	v_and_b32_e32 v23, v20, v10
	v_lshlrev_b32_e32 v10, 24, v19
	v_cmp_gt_i64_e64 s[36:37], 0, v[9:10]
	v_not_b32_e32 v10, v10
	v_ashrrev_i32_e32 v10, 31, v10
	v_mul_lo_u32 v21, v19, 12
	v_xor_b32_e32 v19, s37, v10
	v_xor_b32_e32 v10, s36, v10
	v_and_b32_e32 v20, v22, v19
	v_and_b32_e32 v19, v23, v10
	v_mbcnt_lo_u32_b32 v10, v19, 0
	v_mbcnt_hi_u32_b32 v23, v20, v10
	v_cmp_ne_u64_e64 s[36:37], 0, v[19:20]
	v_mov_b32_e32 v7, v27
	v_mov_b32_e32 v5, v29
	;; [unrolled: 1-line block ×5, first 2 shown]
	v_cmp_eq_u32_e64 s[38:39], 0, v23
	v_mov_b32_e32 v8, v28
	v_mov_b32_e32 v6, v30
	v_mov_b32_e32 v4, v32
	v_mov_b32_e32 v2, v34
	v_mov_b32_e32 v12, v26
	s_and_b64 s[38:39], s[38:39], s[36:37]
	v_add_u32_e32 v24, v43, v21
	ds_write2_b32 v45, v9, v9 offset0:3 offset1:4
	ds_write2_b32 v45, v9, v9 offset0:5 offset1:6
	s_waitcnt lgkmcnt(0)
	s_barrier
	; wave barrier
	s_and_saveexec_b64 s[36:37], s[38:39]
; %bb.5:                                ;   in Loop: Header=BB165_4 Depth=2
	v_bcnt_u32_b32 v10, v19, 0
	v_bcnt_u32_b32 v10, v20, v10
	ds_write_b32 v24, v10 offset:12
; %bb.6:                                ;   in Loop: Header=BB165_4 Depth=2
	s_or_b64 exec, exec, s[36:37]
	v_lshrrev_b32_e32 v19, s49, v15
	v_lshrrev_b32_e32 v10, s41, v16
	v_and_b32_e32 v19, s50, v19
	v_and_b32_e32 v10, s48, v10
	v_lshlrev_b32_e32 v19, s46, v19
	v_cndmask_b32_e64 v10, 0, v10, s[34:35]
	v_cndmask_b32_e32 v19, 0, v19, vcc
	v_or_b32_e32 v19, v10, v19
	v_mul_lo_u32 v10, v19, 12
	; wave barrier
	v_add_u32_e32 v26, v43, v10
	v_and_b32_e32 v10, 1, v19
	v_add_co_u32_e64 v20, s[36:37], -1, v10
	v_addc_co_u32_e64 v21, s[36:37], 0, -1, s[36:37]
	v_cmp_ne_u32_e64 s[36:37], 0, v10
	v_xor_b32_e32 v10, s37, v21
	v_and_b32_e32 v21, exec_hi, v10
	v_lshlrev_b32_e32 v10, 30, v19
	v_xor_b32_e32 v20, s36, v20
	v_cmp_gt_i64_e64 s[36:37], 0, v[9:10]
	v_not_b32_e32 v10, v10
	v_ashrrev_i32_e32 v10, 31, v10
	v_and_b32_e32 v20, exec_lo, v20
	v_xor_b32_e32 v22, s37, v10
	v_xor_b32_e32 v10, s36, v10
	v_and_b32_e32 v20, v20, v10
	v_lshlrev_b32_e32 v10, 29, v19
	v_cmp_gt_i64_e64 s[36:37], 0, v[9:10]
	v_not_b32_e32 v10, v10
	v_ashrrev_i32_e32 v10, 31, v10
	v_and_b32_e32 v21, v21, v22
	v_xor_b32_e32 v22, s37, v10
	v_xor_b32_e32 v10, s36, v10
	v_and_b32_e32 v20, v20, v10
	v_lshlrev_b32_e32 v10, 28, v19
	v_cmp_gt_i64_e64 s[36:37], 0, v[9:10]
	v_not_b32_e32 v10, v10
	v_ashrrev_i32_e32 v10, 31, v10
	v_and_b32_e32 v21, v21, v22
	;; [unrolled: 8-line block ×5, first 2 shown]
	v_xor_b32_e32 v22, s37, v10
	v_xor_b32_e32 v10, s36, v10
	v_and_b32_e32 v21, v21, v22
	v_and_b32_e32 v22, v20, v10
	v_lshlrev_b32_e32 v10, 24, v19
	v_cmp_gt_i64_e64 s[36:37], 0, v[9:10]
	v_not_b32_e32 v10, v10
	v_ashrrev_i32_e32 v10, 31, v10
	v_xor_b32_e32 v19, s37, v10
	v_xor_b32_e32 v10, s36, v10
	ds_read_b32 v25, v26 offset:12
	v_and_b32_e32 v20, v21, v19
	v_and_b32_e32 v19, v22, v10
	v_mbcnt_lo_u32_b32 v10, v19, 0
	v_mbcnt_hi_u32_b32 v27, v20, v10
	v_cmp_ne_u64_e64 s[36:37], 0, v[19:20]
	v_cmp_eq_u32_e64 s[38:39], 0, v27
	s_and_b64 s[38:39], s[38:39], s[36:37]
	; wave barrier
	s_and_saveexec_b64 s[36:37], s[38:39]
	s_cbranch_execz .LBB165_8
; %bb.7:                                ;   in Loop: Header=BB165_4 Depth=2
	v_bcnt_u32_b32 v10, v19, 0
	v_bcnt_u32_b32 v10, v20, v10
	s_waitcnt lgkmcnt(0)
	v_add_u32_e32 v10, v25, v10
	ds_write_b32 v26, v10 offset:12
.LBB165_8:                              ;   in Loop: Header=BB165_4 Depth=2
	s_or_b64 exec, exec, s[36:37]
	v_lshrrev_b32_e32 v19, s49, v13
	v_lshrrev_b32_e32 v10, s41, v14
	v_and_b32_e32 v19, s50, v19
	v_and_b32_e32 v10, s48, v10
	v_lshlrev_b32_e32 v19, s46, v19
	v_cndmask_b32_e64 v10, 0, v10, s[34:35]
	v_cndmask_b32_e32 v19, 0, v19, vcc
	v_or_b32_e32 v19, v10, v19
	v_mul_lo_u32 v10, v19, 12
	; wave barrier
	v_add_u32_e32 v29, v43, v10
	v_and_b32_e32 v10, 1, v19
	v_add_co_u32_e64 v20, s[36:37], -1, v10
	v_addc_co_u32_e64 v21, s[36:37], 0, -1, s[36:37]
	v_cmp_ne_u32_e64 s[36:37], 0, v10
	v_xor_b32_e32 v10, s37, v21
	v_and_b32_e32 v21, exec_hi, v10
	v_lshlrev_b32_e32 v10, 30, v19
	v_xor_b32_e32 v20, s36, v20
	v_cmp_gt_i64_e64 s[36:37], 0, v[9:10]
	v_not_b32_e32 v10, v10
	v_ashrrev_i32_e32 v10, 31, v10
	v_and_b32_e32 v20, exec_lo, v20
	v_xor_b32_e32 v22, s37, v10
	v_xor_b32_e32 v10, s36, v10
	v_and_b32_e32 v20, v20, v10
	v_lshlrev_b32_e32 v10, 29, v19
	v_cmp_gt_i64_e64 s[36:37], 0, v[9:10]
	v_not_b32_e32 v10, v10
	v_ashrrev_i32_e32 v10, 31, v10
	v_and_b32_e32 v21, v21, v22
	v_xor_b32_e32 v22, s37, v10
	v_xor_b32_e32 v10, s36, v10
	v_and_b32_e32 v20, v20, v10
	v_lshlrev_b32_e32 v10, 28, v19
	v_cmp_gt_i64_e64 s[36:37], 0, v[9:10]
	v_not_b32_e32 v10, v10
	v_ashrrev_i32_e32 v10, 31, v10
	v_and_b32_e32 v21, v21, v22
	;; [unrolled: 8-line block ×5, first 2 shown]
	v_xor_b32_e32 v22, s37, v10
	v_xor_b32_e32 v10, s36, v10
	v_and_b32_e32 v21, v21, v22
	v_and_b32_e32 v22, v20, v10
	v_lshlrev_b32_e32 v10, 24, v19
	v_cmp_gt_i64_e64 s[36:37], 0, v[9:10]
	v_not_b32_e32 v10, v10
	v_ashrrev_i32_e32 v10, 31, v10
	v_xor_b32_e32 v19, s37, v10
	v_xor_b32_e32 v10, s36, v10
	ds_read_b32 v28, v29 offset:12
	v_and_b32_e32 v20, v21, v19
	v_and_b32_e32 v19, v22, v10
	v_mbcnt_lo_u32_b32 v10, v19, 0
	v_mbcnt_hi_u32_b32 v30, v20, v10
	v_cmp_ne_u64_e64 s[36:37], 0, v[19:20]
	v_cmp_eq_u32_e64 s[38:39], 0, v30
	s_and_b64 s[38:39], s[38:39], s[36:37]
	; wave barrier
	s_and_saveexec_b64 s[36:37], s[38:39]
	s_cbranch_execz .LBB165_10
; %bb.9:                                ;   in Loop: Header=BB165_4 Depth=2
	v_bcnt_u32_b32 v10, v19, 0
	v_bcnt_u32_b32 v10, v20, v10
	s_waitcnt lgkmcnt(0)
	v_add_u32_e32 v10, v28, v10
	ds_write_b32 v29, v10 offset:12
.LBB165_10:                             ;   in Loop: Header=BB165_4 Depth=2
	s_or_b64 exec, exec, s[36:37]
	v_lshrrev_b32_e32 v19, s49, v11
	v_lshrrev_b32_e32 v10, s41, v12
	v_and_b32_e32 v19, s50, v19
	v_and_b32_e32 v10, s48, v10
	v_lshlrev_b32_e32 v19, s46, v19
	v_cndmask_b32_e64 v10, 0, v10, s[34:35]
	v_cndmask_b32_e32 v19, 0, v19, vcc
	v_or_b32_e32 v19, v10, v19
	v_mul_lo_u32 v10, v19, 12
	; wave barrier
	v_add_u32_e32 v32, v43, v10
	v_and_b32_e32 v10, 1, v19
	v_add_co_u32_e32 v20, vcc, -1, v10
	v_addc_co_u32_e64 v21, s[34:35], 0, -1, vcc
	v_cmp_ne_u32_e32 vcc, 0, v10
	v_xor_b32_e32 v10, vcc_hi, v21
	v_and_b32_e32 v21, exec_hi, v10
	v_lshlrev_b32_e32 v10, 30, v19
	v_xor_b32_e32 v20, vcc_lo, v20
	v_cmp_gt_i64_e32 vcc, 0, v[9:10]
	v_not_b32_e32 v10, v10
	v_ashrrev_i32_e32 v10, 31, v10
	v_and_b32_e32 v20, exec_lo, v20
	v_xor_b32_e32 v22, vcc_hi, v10
	v_xor_b32_e32 v10, vcc_lo, v10
	v_and_b32_e32 v20, v20, v10
	v_lshlrev_b32_e32 v10, 29, v19
	v_cmp_gt_i64_e32 vcc, 0, v[9:10]
	v_not_b32_e32 v10, v10
	v_ashrrev_i32_e32 v10, 31, v10
	v_and_b32_e32 v21, v21, v22
	v_xor_b32_e32 v22, vcc_hi, v10
	v_xor_b32_e32 v10, vcc_lo, v10
	v_and_b32_e32 v20, v20, v10
	v_lshlrev_b32_e32 v10, 28, v19
	v_cmp_gt_i64_e32 vcc, 0, v[9:10]
	v_not_b32_e32 v10, v10
	v_ashrrev_i32_e32 v10, 31, v10
	v_and_b32_e32 v21, v21, v22
	;; [unrolled: 8-line block ×5, first 2 shown]
	v_xor_b32_e32 v22, vcc_hi, v10
	v_xor_b32_e32 v10, vcc_lo, v10
	v_and_b32_e32 v21, v21, v22
	v_and_b32_e32 v22, v20, v10
	v_lshlrev_b32_e32 v10, 24, v19
	v_cmp_gt_i64_e32 vcc, 0, v[9:10]
	v_not_b32_e32 v10, v10
	v_ashrrev_i32_e32 v10, 31, v10
	v_xor_b32_e32 v19, vcc_hi, v10
	v_xor_b32_e32 v10, vcc_lo, v10
	ds_read_b32 v31, v32 offset:12
	v_and_b32_e32 v20, v21, v19
	v_and_b32_e32 v19, v22, v10
	v_mbcnt_lo_u32_b32 v10, v19, 0
	v_mbcnt_hi_u32_b32 v10, v20, v10
	v_cmp_ne_u64_e32 vcc, 0, v[19:20]
	v_cmp_eq_u32_e64 s[34:35], 0, v10
	s_and_b64 s[36:37], s[34:35], vcc
	; wave barrier
	s_and_saveexec_b64 s[34:35], s[36:37]
	s_cbranch_execz .LBB165_12
; %bb.11:                               ;   in Loop: Header=BB165_4 Depth=2
	v_bcnt_u32_b32 v19, v19, 0
	v_bcnt_u32_b32 v19, v20, v19
	s_waitcnt lgkmcnt(0)
	v_add_u32_e32 v19, v31, v19
	ds_write_b32 v32, v19 offset:12
.LBB165_12:                             ;   in Loop: Header=BB165_4 Depth=2
	s_or_b64 exec, exec, s[34:35]
	; wave barrier
	s_waitcnt lgkmcnt(0)
	s_barrier
	ds_read2_b32 v[21:22], v45 offset0:3 offset1:4
	ds_read2_b32 v[19:20], v45 offset0:5 offset1:6
	s_waitcnt lgkmcnt(1)
	v_add_u32_e32 v33, v22, v21
	s_waitcnt lgkmcnt(0)
	v_add3_u32 v20, v33, v19, v20
	s_nop 1
	v_mov_b32_dpp v33, v20 row_shr:1 row_mask:0xf bank_mask:0xf
	v_cndmask_b32_e64 v33, v33, 0, s[18:19]
	v_add_u32_e32 v20, v33, v20
	s_nop 1
	v_mov_b32_dpp v33, v20 row_shr:2 row_mask:0xf bank_mask:0xf
	v_cndmask_b32_e64 v33, 0, v33, s[20:21]
	v_add_u32_e32 v20, v20, v33
	;; [unrolled: 4-line block ×4, first 2 shown]
	s_nop 1
	v_mov_b32_dpp v33, v20 row_bcast:15 row_mask:0xf bank_mask:0xf
	v_cndmask_b32_e64 v33, v33, 0, s[26:27]
	v_add_u32_e32 v20, v20, v33
	s_nop 1
	v_mov_b32_dpp v33, v20 row_bcast:31 row_mask:0xf bank_mask:0xf
	v_cndmask_b32_e64 v33, 0, v33, s[6:7]
	v_add_u32_e32 v20, v20, v33
	s_and_saveexec_b64 s[34:35], s[30:31]
; %bb.13:                               ;   in Loop: Header=BB165_4 Depth=2
	ds_write_b32 v42, v20
; %bb.14:                               ;   in Loop: Header=BB165_4 Depth=2
	s_or_b64 exec, exec, s[34:35]
	s_waitcnt lgkmcnt(0)
	s_barrier
	s_and_saveexec_b64 s[34:35], s[0:1]
	s_cbranch_execz .LBB165_16
; %bb.15:                               ;   in Loop: Header=BB165_4 Depth=2
	ds_read_b32 v33, v46
	s_waitcnt lgkmcnt(0)
	s_nop 0
	v_mov_b32_dpp v34, v33 row_shr:1 row_mask:0xf bank_mask:0xf
	v_cndmask_b32_e64 v34, v34, 0, s[10:11]
	v_add_u32_e32 v33, v34, v33
	s_nop 1
	v_mov_b32_dpp v34, v33 row_shr:2 row_mask:0xf bank_mask:0xf
	v_cndmask_b32_e64 v34, 0, v34, s[28:29]
	v_add_u32_e32 v33, v33, v34
	ds_write_b32 v46, v33
.LBB165_16:                             ;   in Loop: Header=BB165_4 Depth=2
	s_or_b64 exec, exec, s[34:35]
	v_mov_b32_e32 v33, 0
	s_waitcnt lgkmcnt(0)
	s_barrier
	s_and_saveexec_b64 s[34:35], s[2:3]
; %bb.17:                               ;   in Loop: Header=BB165_4 Depth=2
	ds_read_b32 v33, v49
; %bb.18:                               ;   in Loop: Header=BB165_4 Depth=2
	s_or_b64 exec, exec, s[34:35]
	s_waitcnt lgkmcnt(0)
	v_add_u32_e32 v20, v33, v20
	ds_bpermute_b32 v20, v36, v20
	s_cmp_gt_u32 s41, 55
	s_mov_b64 s[34:35], -1
	s_waitcnt lgkmcnt(0)
	v_cndmask_b32_e64 v20, v20, v33, s[8:9]
	v_cndmask_b32_e64 v20, v20, 0, s[4:5]
	v_add_u32_e32 v21, v20, v21
	v_add_u32_e32 v22, v21, v22
	;; [unrolled: 1-line block ×3, first 2 shown]
	ds_write2_b32 v45, v20, v21 offset0:3 offset1:4
	ds_write2_b32 v45, v22, v19 offset0:5 offset1:6
	s_waitcnt lgkmcnt(0)
	s_barrier
	ds_read_b32 v19, v24 offset:12
	ds_read_b32 v20, v26 offset:12
	ds_read_b32 v21, v29 offset:12
	ds_read_b32 v22, v32 offset:12
	s_waitcnt lgkmcnt(0)
	v_add_u32_e32 v19, v19, v23
	v_add3_u32 v20, v27, v25, v20
	v_add3_u32 v21, v30, v28, v21
	;; [unrolled: 1-line block ×3, first 2 shown]
	v_lshrrev_b32_e32 v10, 2, v19
	v_and_b32_e32 v10, 0x3ffffff8, v10
	v_lshl_add_u32 v10, v19, 3, v10
	v_lshrrev_b32_e32 v19, 2, v20
	v_and_b32_e32 v19, 0x3ffffff8, v19
	v_lshl_add_u32 v50, v20, 3, v19
	;; [unrolled: 3-line block ×4, first 2 shown]
                                        ; implicit-def: $vgpr27_vgpr28
                                        ; implicit-def: $vgpr29_vgpr30
                                        ; implicit-def: $vgpr31_vgpr32
                                        ; implicit-def: $vgpr33_vgpr34
                                        ; implicit-def: $vgpr19_vgpr20
                                        ; implicit-def: $vgpr21_vgpr22
                                        ; implicit-def: $vgpr23_vgpr24
                                        ; implicit-def: $vgpr25_vgpr26
	s_cbranch_scc1 .LBB165_3
; %bb.19:                               ;   in Loop: Header=BB165_4 Depth=2
	s_barrier
	ds_write_b64 v10, v[17:18]
	ds_write_b64 v50, v[15:16]
	;; [unrolled: 1-line block ×4, first 2 shown]
	s_waitcnt lgkmcnt(0)
	s_barrier
	ds_read_b64 v[19:20], v38
	ds_read_b64 v[21:22], v39 offset:512
	ds_read_b64 v[23:24], v40 offset:1024
	ds_read_b64 v[25:26], v41 offset:1536
	s_waitcnt lgkmcnt(0)
	s_barrier
	ds_write_b64 v10, v[7:8]
	ds_write_b64 v50, v[5:6]
	;; [unrolled: 1-line block ×4, first 2 shown]
	s_waitcnt lgkmcnt(0)
	s_barrier
	ds_read_b64 v[27:28], v38
	ds_read_b64 v[29:30], v39 offset:512
	ds_read_b64 v[31:32], v40 offset:1024
	ds_read_b64 v[33:34], v41 offset:1536
	s_add_i32 s40, s40, -8
	s_add_i32 s33, s33, 8
	s_add_i32 s41, s41, 8
	s_mov_b64 s[34:35], 0
	s_waitcnt lgkmcnt(0)
	s_barrier
	s_branch .LBB165_3
.LBB165_20:
	s_add_u32 s0, s42, s44
	s_addc_u32 s1, s43, s45
	v_lshlrev_b32_e32 v0, 3, v0
	s_waitcnt lgkmcnt(1)
	v_add_u32_e32 v5, v10, v5
	v_mov_b32_e32 v9, s1
	v_add_co_u32_e32 v10, vcc, s0, v0
	v_add_u32_e32 v6, v11, v6
	v_addc_co_u32_e32 v9, vcc, 0, v9, vcc
	v_add_u32_e32 v7, v12, v7
	v_add_u32_e32 v8, v13, v8
	s_waitcnt lgkmcnt(0)
	v_add_u32_e32 v1, v14, v1
	v_add_u32_e32 v2, v15, v2
	global_store_dwordx2 v0, v[5:6], s[0:1]
	global_store_dwordx2 v0, v[7:8], s[0:1] offset:1536
	global_store_dwordx2 v0, v[1:2], s[0:1] offset:3072
	v_add_co_u32_e32 v0, vcc, 0x1000, v10
	v_add_u32_e32 v3, v16, v3
	v_add_u32_e32 v4, v17, v4
	v_addc_co_u32_e32 v1, vcc, 0, v9, vcc
	global_store_dwordx2 v[0:1], v[3:4], off offset:512
	s_endpgm
	.section	.rodata,"a",@progbits
	.p2align	6, 0x0
	.amdhsa_kernel _Z17sort_pairs_kernelI22helper_blocked_blockedN15benchmark_utils11custom_typeIiiEELj192ELj4ELj10EEvPKT0_PS4_
		.amdhsa_group_segment_fixed_size 6336
		.amdhsa_private_segment_fixed_size 0
		.amdhsa_kernarg_size 272
		.amdhsa_user_sgpr_count 6
		.amdhsa_user_sgpr_private_segment_buffer 1
		.amdhsa_user_sgpr_dispatch_ptr 0
		.amdhsa_user_sgpr_queue_ptr 0
		.amdhsa_user_sgpr_kernarg_segment_ptr 1
		.amdhsa_user_sgpr_dispatch_id 0
		.amdhsa_user_sgpr_flat_scratch_init 0
		.amdhsa_user_sgpr_private_segment_size 0
		.amdhsa_uses_dynamic_stack 0
		.amdhsa_system_sgpr_private_segment_wavefront_offset 0
		.amdhsa_system_sgpr_workgroup_id_x 1
		.amdhsa_system_sgpr_workgroup_id_y 0
		.amdhsa_system_sgpr_workgroup_id_z 0
		.amdhsa_system_sgpr_workgroup_info 0
		.amdhsa_system_vgpr_workitem_id 2
		.amdhsa_next_free_vgpr 53
		.amdhsa_next_free_sgpr 61
		.amdhsa_reserve_vcc 1
		.amdhsa_reserve_flat_scratch 0
		.amdhsa_float_round_mode_32 0
		.amdhsa_float_round_mode_16_64 0
		.amdhsa_float_denorm_mode_32 3
		.amdhsa_float_denorm_mode_16_64 3
		.amdhsa_dx10_clamp 1
		.amdhsa_ieee_mode 1
		.amdhsa_fp16_overflow 0
		.amdhsa_exception_fp_ieee_invalid_op 0
		.amdhsa_exception_fp_denorm_src 0
		.amdhsa_exception_fp_ieee_div_zero 0
		.amdhsa_exception_fp_ieee_overflow 0
		.amdhsa_exception_fp_ieee_underflow 0
		.amdhsa_exception_fp_ieee_inexact 0
		.amdhsa_exception_int_div_zero 0
	.end_amdhsa_kernel
	.section	.text._Z17sort_pairs_kernelI22helper_blocked_blockedN15benchmark_utils11custom_typeIiiEELj192ELj4ELj10EEvPKT0_PS4_,"axG",@progbits,_Z17sort_pairs_kernelI22helper_blocked_blockedN15benchmark_utils11custom_typeIiiEELj192ELj4ELj10EEvPKT0_PS4_,comdat
.Lfunc_end165:
	.size	_Z17sort_pairs_kernelI22helper_blocked_blockedN15benchmark_utils11custom_typeIiiEELj192ELj4ELj10EEvPKT0_PS4_, .Lfunc_end165-_Z17sort_pairs_kernelI22helper_blocked_blockedN15benchmark_utils11custom_typeIiiEELj192ELj4ELj10EEvPKT0_PS4_
                                        ; -- End function
	.set _Z17sort_pairs_kernelI22helper_blocked_blockedN15benchmark_utils11custom_typeIiiEELj192ELj4ELj10EEvPKT0_PS4_.num_vgpr, 53
	.set _Z17sort_pairs_kernelI22helper_blocked_blockedN15benchmark_utils11custom_typeIiiEELj192ELj4ELj10EEvPKT0_PS4_.num_agpr, 0
	.set _Z17sort_pairs_kernelI22helper_blocked_blockedN15benchmark_utils11custom_typeIiiEELj192ELj4ELj10EEvPKT0_PS4_.numbered_sgpr, 51
	.set _Z17sort_pairs_kernelI22helper_blocked_blockedN15benchmark_utils11custom_typeIiiEELj192ELj4ELj10EEvPKT0_PS4_.num_named_barrier, 0
	.set _Z17sort_pairs_kernelI22helper_blocked_blockedN15benchmark_utils11custom_typeIiiEELj192ELj4ELj10EEvPKT0_PS4_.private_seg_size, 0
	.set _Z17sort_pairs_kernelI22helper_blocked_blockedN15benchmark_utils11custom_typeIiiEELj192ELj4ELj10EEvPKT0_PS4_.uses_vcc, 1
	.set _Z17sort_pairs_kernelI22helper_blocked_blockedN15benchmark_utils11custom_typeIiiEELj192ELj4ELj10EEvPKT0_PS4_.uses_flat_scratch, 0
	.set _Z17sort_pairs_kernelI22helper_blocked_blockedN15benchmark_utils11custom_typeIiiEELj192ELj4ELj10EEvPKT0_PS4_.has_dyn_sized_stack, 0
	.set _Z17sort_pairs_kernelI22helper_blocked_blockedN15benchmark_utils11custom_typeIiiEELj192ELj4ELj10EEvPKT0_PS4_.has_recursion, 0
	.set _Z17sort_pairs_kernelI22helper_blocked_blockedN15benchmark_utils11custom_typeIiiEELj192ELj4ELj10EEvPKT0_PS4_.has_indirect_call, 0
	.section	.AMDGPU.csdata,"",@progbits
; Kernel info:
; codeLenInByte = 4828
; TotalNumSgprs: 55
; NumVgprs: 53
; ScratchSize: 0
; MemoryBound: 0
; FloatMode: 240
; IeeeMode: 1
; LDSByteSize: 6336 bytes/workgroup (compile time only)
; SGPRBlocks: 8
; VGPRBlocks: 13
; NumSGPRsForWavesPerEU: 65
; NumVGPRsForWavesPerEU: 53
; Occupancy: 4
; WaveLimiterHint : 1
; COMPUTE_PGM_RSRC2:SCRATCH_EN: 0
; COMPUTE_PGM_RSRC2:USER_SGPR: 6
; COMPUTE_PGM_RSRC2:TRAP_HANDLER: 0
; COMPUTE_PGM_RSRC2:TGID_X_EN: 1
; COMPUTE_PGM_RSRC2:TGID_Y_EN: 0
; COMPUTE_PGM_RSRC2:TGID_Z_EN: 0
; COMPUTE_PGM_RSRC2:TIDIG_COMP_CNT: 2
	.section	.text._Z16sort_keys_kernelI22helper_blocked_blockedN15benchmark_utils11custom_typeIiiEELj192ELj8ELj10EEvPKT0_PS4_,"axG",@progbits,_Z16sort_keys_kernelI22helper_blocked_blockedN15benchmark_utils11custom_typeIiiEELj192ELj8ELj10EEvPKT0_PS4_,comdat
	.protected	_Z16sort_keys_kernelI22helper_blocked_blockedN15benchmark_utils11custom_typeIiiEELj192ELj8ELj10EEvPKT0_PS4_ ; -- Begin function _Z16sort_keys_kernelI22helper_blocked_blockedN15benchmark_utils11custom_typeIiiEELj192ELj8ELj10EEvPKT0_PS4_
	.globl	_Z16sort_keys_kernelI22helper_blocked_blockedN15benchmark_utils11custom_typeIiiEELj192ELj8ELj10EEvPKT0_PS4_
	.p2align	8
	.type	_Z16sort_keys_kernelI22helper_blocked_blockedN15benchmark_utils11custom_typeIiiEELj192ELj8ELj10EEvPKT0_PS4_,@function
_Z16sort_keys_kernelI22helper_blocked_blockedN15benchmark_utils11custom_typeIiiEELj192ELj8ELj10EEvPKT0_PS4_: ; @_Z16sort_keys_kernelI22helper_blocked_blockedN15benchmark_utils11custom_typeIiiEELj192ELj8ELj10EEvPKT0_PS4_
; %bb.0:
	s_load_dwordx4 s[36:39], s[4:5], 0x0
	s_load_dword s2, s[4:5], 0x1c
	s_mul_i32 s34, s6, 0x600
	s_mov_b32 s35, 0
	s_lshl_b64 s[40:41], s[34:35], 3
	s_waitcnt lgkmcnt(0)
	s_add_u32 s0, s36, s40
	s_addc_u32 s1, s37, s41
	v_lshlrev_b32_e32 v24, 3, v0
	v_mov_b32_e32 v4, s1
	v_add_co_u32_e32 v12, vcc, s0, v24
	v_addc_co_u32_e32 v13, vcc, 0, v4, vcc
	s_movk_i32 s4, 0x1000
	v_add_co_u32_e32 v20, vcc, s4, v12
	v_addc_co_u32_e32 v21, vcc, 0, v13, vcc
	global_load_dwordx2 v[4:5], v24, s[0:1]
	global_load_dwordx2 v[6:7], v24, s[0:1] offset:1536
	global_load_dwordx2 v[10:11], v24, s[0:1] offset:3072
	global_load_dwordx2 v[8:9], v[20:21], off offset:512
	s_movk_i32 s0, 0x2000
	v_add_co_u32_e32 v22, vcc, s0, v12
	v_addc_co_u32_e32 v23, vcc, 0, v13, vcc
	global_load_dwordx2 v[12:13], v[20:21], off offset:2048
	global_load_dwordx2 v[16:17], v[20:21], off offset:3584
	;; [unrolled: 1-line block ×4, first 2 shown]
	v_mbcnt_lo_u32_b32 v20, -1, 0
	v_mbcnt_hi_u32_b32 v20, -1, v20
	v_and_b32_e32 v21, 0xc0, v0
	v_add_u32_e32 v22, v20, v21
	v_lshlrev_b32_e32 v23, 1, v22
	s_movk_i32 s3, 0x600
	v_and_b32_e32 v23, 0x3f8, v23
	v_lshl_add_u32 v35, v22, 6, v23
	v_and_or_b32 v22, v24, s3, v20
	v_lshrrev_b32_e32 v23, 2, v22
	v_and_b32_e32 v23, 0x198, v23
	v_lshlrev_b32_e32 v24, 3, v22
	v_add_u32_e32 v36, v23, v24
	v_add_u32_e32 v23, 64, v22
	v_lshrrev_b32_e32 v23, 2, v23
	v_and_b32_e32 v23, 0x1b8, v23
	v_add_u32_e32 v37, v23, v24
	v_or_b32_e32 v23, 0x80, v22
	v_lshrrev_b32_e32 v23, 2, v23
	v_and_b32_e32 v23, 0x1b8, v23
	v_add_u32_e32 v38, v23, v24
	v_add_u32_e32 v23, 0xc0, v22
	s_lshr_b32 s0, s2, 16
	v_lshrrev_b32_e32 v23, 2, v23
	s_and_b32 s1, s2, 0xffff
	v_mad_u32_u24 v1, v2, s0, v1
	v_and_b32_e32 v23, 0x1f8, v23
	v_mad_u64_u32 v[1:2], s[0:1], v1, s1, v[0:1]
	v_add_u32_e32 v39, v23, v24
	v_or_b32_e32 v23, 0x100, v22
	v_and_b32_e32 v2, 15, v20
	v_lshrrev_b32_e32 v23, 2, v23
	v_cmp_eq_u32_e64 s[0:1], 0, v2
	v_cmp_lt_u32_e64 s[2:3], 1, v2
	v_cmp_lt_u32_e64 s[4:5], 3, v2
	;; [unrolled: 1-line block ×3, first 2 shown]
	v_and_b32_e32 v2, 16, v20
	v_and_b32_e32 v23, 0x1d8, v23
	v_cmp_eq_u32_e64 s[8:9], 0, v2
	v_min_u32_e32 v2, 0x80, v21
	v_add_u32_e32 v40, v23, v24
	v_add_u32_e32 v23, 0x140, v22
	v_or_b32_e32 v2, 63, v2
	v_lshrrev_b32_e32 v23, 2, v23
	v_cmp_eq_u32_e64 s[12:13], v0, v2
	v_subrev_co_u32_e64 v2, s[18:19], 1, v20
	v_and_b32_e32 v21, 64, v20
	v_and_b32_e32 v23, 0x1f8, v23
	v_cmp_lt_i32_e32 vcc, v2, v21
	v_add_u32_e32 v41, v23, v24
	v_or_b32_e32 v23, 0x180, v22
	v_add_u32_e32 v22, 0x1c0, v22
	v_cndmask_b32_e32 v2, v2, v20, vcc
	v_lshrrev_b32_e32 v1, 4, v1
	v_lshrrev_b32_e32 v23, 2, v23
	;; [unrolled: 1-line block ×3, first 2 shown]
	v_lshlrev_b32_e32 v45, 2, v2
	v_lshrrev_b32_e32 v2, 4, v0
	v_and_b32_e32 v48, 0xffffffc, v1
	v_lshlrev_b32_e32 v1, 1, v0
	v_and_b32_e32 v23, 0x1f8, v23
	v_and_b32_e32 v22, 0x3f8, v22
	v_lshlrev_b32_e32 v44, 4, v0
	v_cmp_lt_u32_e64 s[10:11], 31, v20
	v_and_b32_e32 v46, 12, v2
	v_mul_i32_i24_e32 v2, -12, v0
	v_and_b32_e32 v20, 3, v20
	v_and_b32_e32 v1, 0x1f8, v1
	v_mov_b32_e32 v3, 0
	v_add_u32_e32 v42, v23, v24
	v_add_u32_e32 v43, v22, v24
	v_cmp_gt_u32_e64 s[14:15], 3, v0
	v_cmp_lt_u32_e64 s[16:17], 63, v0
	v_cmp_eq_u32_e64 s[20:21], 0, v0
	v_cmp_eq_u32_e64 s[22:23], 0, v20
	v_cmp_lt_u32_e64 s[24:25], 1, v20
	v_add_u32_e32 v47, -4, v46
	v_lshl_add_u32 v49, v0, 6, v1
	v_add_u32_e32 v50, v44, v2
	s_branch .LBB166_2
.LBB166_1:                              ;   in Loop: Header=BB166_2 Depth=1
	s_barrier
	ds_write_b64 v4, v[17:18]
	ds_write_b64 v51, v[15:16]
	;; [unrolled: 1-line block ×8, first 2 shown]
	s_waitcnt lgkmcnt(0)
	s_barrier
	ds_read2_b64 v[4:7], v49 offset1:1
	ds_read2_b64 v[10:13], v49 offset0:2 offset1:3
	ds_read2_b64 v[14:17], v49 offset0:4 offset1:5
	;; [unrolled: 1-line block ×3, first 2 shown]
	s_add_i32 s35, s35, 1
	s_waitcnt lgkmcnt(3)
	v_xor_b32_e32 v4, 0x80000000, v4
	v_xor_b32_e32 v5, 0x80000000, v5
	v_xor_b32_e32 v6, 0x80000000, v6
	v_xor_b32_e32 v7, 0x80000000, v7
	s_waitcnt lgkmcnt(2)
	v_xor_b32_e32 v10, 0x80000000, v10
	v_xor_b32_e32 v11, 0x80000000, v11
	v_xor_b32_e32 v8, 0x80000000, v12
	v_xor_b32_e32 v9, 0x80000000, v13
	;; [unrolled: 5-line block ×3, first 2 shown]
	s_waitcnt lgkmcnt(0)
	v_xor_b32_e32 v14, 0x80000000, v18
	v_xor_b32_e32 v15, 0x80000000, v19
	v_xor_b32_e32 v18, 0x80000000, v20
	s_cmp_eq_u32 s35, 10
	v_xor_b32_e32 v19, 0x80000000, v21
	s_cbranch_scc1 .LBB166_28
.LBB166_2:                              ; =>This Loop Header: Depth=1
                                        ;     Child Loop BB166_4 Depth 2
	s_waitcnt vmcnt(7)
	v_xor_b32_e32 v2, 0x80000000, v5
	v_xor_b32_e32 v1, 0x80000000, v4
	s_waitcnt vmcnt(6)
	v_xor_b32_e32 v5, 0x80000000, v7
	v_xor_b32_e32 v4, 0x80000000, v6
	;; [unrolled: 3-line block ×8, first 2 shown]
	ds_write2_b64 v35, v[1:2], v[4:5] offset1:1
	ds_write2_b64 v35, v[6:7], v[8:9] offset0:2 offset1:3
	ds_write2_b64 v35, v[10:11], v[12:13] offset0:4 offset1:5
	;; [unrolled: 1-line block ×3, first 2 shown]
	; wave barrier
	ds_read_b64 v[19:20], v36
	ds_read_b64 v[21:22], v37 offset:512
	ds_read_b64 v[23:24], v38 offset:1024
	;; [unrolled: 1-line block ×7, first 2 shown]
	s_mov_b32 s33, 8
	s_mov_b32 s34, 32
	;; [unrolled: 1-line block ×3, first 2 shown]
	s_waitcnt lgkmcnt(0)
	s_barrier
	; wave barrier
	s_barrier
	s_branch .LBB166_4
.LBB166_3:                              ;   in Loop: Header=BB166_4 Depth=2
	s_andn2_b64 vcc, exec, s[26:27]
	s_cbranch_vccz .LBB166_1
.LBB166_4:                              ;   Parent Loop BB166_2 Depth=1
                                        ; =>  This Inner Loop Header: Depth=2
	s_min_i32 s28, s33, 32
	s_cmp_lt_u32 s36, 32
	s_cselect_b64 s[26:27], -1, 0
	s_cmp_gt_u32 s36, 31
	s_cselect_b64 vcc, -1, 0
	s_sub_i32 s28, s28, 32
	s_add_i32 s29, s28, s34
	s_lshl_b32 s29, -1, s29
	s_not_b32 s29, s29
	s_cmp_lg_u32 s28, s36
	s_cselect_b32 s42, s29, -1
	s_max_i32 s37, s34, 0
	s_max_i32 s28, s36, 32
	s_sub_i32 s43, s28, 32
	s_sub_i32 s28, s28, s37
	;; [unrolled: 1-line block ×3, first 2 shown]
	s_min_i32 s28, s28, 32
	s_sub_i32 s28, s28, s43
	s_lshl_b32 s29, -1, s28
	s_not_b32 s29, s29
	v_mov_b32_e32 v17, v19
	s_cmp_lg_u32 s28, 32
	v_mov_b32_e32 v18, v20
	s_cselect_b32 s44, s29, -1
	v_lshrrev_b32_e32 v19, s43, v17
	v_lshrrev_b32_e32 v4, s36, v18
	v_and_b32_e32 v19, s44, v19
	v_and_b32_e32 v4, s42, v4
	v_lshlrev_b32_e32 v19, s37, v19
	v_cndmask_b32_e64 v4, 0, v4, s[26:27]
	v_cndmask_b32_e32 v19, 0, v19, vcc
	v_or_b32_e32 v19, v4, v19
	v_and_b32_e32 v4, 1, v19
	v_mov_b32_e32 v15, v21
	v_add_co_u32_e64 v20, s[28:29], -1, v4
	v_mov_b32_e32 v16, v22
	v_addc_co_u32_e64 v22, s[28:29], 0, -1, s[28:29]
	v_cmp_ne_u32_e64 s[28:29], 0, v4
	v_xor_b32_e32 v4, s29, v22
	v_and_b32_e32 v22, exec_hi, v4
	v_lshlrev_b32_e32 v4, 30, v19
	v_xor_b32_e32 v20, s28, v20
	v_cmp_gt_i64_e64 s[28:29], 0, v[3:4]
	v_not_b32_e32 v4, v4
	v_mov_b32_e32 v13, v23
	v_ashrrev_i32_e32 v4, 31, v4
	v_mov_b32_e32 v14, v24
	v_and_b32_e32 v20, exec_lo, v20
	v_xor_b32_e32 v23, s29, v4
	v_xor_b32_e32 v4, s28, v4
	v_and_b32_e32 v20, v20, v4
	v_lshlrev_b32_e32 v4, 29, v19
	v_cmp_gt_i64_e64 s[28:29], 0, v[3:4]
	v_not_b32_e32 v4, v4
	v_ashrrev_i32_e32 v4, 31, v4
	v_and_b32_e32 v22, v22, v23
	v_xor_b32_e32 v23, s29, v4
	v_xor_b32_e32 v4, s28, v4
	v_and_b32_e32 v20, v20, v4
	v_lshlrev_b32_e32 v4, 28, v19
	v_cmp_gt_i64_e64 s[28:29], 0, v[3:4]
	v_not_b32_e32 v4, v4
	v_ashrrev_i32_e32 v4, 31, v4
	v_and_b32_e32 v22, v22, v23
	;; [unrolled: 8-line block ×5, first 2 shown]
	v_xor_b32_e32 v23, s29, v4
	v_xor_b32_e32 v4, s28, v4
	v_and_b32_e32 v22, v22, v23
	v_and_b32_e32 v23, v20, v4
	v_lshlrev_b32_e32 v4, 24, v19
	v_cmp_gt_i64_e64 s[28:29], 0, v[3:4]
	v_not_b32_e32 v4, v4
	v_ashrrev_i32_e32 v4, 31, v4
	v_mul_lo_u32 v21, v19, 12
	v_xor_b32_e32 v19, s29, v4
	v_xor_b32_e32 v4, s28, v4
	v_and_b32_e32 v20, v22, v19
	v_and_b32_e32 v19, v23, v4
	v_mbcnt_lo_u32_b32 v4, v19, 0
	v_mbcnt_hi_u32_b32 v23, v20, v4
	v_cmp_ne_u64_e64 s[28:29], 0, v[19:20]
	v_mov_b32_e32 v11, v25
	v_mov_b32_e32 v9, v27
	;; [unrolled: 1-line block ×5, first 2 shown]
	v_cmp_eq_u32_e64 s[30:31], 0, v23
	v_mov_b32_e32 v12, v26
	v_mov_b32_e32 v10, v28
	v_mov_b32_e32 v8, v30
	v_mov_b32_e32 v6, v32
	v_mov_b32_e32 v2, v34
	s_and_b64 s[30:31], s[30:31], s[28:29]
	v_add_u32_e32 v24, v48, v21
	ds_write2_b32 v44, v3, v3 offset0:3 offset1:4
	ds_write2_b32 v44, v3, v3 offset0:5 offset1:6
	s_waitcnt lgkmcnt(0)
	s_barrier
	; wave barrier
	s_and_saveexec_b64 s[28:29], s[30:31]
; %bb.5:                                ;   in Loop: Header=BB166_4 Depth=2
	v_bcnt_u32_b32 v4, v19, 0
	v_bcnt_u32_b32 v4, v20, v4
	ds_write_b32 v24, v4 offset:12
; %bb.6:                                ;   in Loop: Header=BB166_4 Depth=2
	s_or_b64 exec, exec, s[28:29]
	v_lshrrev_b32_e32 v19, s43, v15
	v_lshrrev_b32_e32 v4, s36, v16
	v_and_b32_e32 v19, s44, v19
	v_and_b32_e32 v4, s42, v4
	v_lshlrev_b32_e32 v19, s37, v19
	v_cndmask_b32_e64 v4, 0, v4, s[26:27]
	v_cndmask_b32_e32 v19, 0, v19, vcc
	v_or_b32_e32 v19, v4, v19
	v_mul_lo_u32 v4, v19, 12
	; wave barrier
	v_add_u32_e32 v26, v48, v4
	v_and_b32_e32 v4, 1, v19
	v_add_co_u32_e64 v20, s[28:29], -1, v4
	v_addc_co_u32_e64 v21, s[28:29], 0, -1, s[28:29]
	v_cmp_ne_u32_e64 s[28:29], 0, v4
	v_xor_b32_e32 v4, s29, v21
	v_and_b32_e32 v21, exec_hi, v4
	v_lshlrev_b32_e32 v4, 30, v19
	v_xor_b32_e32 v20, s28, v20
	v_cmp_gt_i64_e64 s[28:29], 0, v[3:4]
	v_not_b32_e32 v4, v4
	v_ashrrev_i32_e32 v4, 31, v4
	v_and_b32_e32 v20, exec_lo, v20
	v_xor_b32_e32 v22, s29, v4
	v_xor_b32_e32 v4, s28, v4
	v_and_b32_e32 v20, v20, v4
	v_lshlrev_b32_e32 v4, 29, v19
	v_cmp_gt_i64_e64 s[28:29], 0, v[3:4]
	v_not_b32_e32 v4, v4
	v_ashrrev_i32_e32 v4, 31, v4
	v_and_b32_e32 v21, v21, v22
	v_xor_b32_e32 v22, s29, v4
	v_xor_b32_e32 v4, s28, v4
	v_and_b32_e32 v20, v20, v4
	v_lshlrev_b32_e32 v4, 28, v19
	v_cmp_gt_i64_e64 s[28:29], 0, v[3:4]
	v_not_b32_e32 v4, v4
	v_ashrrev_i32_e32 v4, 31, v4
	v_and_b32_e32 v21, v21, v22
	;; [unrolled: 8-line block ×5, first 2 shown]
	v_xor_b32_e32 v22, s29, v4
	v_xor_b32_e32 v4, s28, v4
	v_and_b32_e32 v21, v21, v22
	v_and_b32_e32 v22, v20, v4
	v_lshlrev_b32_e32 v4, 24, v19
	v_cmp_gt_i64_e64 s[28:29], 0, v[3:4]
	v_not_b32_e32 v4, v4
	v_ashrrev_i32_e32 v4, 31, v4
	v_xor_b32_e32 v19, s29, v4
	v_xor_b32_e32 v4, s28, v4
	ds_read_b32 v25, v26 offset:12
	v_and_b32_e32 v20, v21, v19
	v_and_b32_e32 v19, v22, v4
	v_mbcnt_lo_u32_b32 v4, v19, 0
	v_mbcnt_hi_u32_b32 v27, v20, v4
	v_cmp_ne_u64_e64 s[28:29], 0, v[19:20]
	v_cmp_eq_u32_e64 s[30:31], 0, v27
	s_and_b64 s[30:31], s[30:31], s[28:29]
	; wave barrier
	s_and_saveexec_b64 s[28:29], s[30:31]
	s_cbranch_execz .LBB166_8
; %bb.7:                                ;   in Loop: Header=BB166_4 Depth=2
	v_bcnt_u32_b32 v4, v19, 0
	v_bcnt_u32_b32 v4, v20, v4
	s_waitcnt lgkmcnt(0)
	v_add_u32_e32 v4, v25, v4
	ds_write_b32 v26, v4 offset:12
.LBB166_8:                              ;   in Loop: Header=BB166_4 Depth=2
	s_or_b64 exec, exec, s[28:29]
	v_lshrrev_b32_e32 v19, s43, v13
	v_lshrrev_b32_e32 v4, s36, v14
	v_and_b32_e32 v19, s44, v19
	v_and_b32_e32 v4, s42, v4
	v_lshlrev_b32_e32 v19, s37, v19
	v_cndmask_b32_e64 v4, 0, v4, s[26:27]
	v_cndmask_b32_e32 v19, 0, v19, vcc
	v_or_b32_e32 v19, v4, v19
	v_mul_lo_u32 v4, v19, 12
	; wave barrier
	v_add_u32_e32 v29, v48, v4
	v_and_b32_e32 v4, 1, v19
	v_add_co_u32_e64 v20, s[28:29], -1, v4
	v_addc_co_u32_e64 v21, s[28:29], 0, -1, s[28:29]
	v_cmp_ne_u32_e64 s[28:29], 0, v4
	v_xor_b32_e32 v4, s29, v21
	v_and_b32_e32 v21, exec_hi, v4
	v_lshlrev_b32_e32 v4, 30, v19
	v_xor_b32_e32 v20, s28, v20
	v_cmp_gt_i64_e64 s[28:29], 0, v[3:4]
	v_not_b32_e32 v4, v4
	v_ashrrev_i32_e32 v4, 31, v4
	v_and_b32_e32 v20, exec_lo, v20
	v_xor_b32_e32 v22, s29, v4
	v_xor_b32_e32 v4, s28, v4
	v_and_b32_e32 v20, v20, v4
	v_lshlrev_b32_e32 v4, 29, v19
	v_cmp_gt_i64_e64 s[28:29], 0, v[3:4]
	v_not_b32_e32 v4, v4
	v_ashrrev_i32_e32 v4, 31, v4
	v_and_b32_e32 v21, v21, v22
	v_xor_b32_e32 v22, s29, v4
	v_xor_b32_e32 v4, s28, v4
	v_and_b32_e32 v20, v20, v4
	v_lshlrev_b32_e32 v4, 28, v19
	v_cmp_gt_i64_e64 s[28:29], 0, v[3:4]
	v_not_b32_e32 v4, v4
	v_ashrrev_i32_e32 v4, 31, v4
	v_and_b32_e32 v21, v21, v22
	v_xor_b32_e32 v22, s29, v4
	v_xor_b32_e32 v4, s28, v4
	v_and_b32_e32 v20, v20, v4
	v_lshlrev_b32_e32 v4, 27, v19
	v_cmp_gt_i64_e64 s[28:29], 0, v[3:4]
	v_not_b32_e32 v4, v4
	v_ashrrev_i32_e32 v4, 31, v4
	v_and_b32_e32 v21, v21, v22
	v_xor_b32_e32 v22, s29, v4
	v_xor_b32_e32 v4, s28, v4
	v_and_b32_e32 v20, v20, v4
	v_lshlrev_b32_e32 v4, 26, v19
	v_cmp_gt_i64_e64 s[28:29], 0, v[3:4]
	v_not_b32_e32 v4, v4
	v_ashrrev_i32_e32 v4, 31, v4
	v_and_b32_e32 v21, v21, v22
	v_xor_b32_e32 v22, s29, v4
	v_xor_b32_e32 v4, s28, v4
	v_and_b32_e32 v20, v20, v4
	v_lshlrev_b32_e32 v4, 25, v19
	v_cmp_gt_i64_e64 s[28:29], 0, v[3:4]
	v_not_b32_e32 v4, v4
	v_ashrrev_i32_e32 v4, 31, v4
	v_and_b32_e32 v21, v21, v22
	v_xor_b32_e32 v22, s29, v4
	v_xor_b32_e32 v4, s28, v4
	v_and_b32_e32 v21, v21, v22
	v_and_b32_e32 v22, v20, v4
	v_lshlrev_b32_e32 v4, 24, v19
	v_cmp_gt_i64_e64 s[28:29], 0, v[3:4]
	v_not_b32_e32 v4, v4
	v_ashrrev_i32_e32 v4, 31, v4
	v_xor_b32_e32 v19, s29, v4
	v_xor_b32_e32 v4, s28, v4
	ds_read_b32 v28, v29 offset:12
	v_and_b32_e32 v20, v21, v19
	v_and_b32_e32 v19, v22, v4
	v_mbcnt_lo_u32_b32 v4, v19, 0
	v_mbcnt_hi_u32_b32 v30, v20, v4
	v_cmp_ne_u64_e64 s[28:29], 0, v[19:20]
	v_cmp_eq_u32_e64 s[30:31], 0, v30
	s_and_b64 s[30:31], s[30:31], s[28:29]
	; wave barrier
	s_and_saveexec_b64 s[28:29], s[30:31]
	s_cbranch_execz .LBB166_10
; %bb.9:                                ;   in Loop: Header=BB166_4 Depth=2
	v_bcnt_u32_b32 v4, v19, 0
	v_bcnt_u32_b32 v4, v20, v4
	s_waitcnt lgkmcnt(0)
	v_add_u32_e32 v4, v28, v4
	ds_write_b32 v29, v4 offset:12
.LBB166_10:                             ;   in Loop: Header=BB166_4 Depth=2
	s_or_b64 exec, exec, s[28:29]
	v_lshrrev_b32_e32 v19, s43, v11
	v_lshrrev_b32_e32 v4, s36, v12
	v_and_b32_e32 v19, s44, v19
	v_and_b32_e32 v4, s42, v4
	v_lshlrev_b32_e32 v19, s37, v19
	v_cndmask_b32_e64 v4, 0, v4, s[26:27]
	v_cndmask_b32_e32 v19, 0, v19, vcc
	v_or_b32_e32 v19, v4, v19
	v_mul_lo_u32 v4, v19, 12
	; wave barrier
	v_add_u32_e32 v32, v48, v4
	v_and_b32_e32 v4, 1, v19
	v_add_co_u32_e64 v20, s[28:29], -1, v4
	v_addc_co_u32_e64 v21, s[28:29], 0, -1, s[28:29]
	v_cmp_ne_u32_e64 s[28:29], 0, v4
	v_xor_b32_e32 v4, s29, v21
	v_and_b32_e32 v21, exec_hi, v4
	v_lshlrev_b32_e32 v4, 30, v19
	v_xor_b32_e32 v20, s28, v20
	v_cmp_gt_i64_e64 s[28:29], 0, v[3:4]
	v_not_b32_e32 v4, v4
	v_ashrrev_i32_e32 v4, 31, v4
	v_and_b32_e32 v20, exec_lo, v20
	v_xor_b32_e32 v22, s29, v4
	v_xor_b32_e32 v4, s28, v4
	v_and_b32_e32 v20, v20, v4
	v_lshlrev_b32_e32 v4, 29, v19
	v_cmp_gt_i64_e64 s[28:29], 0, v[3:4]
	v_not_b32_e32 v4, v4
	v_ashrrev_i32_e32 v4, 31, v4
	v_and_b32_e32 v21, v21, v22
	v_xor_b32_e32 v22, s29, v4
	v_xor_b32_e32 v4, s28, v4
	v_and_b32_e32 v20, v20, v4
	v_lshlrev_b32_e32 v4, 28, v19
	v_cmp_gt_i64_e64 s[28:29], 0, v[3:4]
	v_not_b32_e32 v4, v4
	v_ashrrev_i32_e32 v4, 31, v4
	v_and_b32_e32 v21, v21, v22
	v_xor_b32_e32 v22, s29, v4
	v_xor_b32_e32 v4, s28, v4
	v_and_b32_e32 v20, v20, v4
	v_lshlrev_b32_e32 v4, 27, v19
	v_cmp_gt_i64_e64 s[28:29], 0, v[3:4]
	v_not_b32_e32 v4, v4
	v_ashrrev_i32_e32 v4, 31, v4
	v_and_b32_e32 v21, v21, v22
	v_xor_b32_e32 v22, s29, v4
	v_xor_b32_e32 v4, s28, v4
	v_and_b32_e32 v20, v20, v4
	v_lshlrev_b32_e32 v4, 26, v19
	v_cmp_gt_i64_e64 s[28:29], 0, v[3:4]
	v_not_b32_e32 v4, v4
	v_ashrrev_i32_e32 v4, 31, v4
	v_and_b32_e32 v21, v21, v22
	v_xor_b32_e32 v22, s29, v4
	v_xor_b32_e32 v4, s28, v4
	v_and_b32_e32 v20, v20, v4
	v_lshlrev_b32_e32 v4, 25, v19
	v_cmp_gt_i64_e64 s[28:29], 0, v[3:4]
	v_not_b32_e32 v4, v4
	v_ashrrev_i32_e32 v4, 31, v4
	v_and_b32_e32 v21, v21, v22
	v_xor_b32_e32 v22, s29, v4
	v_xor_b32_e32 v4, s28, v4
	v_and_b32_e32 v21, v21, v22
	v_and_b32_e32 v22, v20, v4
	v_lshlrev_b32_e32 v4, 24, v19
	v_cmp_gt_i64_e64 s[28:29], 0, v[3:4]
	v_not_b32_e32 v4, v4
	v_ashrrev_i32_e32 v4, 31, v4
	v_xor_b32_e32 v19, s29, v4
	v_xor_b32_e32 v4, s28, v4
	ds_read_b32 v31, v32 offset:12
	v_and_b32_e32 v20, v21, v19
	v_and_b32_e32 v19, v22, v4
	v_mbcnt_lo_u32_b32 v4, v19, 0
	v_mbcnt_hi_u32_b32 v33, v20, v4
	v_cmp_ne_u64_e64 s[28:29], 0, v[19:20]
	v_cmp_eq_u32_e64 s[30:31], 0, v33
	s_and_b64 s[30:31], s[30:31], s[28:29]
	; wave barrier
	s_and_saveexec_b64 s[28:29], s[30:31]
	s_cbranch_execz .LBB166_12
; %bb.11:                               ;   in Loop: Header=BB166_4 Depth=2
	v_bcnt_u32_b32 v4, v19, 0
	v_bcnt_u32_b32 v4, v20, v4
	s_waitcnt lgkmcnt(0)
	v_add_u32_e32 v4, v31, v4
	ds_write_b32 v32, v4 offset:12
.LBB166_12:                             ;   in Loop: Header=BB166_4 Depth=2
	s_or_b64 exec, exec, s[28:29]
	v_lshrrev_b32_e32 v19, s43, v9
	v_lshrrev_b32_e32 v4, s36, v10
	v_and_b32_e32 v19, s44, v19
	v_and_b32_e32 v4, s42, v4
	v_lshlrev_b32_e32 v19, s37, v19
	v_cndmask_b32_e64 v4, 0, v4, s[26:27]
	v_cndmask_b32_e32 v19, 0, v19, vcc
	v_or_b32_e32 v19, v4, v19
	v_mul_lo_u32 v4, v19, 12
	; wave barrier
	v_add_u32_e32 v51, v48, v4
	v_and_b32_e32 v4, 1, v19
	v_add_co_u32_e64 v20, s[28:29], -1, v4
	v_addc_co_u32_e64 v21, s[28:29], 0, -1, s[28:29]
	v_cmp_ne_u32_e64 s[28:29], 0, v4
	v_xor_b32_e32 v4, s29, v21
	v_and_b32_e32 v21, exec_hi, v4
	v_lshlrev_b32_e32 v4, 30, v19
	v_xor_b32_e32 v20, s28, v20
	v_cmp_gt_i64_e64 s[28:29], 0, v[3:4]
	v_not_b32_e32 v4, v4
	v_ashrrev_i32_e32 v4, 31, v4
	v_and_b32_e32 v20, exec_lo, v20
	v_xor_b32_e32 v22, s29, v4
	v_xor_b32_e32 v4, s28, v4
	v_and_b32_e32 v20, v20, v4
	v_lshlrev_b32_e32 v4, 29, v19
	v_cmp_gt_i64_e64 s[28:29], 0, v[3:4]
	v_not_b32_e32 v4, v4
	v_ashrrev_i32_e32 v4, 31, v4
	v_and_b32_e32 v21, v21, v22
	v_xor_b32_e32 v22, s29, v4
	v_xor_b32_e32 v4, s28, v4
	v_and_b32_e32 v20, v20, v4
	v_lshlrev_b32_e32 v4, 28, v19
	v_cmp_gt_i64_e64 s[28:29], 0, v[3:4]
	v_not_b32_e32 v4, v4
	v_ashrrev_i32_e32 v4, 31, v4
	v_and_b32_e32 v21, v21, v22
	;; [unrolled: 8-line block ×5, first 2 shown]
	v_xor_b32_e32 v22, s29, v4
	v_xor_b32_e32 v4, s28, v4
	v_and_b32_e32 v21, v21, v22
	v_and_b32_e32 v22, v20, v4
	v_lshlrev_b32_e32 v4, 24, v19
	v_cmp_gt_i64_e64 s[28:29], 0, v[3:4]
	v_not_b32_e32 v4, v4
	v_ashrrev_i32_e32 v4, 31, v4
	v_xor_b32_e32 v19, s29, v4
	v_xor_b32_e32 v4, s28, v4
	ds_read_b32 v34, v51 offset:12
	v_and_b32_e32 v20, v21, v19
	v_and_b32_e32 v19, v22, v4
	v_mbcnt_lo_u32_b32 v4, v19, 0
	v_mbcnt_hi_u32_b32 v52, v20, v4
	v_cmp_ne_u64_e64 s[28:29], 0, v[19:20]
	v_cmp_eq_u32_e64 s[30:31], 0, v52
	s_and_b64 s[30:31], s[30:31], s[28:29]
	; wave barrier
	s_and_saveexec_b64 s[28:29], s[30:31]
	s_cbranch_execz .LBB166_14
; %bb.13:                               ;   in Loop: Header=BB166_4 Depth=2
	v_bcnt_u32_b32 v4, v19, 0
	v_bcnt_u32_b32 v4, v20, v4
	s_waitcnt lgkmcnt(0)
	v_add_u32_e32 v4, v34, v4
	ds_write_b32 v51, v4 offset:12
.LBB166_14:                             ;   in Loop: Header=BB166_4 Depth=2
	s_or_b64 exec, exec, s[28:29]
	v_lshrrev_b32_e32 v19, s43, v7
	v_lshrrev_b32_e32 v4, s36, v8
	v_and_b32_e32 v19, s44, v19
	v_and_b32_e32 v4, s42, v4
	v_lshlrev_b32_e32 v19, s37, v19
	v_cndmask_b32_e64 v4, 0, v4, s[26:27]
	v_cndmask_b32_e32 v19, 0, v19, vcc
	v_or_b32_e32 v19, v4, v19
	v_mul_lo_u32 v4, v19, 12
	; wave barrier
	v_add_u32_e32 v54, v48, v4
	v_and_b32_e32 v4, 1, v19
	v_add_co_u32_e64 v20, s[28:29], -1, v4
	v_addc_co_u32_e64 v21, s[28:29], 0, -1, s[28:29]
	v_cmp_ne_u32_e64 s[28:29], 0, v4
	v_xor_b32_e32 v4, s29, v21
	v_and_b32_e32 v21, exec_hi, v4
	v_lshlrev_b32_e32 v4, 30, v19
	v_xor_b32_e32 v20, s28, v20
	v_cmp_gt_i64_e64 s[28:29], 0, v[3:4]
	v_not_b32_e32 v4, v4
	v_ashrrev_i32_e32 v4, 31, v4
	v_and_b32_e32 v20, exec_lo, v20
	v_xor_b32_e32 v22, s29, v4
	v_xor_b32_e32 v4, s28, v4
	v_and_b32_e32 v20, v20, v4
	v_lshlrev_b32_e32 v4, 29, v19
	v_cmp_gt_i64_e64 s[28:29], 0, v[3:4]
	v_not_b32_e32 v4, v4
	v_ashrrev_i32_e32 v4, 31, v4
	v_and_b32_e32 v21, v21, v22
	v_xor_b32_e32 v22, s29, v4
	v_xor_b32_e32 v4, s28, v4
	v_and_b32_e32 v20, v20, v4
	v_lshlrev_b32_e32 v4, 28, v19
	v_cmp_gt_i64_e64 s[28:29], 0, v[3:4]
	v_not_b32_e32 v4, v4
	v_ashrrev_i32_e32 v4, 31, v4
	v_and_b32_e32 v21, v21, v22
	;; [unrolled: 8-line block ×5, first 2 shown]
	v_xor_b32_e32 v22, s29, v4
	v_xor_b32_e32 v4, s28, v4
	v_and_b32_e32 v21, v21, v22
	v_and_b32_e32 v22, v20, v4
	v_lshlrev_b32_e32 v4, 24, v19
	v_cmp_gt_i64_e64 s[28:29], 0, v[3:4]
	v_not_b32_e32 v4, v4
	v_ashrrev_i32_e32 v4, 31, v4
	v_xor_b32_e32 v19, s29, v4
	v_xor_b32_e32 v4, s28, v4
	ds_read_b32 v53, v54 offset:12
	v_and_b32_e32 v20, v21, v19
	v_and_b32_e32 v19, v22, v4
	v_mbcnt_lo_u32_b32 v4, v19, 0
	v_mbcnt_hi_u32_b32 v55, v20, v4
	v_cmp_ne_u64_e64 s[28:29], 0, v[19:20]
	v_cmp_eq_u32_e64 s[30:31], 0, v55
	s_and_b64 s[30:31], s[30:31], s[28:29]
	; wave barrier
	s_and_saveexec_b64 s[28:29], s[30:31]
	s_cbranch_execz .LBB166_16
; %bb.15:                               ;   in Loop: Header=BB166_4 Depth=2
	v_bcnt_u32_b32 v4, v19, 0
	v_bcnt_u32_b32 v4, v20, v4
	s_waitcnt lgkmcnt(0)
	v_add_u32_e32 v4, v53, v4
	ds_write_b32 v54, v4 offset:12
.LBB166_16:                             ;   in Loop: Header=BB166_4 Depth=2
	s_or_b64 exec, exec, s[28:29]
	v_lshrrev_b32_e32 v19, s43, v5
	v_lshrrev_b32_e32 v4, s36, v6
	v_and_b32_e32 v19, s44, v19
	v_and_b32_e32 v4, s42, v4
	v_lshlrev_b32_e32 v19, s37, v19
	v_cndmask_b32_e64 v4, 0, v4, s[26:27]
	v_cndmask_b32_e32 v19, 0, v19, vcc
	v_or_b32_e32 v19, v4, v19
	v_mul_lo_u32 v4, v19, 12
	; wave barrier
	v_add_u32_e32 v57, v48, v4
	v_and_b32_e32 v4, 1, v19
	v_add_co_u32_e64 v20, s[28:29], -1, v4
	v_addc_co_u32_e64 v21, s[28:29], 0, -1, s[28:29]
	v_cmp_ne_u32_e64 s[28:29], 0, v4
	v_xor_b32_e32 v4, s29, v21
	v_and_b32_e32 v21, exec_hi, v4
	v_lshlrev_b32_e32 v4, 30, v19
	v_xor_b32_e32 v20, s28, v20
	v_cmp_gt_i64_e64 s[28:29], 0, v[3:4]
	v_not_b32_e32 v4, v4
	v_ashrrev_i32_e32 v4, 31, v4
	v_and_b32_e32 v20, exec_lo, v20
	v_xor_b32_e32 v22, s29, v4
	v_xor_b32_e32 v4, s28, v4
	v_and_b32_e32 v20, v20, v4
	v_lshlrev_b32_e32 v4, 29, v19
	v_cmp_gt_i64_e64 s[28:29], 0, v[3:4]
	v_not_b32_e32 v4, v4
	v_ashrrev_i32_e32 v4, 31, v4
	v_and_b32_e32 v21, v21, v22
	v_xor_b32_e32 v22, s29, v4
	v_xor_b32_e32 v4, s28, v4
	v_and_b32_e32 v20, v20, v4
	v_lshlrev_b32_e32 v4, 28, v19
	v_cmp_gt_i64_e64 s[28:29], 0, v[3:4]
	v_not_b32_e32 v4, v4
	v_ashrrev_i32_e32 v4, 31, v4
	v_and_b32_e32 v21, v21, v22
	;; [unrolled: 8-line block ×5, first 2 shown]
	v_xor_b32_e32 v22, s29, v4
	v_xor_b32_e32 v4, s28, v4
	v_and_b32_e32 v21, v21, v22
	v_and_b32_e32 v22, v20, v4
	v_lshlrev_b32_e32 v4, 24, v19
	v_cmp_gt_i64_e64 s[28:29], 0, v[3:4]
	v_not_b32_e32 v4, v4
	v_ashrrev_i32_e32 v4, 31, v4
	v_xor_b32_e32 v19, s29, v4
	v_xor_b32_e32 v4, s28, v4
	ds_read_b32 v56, v57 offset:12
	v_and_b32_e32 v20, v21, v19
	v_and_b32_e32 v19, v22, v4
	v_mbcnt_lo_u32_b32 v4, v19, 0
	v_mbcnt_hi_u32_b32 v58, v20, v4
	v_cmp_ne_u64_e64 s[28:29], 0, v[19:20]
	v_cmp_eq_u32_e64 s[30:31], 0, v58
	s_and_b64 s[30:31], s[30:31], s[28:29]
	; wave barrier
	s_and_saveexec_b64 s[28:29], s[30:31]
	s_cbranch_execz .LBB166_18
; %bb.17:                               ;   in Loop: Header=BB166_4 Depth=2
	v_bcnt_u32_b32 v4, v19, 0
	v_bcnt_u32_b32 v4, v20, v4
	s_waitcnt lgkmcnt(0)
	v_add_u32_e32 v4, v56, v4
	ds_write_b32 v57, v4 offset:12
.LBB166_18:                             ;   in Loop: Header=BB166_4 Depth=2
	s_or_b64 exec, exec, s[28:29]
	v_lshrrev_b32_e32 v19, s43, v1
	v_lshrrev_b32_e32 v4, s36, v2
	v_and_b32_e32 v19, s44, v19
	v_and_b32_e32 v4, s42, v4
	v_lshlrev_b32_e32 v19, s37, v19
	v_cndmask_b32_e64 v4, 0, v4, s[26:27]
	v_cndmask_b32_e32 v19, 0, v19, vcc
	v_or_b32_e32 v19, v4, v19
	v_mul_lo_u32 v4, v19, 12
	; wave barrier
	v_add_u32_e32 v60, v48, v4
	v_and_b32_e32 v4, 1, v19
	v_add_co_u32_e32 v20, vcc, -1, v4
	v_addc_co_u32_e64 v21, s[26:27], 0, -1, vcc
	v_cmp_ne_u32_e32 vcc, 0, v4
	v_xor_b32_e32 v4, vcc_hi, v21
	v_and_b32_e32 v21, exec_hi, v4
	v_lshlrev_b32_e32 v4, 30, v19
	v_xor_b32_e32 v20, vcc_lo, v20
	v_cmp_gt_i64_e32 vcc, 0, v[3:4]
	v_not_b32_e32 v4, v4
	v_ashrrev_i32_e32 v4, 31, v4
	v_and_b32_e32 v20, exec_lo, v20
	v_xor_b32_e32 v22, vcc_hi, v4
	v_xor_b32_e32 v4, vcc_lo, v4
	v_and_b32_e32 v20, v20, v4
	v_lshlrev_b32_e32 v4, 29, v19
	v_cmp_gt_i64_e32 vcc, 0, v[3:4]
	v_not_b32_e32 v4, v4
	v_ashrrev_i32_e32 v4, 31, v4
	v_and_b32_e32 v21, v21, v22
	v_xor_b32_e32 v22, vcc_hi, v4
	v_xor_b32_e32 v4, vcc_lo, v4
	v_and_b32_e32 v20, v20, v4
	v_lshlrev_b32_e32 v4, 28, v19
	v_cmp_gt_i64_e32 vcc, 0, v[3:4]
	v_not_b32_e32 v4, v4
	v_ashrrev_i32_e32 v4, 31, v4
	v_and_b32_e32 v21, v21, v22
	;; [unrolled: 8-line block ×5, first 2 shown]
	v_xor_b32_e32 v22, vcc_hi, v4
	v_xor_b32_e32 v4, vcc_lo, v4
	v_and_b32_e32 v21, v21, v22
	v_and_b32_e32 v22, v20, v4
	v_lshlrev_b32_e32 v4, 24, v19
	v_cmp_gt_i64_e32 vcc, 0, v[3:4]
	v_not_b32_e32 v4, v4
	v_ashrrev_i32_e32 v4, 31, v4
	v_xor_b32_e32 v19, vcc_hi, v4
	v_xor_b32_e32 v4, vcc_lo, v4
	ds_read_b32 v59, v60 offset:12
	v_and_b32_e32 v20, v21, v19
	v_and_b32_e32 v19, v22, v4
	v_mbcnt_lo_u32_b32 v4, v19, 0
	v_mbcnt_hi_u32_b32 v4, v20, v4
	v_cmp_ne_u64_e32 vcc, 0, v[19:20]
	v_cmp_eq_u32_e64 s[26:27], 0, v4
	s_and_b64 s[28:29], s[26:27], vcc
	; wave barrier
	s_and_saveexec_b64 s[26:27], s[28:29]
	s_cbranch_execz .LBB166_20
; %bb.19:                               ;   in Loop: Header=BB166_4 Depth=2
	v_bcnt_u32_b32 v19, v19, 0
	v_bcnt_u32_b32 v19, v20, v19
	s_waitcnt lgkmcnt(0)
	v_add_u32_e32 v19, v59, v19
	ds_write_b32 v60, v19 offset:12
.LBB166_20:                             ;   in Loop: Header=BB166_4 Depth=2
	s_or_b64 exec, exec, s[26:27]
	; wave barrier
	s_waitcnt lgkmcnt(0)
	s_barrier
	ds_read2_b32 v[21:22], v44 offset0:3 offset1:4
	ds_read2_b32 v[19:20], v44 offset0:5 offset1:6
	s_waitcnt lgkmcnt(1)
	v_add_u32_e32 v61, v22, v21
	s_waitcnt lgkmcnt(0)
	v_add3_u32 v20, v61, v19, v20
	s_nop 1
	v_mov_b32_dpp v61, v20 row_shr:1 row_mask:0xf bank_mask:0xf
	v_cndmask_b32_e64 v61, v61, 0, s[0:1]
	v_add_u32_e32 v20, v61, v20
	s_nop 1
	v_mov_b32_dpp v61, v20 row_shr:2 row_mask:0xf bank_mask:0xf
	v_cndmask_b32_e64 v61, 0, v61, s[2:3]
	v_add_u32_e32 v20, v20, v61
	;; [unrolled: 4-line block ×4, first 2 shown]
	s_nop 1
	v_mov_b32_dpp v61, v20 row_bcast:15 row_mask:0xf bank_mask:0xf
	v_cndmask_b32_e64 v61, v61, 0, s[8:9]
	v_add_u32_e32 v20, v20, v61
	s_nop 1
	v_mov_b32_dpp v61, v20 row_bcast:31 row_mask:0xf bank_mask:0xf
	v_cndmask_b32_e64 v61, 0, v61, s[10:11]
	v_add_u32_e32 v20, v20, v61
	s_and_saveexec_b64 s[26:27], s[12:13]
; %bb.21:                               ;   in Loop: Header=BB166_4 Depth=2
	ds_write_b32 v46, v20
; %bb.22:                               ;   in Loop: Header=BB166_4 Depth=2
	s_or_b64 exec, exec, s[26:27]
	s_waitcnt lgkmcnt(0)
	s_barrier
	s_and_saveexec_b64 s[26:27], s[14:15]
	s_cbranch_execz .LBB166_24
; %bb.23:                               ;   in Loop: Header=BB166_4 Depth=2
	ds_read_b32 v61, v50
	s_waitcnt lgkmcnt(0)
	s_nop 0
	v_mov_b32_dpp v62, v61 row_shr:1 row_mask:0xf bank_mask:0xf
	v_cndmask_b32_e64 v62, v62, 0, s[22:23]
	v_add_u32_e32 v61, v62, v61
	s_nop 1
	v_mov_b32_dpp v62, v61 row_shr:2 row_mask:0xf bank_mask:0xf
	v_cndmask_b32_e64 v62, 0, v62, s[24:25]
	v_add_u32_e32 v61, v61, v62
	ds_write_b32 v50, v61
.LBB166_24:                             ;   in Loop: Header=BB166_4 Depth=2
	s_or_b64 exec, exec, s[26:27]
	v_mov_b32_e32 v61, 0
	s_waitcnt lgkmcnt(0)
	s_barrier
	s_and_saveexec_b64 s[26:27], s[16:17]
; %bb.25:                               ;   in Loop: Header=BB166_4 Depth=2
	ds_read_b32 v61, v47
; %bb.26:                               ;   in Loop: Header=BB166_4 Depth=2
	s_or_b64 exec, exec, s[26:27]
	s_waitcnt lgkmcnt(0)
	v_add_u32_e32 v20, v61, v20
	ds_bpermute_b32 v20, v45, v20
	s_cmp_gt_u32 s36, 55
	s_mov_b64 s[26:27], -1
	s_waitcnt lgkmcnt(0)
	v_cndmask_b32_e64 v20, v20, v61, s[18:19]
	v_cndmask_b32_e64 v20, v20, 0, s[20:21]
	v_add_u32_e32 v21, v20, v21
	v_add_u32_e32 v22, v21, v22
	;; [unrolled: 1-line block ×3, first 2 shown]
	ds_write2_b32 v44, v20, v21 offset0:3 offset1:4
	ds_write2_b32 v44, v22, v19 offset0:5 offset1:6
	s_waitcnt lgkmcnt(0)
	s_barrier
	ds_read_b32 v19, v24 offset:12
	ds_read_b32 v20, v26 offset:12
	;; [unrolled: 1-line block ×8, first 2 shown]
	s_waitcnt lgkmcnt(7)
	v_add_u32_e32 v19, v19, v23
	s_waitcnt lgkmcnt(3)
	v_add3_u32 v23, v52, v34, v24
	s_waitcnt lgkmcnt(2)
	v_add3_u32 v24, v55, v53, v26
	v_add3_u32 v20, v27, v25, v20
	s_waitcnt lgkmcnt(0)
	v_add3_u32 v26, v4, v59, v32
	v_lshrrev_b32_e32 v4, 2, v19
	v_and_b32_e32 v4, 0x3ffffff8, v4
	v_lshl_add_u32 v4, v19, 3, v4
	v_lshrrev_b32_e32 v19, 2, v20
	v_add3_u32 v21, v30, v28, v21
	v_and_b32_e32 v19, 0x3ffffff8, v19
	v_lshl_add_u32 v51, v20, 3, v19
	v_lshrrev_b32_e32 v19, 2, v21
	v_add3_u32 v22, v33, v31, v22
	v_and_b32_e32 v19, 0x3ffffff8, v19
	v_lshl_add_u32 v52, v21, 3, v19
	v_lshrrev_b32_e32 v19, 2, v22
	v_and_b32_e32 v19, 0x3ffffff8, v19
	v_lshl_add_u32 v53, v22, 3, v19
	v_lshrrev_b32_e32 v19, 2, v23
	;; [unrolled: 3-line block ×3, first 2 shown]
	v_add3_u32 v25, v58, v56, v29
	v_and_b32_e32 v19, 0x3ffffff8, v19
	v_lshl_add_u32 v55, v24, 3, v19
	v_lshrrev_b32_e32 v19, 2, v25
	v_and_b32_e32 v19, 0x3ffffff8, v19
	v_lshl_add_u32 v56, v25, 3, v19
	v_lshrrev_b32_e32 v19, 2, v26
	v_and_b32_e32 v19, 0x3ffffff8, v19
	v_lshl_add_u32 v57, v26, 3, v19
                                        ; implicit-def: $vgpr19_vgpr20
                                        ; implicit-def: $vgpr21_vgpr22
                                        ; implicit-def: $vgpr23_vgpr24
                                        ; implicit-def: $vgpr25_vgpr26
                                        ; implicit-def: $vgpr27_vgpr28
                                        ; implicit-def: $vgpr29_vgpr30
                                        ; implicit-def: $vgpr31_vgpr32
                                        ; implicit-def: $vgpr33_vgpr34
	s_cbranch_scc1 .LBB166_3
; %bb.27:                               ;   in Loop: Header=BB166_4 Depth=2
	s_barrier
	ds_write_b64 v4, v[17:18]
	ds_write_b64 v51, v[15:16]
	;; [unrolled: 1-line block ×8, first 2 shown]
	s_waitcnt lgkmcnt(0)
	s_barrier
	ds_read_b64 v[19:20], v36
	ds_read_b64 v[21:22], v37 offset:512
	ds_read_b64 v[23:24], v38 offset:1024
	;; [unrolled: 1-line block ×7, first 2 shown]
	s_add_i32 s34, s34, -8
	s_add_i32 s33, s33, 8
	s_add_i32 s36, s36, 8
	s_mov_b64 s[26:27], 0
	s_waitcnt lgkmcnt(0)
	s_barrier
	s_branch .LBB166_3
.LBB166_28:
	s_add_u32 s0, s38, s40
	s_addc_u32 s1, s39, s41
	v_lshlrev_b32_e32 v0, 3, v0
	v_mov_b32_e32 v1, s1
	v_add_co_u32_e32 v2, vcc, s0, v0
	v_addc_co_u32_e32 v3, vcc, 0, v1, vcc
	global_store_dwordx2 v0, v[4:5], s[0:1]
	global_store_dwordx2 v0, v[6:7], s[0:1] offset:1536
	global_store_dwordx2 v0, v[10:11], s[0:1] offset:3072
	v_add_co_u32_e32 v0, vcc, 0x1000, v2
	v_addc_co_u32_e32 v1, vcc, 0, v3, vcc
	global_store_dwordx2 v[0:1], v[8:9], off offset:512
	global_store_dwordx2 v[0:1], v[12:13], off offset:2048
	;; [unrolled: 1-line block ×3, first 2 shown]
	v_add_co_u32_e32 v0, vcc, 0x2000, v2
	v_addc_co_u32_e32 v1, vcc, 0, v3, vcc
	global_store_dwordx2 v[0:1], v[14:15], off offset:1024
	global_store_dwordx2 v[0:1], v[18:19], off offset:2560
	s_endpgm
	.section	.rodata,"a",@progbits
	.p2align	6, 0x0
	.amdhsa_kernel _Z16sort_keys_kernelI22helper_blocked_blockedN15benchmark_utils11custom_typeIiiEELj192ELj8ELj10EEvPKT0_PS4_
		.amdhsa_group_segment_fixed_size 12672
		.amdhsa_private_segment_fixed_size 0
		.amdhsa_kernarg_size 272
		.amdhsa_user_sgpr_count 6
		.amdhsa_user_sgpr_private_segment_buffer 1
		.amdhsa_user_sgpr_dispatch_ptr 0
		.amdhsa_user_sgpr_queue_ptr 0
		.amdhsa_user_sgpr_kernarg_segment_ptr 1
		.amdhsa_user_sgpr_dispatch_id 0
		.amdhsa_user_sgpr_flat_scratch_init 0
		.amdhsa_user_sgpr_private_segment_size 0
		.amdhsa_uses_dynamic_stack 0
		.amdhsa_system_sgpr_private_segment_wavefront_offset 0
		.amdhsa_system_sgpr_workgroup_id_x 1
		.amdhsa_system_sgpr_workgroup_id_y 0
		.amdhsa_system_sgpr_workgroup_id_z 0
		.amdhsa_system_sgpr_workgroup_info 0
		.amdhsa_system_vgpr_workitem_id 2
		.amdhsa_next_free_vgpr 63
		.amdhsa_next_free_sgpr 98
		.amdhsa_reserve_vcc 1
		.amdhsa_reserve_flat_scratch 0
		.amdhsa_float_round_mode_32 0
		.amdhsa_float_round_mode_16_64 0
		.amdhsa_float_denorm_mode_32 3
		.amdhsa_float_denorm_mode_16_64 3
		.amdhsa_dx10_clamp 1
		.amdhsa_ieee_mode 1
		.amdhsa_fp16_overflow 0
		.amdhsa_exception_fp_ieee_invalid_op 0
		.amdhsa_exception_fp_denorm_src 0
		.amdhsa_exception_fp_ieee_div_zero 0
		.amdhsa_exception_fp_ieee_overflow 0
		.amdhsa_exception_fp_ieee_underflow 0
		.amdhsa_exception_fp_ieee_inexact 0
		.amdhsa_exception_int_div_zero 0
	.end_amdhsa_kernel
	.section	.text._Z16sort_keys_kernelI22helper_blocked_blockedN15benchmark_utils11custom_typeIiiEELj192ELj8ELj10EEvPKT0_PS4_,"axG",@progbits,_Z16sort_keys_kernelI22helper_blocked_blockedN15benchmark_utils11custom_typeIiiEELj192ELj8ELj10EEvPKT0_PS4_,comdat
.Lfunc_end166:
	.size	_Z16sort_keys_kernelI22helper_blocked_blockedN15benchmark_utils11custom_typeIiiEELj192ELj8ELj10EEvPKT0_PS4_, .Lfunc_end166-_Z16sort_keys_kernelI22helper_blocked_blockedN15benchmark_utils11custom_typeIiiEELj192ELj8ELj10EEvPKT0_PS4_
                                        ; -- End function
	.set _Z16sort_keys_kernelI22helper_blocked_blockedN15benchmark_utils11custom_typeIiiEELj192ELj8ELj10EEvPKT0_PS4_.num_vgpr, 63
	.set _Z16sort_keys_kernelI22helper_blocked_blockedN15benchmark_utils11custom_typeIiiEELj192ELj8ELj10EEvPKT0_PS4_.num_agpr, 0
	.set _Z16sort_keys_kernelI22helper_blocked_blockedN15benchmark_utils11custom_typeIiiEELj192ELj8ELj10EEvPKT0_PS4_.numbered_sgpr, 45
	.set _Z16sort_keys_kernelI22helper_blocked_blockedN15benchmark_utils11custom_typeIiiEELj192ELj8ELj10EEvPKT0_PS4_.num_named_barrier, 0
	.set _Z16sort_keys_kernelI22helper_blocked_blockedN15benchmark_utils11custom_typeIiiEELj192ELj8ELj10EEvPKT0_PS4_.private_seg_size, 0
	.set _Z16sort_keys_kernelI22helper_blocked_blockedN15benchmark_utils11custom_typeIiiEELj192ELj8ELj10EEvPKT0_PS4_.uses_vcc, 1
	.set _Z16sort_keys_kernelI22helper_blocked_blockedN15benchmark_utils11custom_typeIiiEELj192ELj8ELj10EEvPKT0_PS4_.uses_flat_scratch, 0
	.set _Z16sort_keys_kernelI22helper_blocked_blockedN15benchmark_utils11custom_typeIiiEELj192ELj8ELj10EEvPKT0_PS4_.has_dyn_sized_stack, 0
	.set _Z16sort_keys_kernelI22helper_blocked_blockedN15benchmark_utils11custom_typeIiiEELj192ELj8ELj10EEvPKT0_PS4_.has_recursion, 0
	.set _Z16sort_keys_kernelI22helper_blocked_blockedN15benchmark_utils11custom_typeIiiEELj192ELj8ELj10EEvPKT0_PS4_.has_indirect_call, 0
	.section	.AMDGPU.csdata,"",@progbits
; Kernel info:
; codeLenInByte = 5744
; TotalNumSgprs: 49
; NumVgprs: 63
; ScratchSize: 0
; MemoryBound: 0
; FloatMode: 240
; IeeeMode: 1
; LDSByteSize: 12672 bytes/workgroup (compile time only)
; SGPRBlocks: 12
; VGPRBlocks: 15
; NumSGPRsForWavesPerEU: 102
; NumVGPRsForWavesPerEU: 63
; Occupancy: 4
; WaveLimiterHint : 1
; COMPUTE_PGM_RSRC2:SCRATCH_EN: 0
; COMPUTE_PGM_RSRC2:USER_SGPR: 6
; COMPUTE_PGM_RSRC2:TRAP_HANDLER: 0
; COMPUTE_PGM_RSRC2:TGID_X_EN: 1
; COMPUTE_PGM_RSRC2:TGID_Y_EN: 0
; COMPUTE_PGM_RSRC2:TGID_Z_EN: 0
; COMPUTE_PGM_RSRC2:TIDIG_COMP_CNT: 2
	.section	.text._Z17sort_pairs_kernelI22helper_blocked_blockedN15benchmark_utils11custom_typeIiiEELj192ELj8ELj10EEvPKT0_PS4_,"axG",@progbits,_Z17sort_pairs_kernelI22helper_blocked_blockedN15benchmark_utils11custom_typeIiiEELj192ELj8ELj10EEvPKT0_PS4_,comdat
	.protected	_Z17sort_pairs_kernelI22helper_blocked_blockedN15benchmark_utils11custom_typeIiiEELj192ELj8ELj10EEvPKT0_PS4_ ; -- Begin function _Z17sort_pairs_kernelI22helper_blocked_blockedN15benchmark_utils11custom_typeIiiEELj192ELj8ELj10EEvPKT0_PS4_
	.globl	_Z17sort_pairs_kernelI22helper_blocked_blockedN15benchmark_utils11custom_typeIiiEELj192ELj8ELj10EEvPKT0_PS4_
	.p2align	8
	.type	_Z17sort_pairs_kernelI22helper_blocked_blockedN15benchmark_utils11custom_typeIiiEELj192ELj8ELj10EEvPKT0_PS4_,@function
_Z17sort_pairs_kernelI22helper_blocked_blockedN15benchmark_utils11custom_typeIiiEELj192ELj8ELj10EEvPKT0_PS4_: ; @_Z17sort_pairs_kernelI22helper_blocked_blockedN15benchmark_utils11custom_typeIiiEELj192ELj8ELj10EEvPKT0_PS4_
; %bb.0:
	s_load_dwordx4 s[36:39], s[4:5], 0x0
	s_load_dword s2, s[4:5], 0x1c
	s_mul_i32 s40, s6, 0x600
	s_mov_b32 s41, 0
	s_lshl_b64 s[34:35], s[40:41], 3
	s_waitcnt lgkmcnt(0)
	s_add_u32 s0, s36, s34
	s_addc_u32 s1, s37, s35
	v_lshlrev_b32_e32 v5, 3, v0
	v_mov_b32_e32 v3, s1
	v_add_co_u32_e32 v6, vcc, s0, v5
	v_addc_co_u32_e32 v7, vcc, 0, v3, vcc
	s_movk_i32 s3, 0x1000
	v_add_co_u32_e32 v3, vcc, s3, v6
	global_load_dwordx2 v[20:21], v5, s[0:1]
	v_addc_co_u32_e32 v4, vcc, 0, v7, vcc
	global_load_dwordx2 v[22:23], v5, s[0:1] offset:1536
	global_load_dwordx2 v[24:25], v5, s[0:1] offset:3072
	global_load_dwordx2 v[26:27], v[3:4], off offset:512
	global_load_dwordx2 v[28:29], v[3:4], off offset:2048
	;; [unrolled: 1-line block ×3, first 2 shown]
	s_movk_i32 s0, 0x2000
	v_add_co_u32_e32 v3, vcc, s0, v6
	v_addc_co_u32_e32 v4, vcc, 0, v7, vcc
	global_load_dwordx2 v[32:33], v[3:4], off offset:1024
	global_load_dwordx2 v[34:35], v[3:4], off offset:2560
	v_mbcnt_lo_u32_b32 v3, -1, 0
	s_movk_i32 s0, 0x600
	v_mbcnt_hi_u32_b32 v36, -1, v3
	v_and_or_b32 v4, v5, s0, v36
	s_lshr_b32 s0, s2, 16
	s_and_b32 s1, s2, 0xffff
	v_mad_u32_u24 v1, v2, s0, v1
	v_mad_u64_u32 v[1:2], s[0:1], v1, s1, v[0:1]
	v_and_b32_e32 v2, 15, v36
	v_and_b32_e32 v37, 0xc0, v0
	v_cmp_eq_u32_e64 s[0:1], 0, v2
	v_cmp_lt_u32_e64 s[2:3], 1, v2
	v_cmp_lt_u32_e64 s[4:5], 3, v2
	;; [unrolled: 1-line block ×3, first 2 shown]
	v_and_b32_e32 v2, 16, v36
	v_cmp_eq_u32_e64 s[8:9], 0, v2
	v_min_u32_e32 v2, 0x80, v37
	v_or_b32_e32 v2, 63, v2
	v_add_u32_e32 v3, v36, v37
	v_cmp_eq_u32_e64 s[12:13], v0, v2
	v_subrev_co_u32_e64 v2, s[18:19], 1, v36
	v_and_b32_e32 v37, 64, v36
	v_cmp_lt_i32_e32 vcc, v2, v37
	v_lshlrev_b32_e32 v5, 1, v3
	v_lshrrev_b32_e32 v6, 2, v4
	v_lshlrev_b32_e32 v38, 3, v4
	v_add_u32_e32 v7, 64, v4
	v_or_b32_e32 v8, 0x80, v4
	v_add_u32_e32 v9, 0xc0, v4
	v_or_b32_e32 v10, 0x100, v4
	;; [unrolled: 2-line block ×3, first 2 shown]
	v_add_u32_e32 v4, 0x1c0, v4
	v_cndmask_b32_e32 v2, v2, v36, vcc
	v_lshrrev_b32_e32 v1, 4, v1
	v_and_b32_e32 v5, 0x3f8, v5
	v_and_b32_e32 v6, 0x198, v6
	v_lshrrev_b32_e32 v7, 2, v7
	v_lshrrev_b32_e32 v8, 2, v8
	v_lshrrev_b32_e32 v9, 2, v9
	v_lshrrev_b32_e32 v10, 2, v10
	v_lshrrev_b32_e32 v11, 2, v11
	v_lshrrev_b32_e32 v12, 2, v12
	v_lshrrev_b32_e32 v39, 2, v4
	v_lshlrev_b32_e32 v77, 2, v2
	v_lshrrev_b32_e32 v2, 4, v0
	v_and_b32_e32 v80, 0xffffffc, v1
	v_lshlrev_b32_e32 v1, 1, v0
	v_lshl_add_u32 v67, v3, 6, v5
	v_add_u32_e32 v68, v6, v38
	v_and_b32_e32 v3, 0x1b8, v7
	v_and_b32_e32 v4, 0x1b8, v8
	;; [unrolled: 1-line block ×7, first 2 shown]
	v_lshlrev_b32_e32 v76, 4, v0
	v_cmp_lt_u32_e64 s[10:11], 31, v36
	v_and_b32_e32 v78, 12, v2
	v_mul_i32_i24_e32 v2, -12, v0
	v_and_b32_e32 v36, 3, v36
	v_and_b32_e32 v1, 0x1f8, v1
	v_mov_b32_e32 v19, 0
	v_add_u32_e32 v69, v3, v38
	v_add_u32_e32 v70, v4, v38
	;; [unrolled: 1-line block ×6, first 2 shown]
	s_waitcnt vmcnt(7)
	v_add_u32_e32 v16, 1, v21
	v_add_u32_e32 v15, 1, v20
	s_waitcnt vmcnt(6)
	v_add_u32_e32 v18, 1, v23
	v_add_u32_e32 v17, 1, v22
	;; [unrolled: 3-line block ×8, first 2 shown]
	v_add_u32_e32 v75, v39, v38
	v_cmp_gt_u32_e64 s[14:15], 3, v0
	v_cmp_lt_u32_e64 s[16:17], 63, v0
	v_cmp_eq_u32_e64 s[20:21], 0, v0
	v_cmp_eq_u32_e64 s[22:23], 0, v36
	v_cmp_lt_u32_e64 s[24:25], 1, v36
	v_add_u32_e32 v79, -4, v78
	v_lshl_add_u32 v81, v0, 6, v1
	v_add_u32_e32 v82, v76, v2
	s_branch .LBB167_2
.LBB167_1:                              ;   in Loop: Header=BB167_2 Depth=1
	s_barrier
	ds_write_b64 v20, v[33:34]
	ds_write_b64 v83, v[31:32]
	;; [unrolled: 1-line block ×8, first 2 shown]
	s_waitcnt lgkmcnt(0)
	s_barrier
	ds_read2_b64 v[21:24], v81 offset1:1
	ds_read2_b64 v[25:28], v81 offset0:2 offset1:3
	ds_read2_b64 v[29:32], v81 offset0:4 offset1:5
	;; [unrolled: 1-line block ×3, first 2 shown]
	s_waitcnt lgkmcnt(0)
	s_barrier
	ds_write_b64 v20, v[15:16]
	ds_write_b64 v83, v[13:14]
	;; [unrolled: 1-line block ×8, first 2 shown]
	s_waitcnt lgkmcnt(0)
	s_barrier
	ds_read2_b64 v[15:18], v81 offset1:1
	ds_read2_b64 v[11:14], v81 offset0:2 offset1:3
	ds_read2_b64 v[7:10], v81 offset0:4 offset1:5
	;; [unrolled: 1-line block ×3, first 2 shown]
	s_add_i32 s41, s41, 1
	v_xor_b32_e32 v20, 0x80000000, v21
	v_xor_b32_e32 v21, 0x80000000, v22
	;; [unrolled: 1-line block ×15, first 2 shown]
	s_cmp_lg_u32 s41, 10
	v_xor_b32_e32 v35, 0x80000000, v36
	s_cbranch_scc0 .LBB167_28
.LBB167_2:                              ; =>This Loop Header: Depth=1
                                        ;     Child Loop BB167_4 Depth 2
	v_xor_b32_e32 v2, 0x80000000, v21
	v_xor_b32_e32 v1, 0x80000000, v20
	;; [unrolled: 1-line block ×16, first 2 shown]
	ds_write2_b64 v67, v[1:2], v[20:21] offset1:1
	ds_write2_b64 v67, v[22:23], v[24:25] offset0:2 offset1:3
	ds_write2_b64 v67, v[26:27], v[28:29] offset0:4 offset1:5
	;; [unrolled: 1-line block ×3, first 2 shown]
	; wave barrier
	ds_read_b64 v[35:36], v68
	ds_read_b64 v[37:38], v69 offset:512
	ds_read_b64 v[39:40], v70 offset:1024
	;; [unrolled: 1-line block ×7, first 2 shown]
	; wave barrier
	s_waitcnt lgkmcnt(14)
	ds_write2_b64 v67, v[15:16], v[17:18] offset1:1
	ds_write2_b64 v67, v[11:12], v[13:14] offset0:2 offset1:3
	s_waitcnt lgkmcnt(14)
	ds_write2_b64 v67, v[7:8], v[9:10] offset0:4 offset1:5
	ds_write2_b64 v67, v[3:4], v[5:6] offset0:6 offset1:7
	; wave barrier
	ds_read_b64 v[51:52], v68
	ds_read_b64 v[53:54], v69 offset:512
	ds_read_b64 v[55:56], v70 offset:1024
	ds_read_b64 v[57:58], v71 offset:1536
	ds_read_b64 v[59:60], v72 offset:2048
	ds_read_b64 v[61:62], v73 offset:2560
	ds_read_b64 v[63:64], v74 offset:3072
	ds_read_b64 v[65:66], v75 offset:3584
	s_mov_b32 s33, 8
	s_mov_b32 s36, 32
	;; [unrolled: 1-line block ×3, first 2 shown]
	s_waitcnt lgkmcnt(0)
	s_barrier
	s_branch .LBB167_4
.LBB167_3:                              ;   in Loop: Header=BB167_4 Depth=2
	s_andn2_b64 vcc, exec, s[26:27]
	s_cbranch_vccz .LBB167_1
.LBB167_4:                              ;   Parent Loop BB167_2 Depth=1
                                        ; =>  This Inner Loop Header: Depth=2
	s_min_i32 s28, s33, 32
	s_cmp_lt_u32 s37, 32
	s_cselect_b64 s[26:27], -1, 0
	s_cmp_gt_u32 s37, 31
	s_cselect_b64 vcc, -1, 0
	s_sub_i32 s28, s28, 32
	s_add_i32 s29, s28, s36
	s_lshl_b32 s29, -1, s29
	s_not_b32 s29, s29
	s_cmp_lg_u32 s28, s37
	s_cselect_b32 s42, s29, -1
	s_max_i32 s40, s36, 0
	s_max_i32 s28, s37, 32
	s_sub_i32 s43, s28, 32
	s_sub_i32 s28, s28, s40
	s_sub_i32 s28, s28, 24
	s_min_i32 s28, s28, 32
	s_sub_i32 s28, s28, s43
	s_lshl_b32 s29, -1, s28
	s_not_b32 s29, s29
	v_mov_b32_e32 v33, v35
	s_cmp_lg_u32 s28, 32
	v_mov_b32_e32 v34, v36
	s_cselect_b32 s44, s29, -1
	v_lshrrev_b32_e32 v35, s43, v33
	v_lshrrev_b32_e32 v20, s37, v34
	v_and_b32_e32 v35, s44, v35
	v_and_b32_e32 v20, s42, v20
	v_lshlrev_b32_e32 v35, s40, v35
	v_cndmask_b32_e64 v20, 0, v20, s[26:27]
	v_cndmask_b32_e32 v35, 0, v35, vcc
	v_or_b32_e32 v35, v20, v35
	v_and_b32_e32 v20, 1, v35
	v_mov_b32_e32 v31, v37
	v_add_co_u32_e64 v36, s[28:29], -1, v20
	v_mov_b32_e32 v32, v38
	v_addc_co_u32_e64 v38, s[28:29], 0, -1, s[28:29]
	v_cmp_ne_u32_e64 s[28:29], 0, v20
	v_xor_b32_e32 v20, s29, v38
	v_and_b32_e32 v38, exec_hi, v20
	v_lshlrev_b32_e32 v20, 30, v35
	v_xor_b32_e32 v36, s28, v36
	v_cmp_gt_i64_e64 s[28:29], 0, v[19:20]
	v_not_b32_e32 v20, v20
	v_mov_b32_e32 v29, v39
	v_ashrrev_i32_e32 v20, 31, v20
	v_mov_b32_e32 v30, v40
	v_and_b32_e32 v36, exec_lo, v36
	v_xor_b32_e32 v39, s29, v20
	v_xor_b32_e32 v20, s28, v20
	v_and_b32_e32 v36, v36, v20
	v_lshlrev_b32_e32 v20, 29, v35
	v_cmp_gt_i64_e64 s[28:29], 0, v[19:20]
	v_not_b32_e32 v20, v20
	v_ashrrev_i32_e32 v20, 31, v20
	v_and_b32_e32 v38, v38, v39
	v_xor_b32_e32 v39, s29, v20
	v_xor_b32_e32 v20, s28, v20
	v_and_b32_e32 v36, v36, v20
	v_lshlrev_b32_e32 v20, 28, v35
	v_cmp_gt_i64_e64 s[28:29], 0, v[19:20]
	v_not_b32_e32 v20, v20
	v_ashrrev_i32_e32 v20, 31, v20
	v_and_b32_e32 v38, v38, v39
	;; [unrolled: 8-line block ×5, first 2 shown]
	v_xor_b32_e32 v39, s29, v20
	v_xor_b32_e32 v20, s28, v20
	v_and_b32_e32 v38, v38, v39
	v_and_b32_e32 v39, v36, v20
	v_lshlrev_b32_e32 v20, 24, v35
	v_cmp_gt_i64_e64 s[28:29], 0, v[19:20]
	v_not_b32_e32 v20, v20
	v_ashrrev_i32_e32 v20, 31, v20
	v_mul_lo_u32 v37, v35, 12
	v_xor_b32_e32 v35, s29, v20
	v_xor_b32_e32 v20, s28, v20
	v_and_b32_e32 v36, v38, v35
	v_and_b32_e32 v35, v39, v20
	v_mbcnt_lo_u32_b32 v20, v35, 0
	v_mbcnt_hi_u32_b32 v39, v36, v20
	v_cmp_ne_u64_e64 s[28:29], 0, v[35:36]
	v_mov_b32_e32 v15, v51
	v_mov_b32_e32 v13, v53
	v_mov_b32_e32 v11, v55
	v_mov_b32_e32 v9, v57
	v_mov_b32_e32 v7, v59
	v_mov_b32_e32 v5, v61
	v_mov_b32_e32 v3, v63
	v_mov_b32_e32 v1, v65
	v_mov_b32_e32 v27, v41
	v_mov_b32_e32 v25, v43
	v_mov_b32_e32 v23, v45
	v_mov_b32_e32 v21, v47
	v_mov_b32_e32 v17, v49
	v_cmp_eq_u32_e64 s[30:31], 0, v39
	v_mov_b32_e32 v16, v52
	v_mov_b32_e32 v14, v54
	;; [unrolled: 1-line block ×13, first 2 shown]
	s_and_b64 s[30:31], s[30:31], s[28:29]
	v_add_u32_e32 v40, v80, v37
	ds_write2_b32 v76, v19, v19 offset0:3 offset1:4
	ds_write2_b32 v76, v19, v19 offset0:5 offset1:6
	s_waitcnt lgkmcnt(0)
	s_barrier
	; wave barrier
	s_and_saveexec_b64 s[28:29], s[30:31]
; %bb.5:                                ;   in Loop: Header=BB167_4 Depth=2
	v_bcnt_u32_b32 v20, v35, 0
	v_bcnt_u32_b32 v20, v36, v20
	ds_write_b32 v40, v20 offset:12
; %bb.6:                                ;   in Loop: Header=BB167_4 Depth=2
	s_or_b64 exec, exec, s[28:29]
	v_lshrrev_b32_e32 v35, s43, v31
	v_lshrrev_b32_e32 v20, s37, v32
	v_and_b32_e32 v35, s44, v35
	v_and_b32_e32 v20, s42, v20
	v_lshlrev_b32_e32 v35, s40, v35
	v_cndmask_b32_e64 v20, 0, v20, s[26:27]
	v_cndmask_b32_e32 v35, 0, v35, vcc
	v_or_b32_e32 v35, v20, v35
	v_mul_lo_u32 v20, v35, 12
	; wave barrier
	v_add_u32_e32 v42, v80, v20
	v_and_b32_e32 v20, 1, v35
	v_add_co_u32_e64 v36, s[28:29], -1, v20
	v_addc_co_u32_e64 v37, s[28:29], 0, -1, s[28:29]
	v_cmp_ne_u32_e64 s[28:29], 0, v20
	v_xor_b32_e32 v20, s29, v37
	v_and_b32_e32 v37, exec_hi, v20
	v_lshlrev_b32_e32 v20, 30, v35
	v_xor_b32_e32 v36, s28, v36
	v_cmp_gt_i64_e64 s[28:29], 0, v[19:20]
	v_not_b32_e32 v20, v20
	v_ashrrev_i32_e32 v20, 31, v20
	v_and_b32_e32 v36, exec_lo, v36
	v_xor_b32_e32 v38, s29, v20
	v_xor_b32_e32 v20, s28, v20
	v_and_b32_e32 v36, v36, v20
	v_lshlrev_b32_e32 v20, 29, v35
	v_cmp_gt_i64_e64 s[28:29], 0, v[19:20]
	v_not_b32_e32 v20, v20
	v_ashrrev_i32_e32 v20, 31, v20
	v_and_b32_e32 v37, v37, v38
	v_xor_b32_e32 v38, s29, v20
	v_xor_b32_e32 v20, s28, v20
	v_and_b32_e32 v36, v36, v20
	v_lshlrev_b32_e32 v20, 28, v35
	v_cmp_gt_i64_e64 s[28:29], 0, v[19:20]
	v_not_b32_e32 v20, v20
	v_ashrrev_i32_e32 v20, 31, v20
	v_and_b32_e32 v37, v37, v38
	;; [unrolled: 8-line block ×5, first 2 shown]
	v_xor_b32_e32 v38, s29, v20
	v_xor_b32_e32 v20, s28, v20
	v_and_b32_e32 v37, v37, v38
	v_and_b32_e32 v38, v36, v20
	v_lshlrev_b32_e32 v20, 24, v35
	v_cmp_gt_i64_e64 s[28:29], 0, v[19:20]
	v_not_b32_e32 v20, v20
	v_ashrrev_i32_e32 v20, 31, v20
	v_xor_b32_e32 v35, s29, v20
	v_xor_b32_e32 v20, s28, v20
	ds_read_b32 v41, v42 offset:12
	v_and_b32_e32 v36, v37, v35
	v_and_b32_e32 v35, v38, v20
	v_mbcnt_lo_u32_b32 v20, v35, 0
	v_mbcnt_hi_u32_b32 v43, v36, v20
	v_cmp_ne_u64_e64 s[28:29], 0, v[35:36]
	v_cmp_eq_u32_e64 s[30:31], 0, v43
	s_and_b64 s[30:31], s[30:31], s[28:29]
	; wave barrier
	s_and_saveexec_b64 s[28:29], s[30:31]
	s_cbranch_execz .LBB167_8
; %bb.7:                                ;   in Loop: Header=BB167_4 Depth=2
	v_bcnt_u32_b32 v20, v35, 0
	v_bcnt_u32_b32 v20, v36, v20
	s_waitcnt lgkmcnt(0)
	v_add_u32_e32 v20, v41, v20
	ds_write_b32 v42, v20 offset:12
.LBB167_8:                              ;   in Loop: Header=BB167_4 Depth=2
	s_or_b64 exec, exec, s[28:29]
	v_lshrrev_b32_e32 v35, s43, v29
	v_lshrrev_b32_e32 v20, s37, v30
	v_and_b32_e32 v35, s44, v35
	v_and_b32_e32 v20, s42, v20
	v_lshlrev_b32_e32 v35, s40, v35
	v_cndmask_b32_e64 v20, 0, v20, s[26:27]
	v_cndmask_b32_e32 v35, 0, v35, vcc
	v_or_b32_e32 v35, v20, v35
	v_mul_lo_u32 v20, v35, 12
	; wave barrier
	v_add_u32_e32 v45, v80, v20
	v_and_b32_e32 v20, 1, v35
	v_add_co_u32_e64 v36, s[28:29], -1, v20
	v_addc_co_u32_e64 v37, s[28:29], 0, -1, s[28:29]
	v_cmp_ne_u32_e64 s[28:29], 0, v20
	v_xor_b32_e32 v20, s29, v37
	v_and_b32_e32 v37, exec_hi, v20
	v_lshlrev_b32_e32 v20, 30, v35
	v_xor_b32_e32 v36, s28, v36
	v_cmp_gt_i64_e64 s[28:29], 0, v[19:20]
	v_not_b32_e32 v20, v20
	v_ashrrev_i32_e32 v20, 31, v20
	v_and_b32_e32 v36, exec_lo, v36
	v_xor_b32_e32 v38, s29, v20
	v_xor_b32_e32 v20, s28, v20
	v_and_b32_e32 v36, v36, v20
	v_lshlrev_b32_e32 v20, 29, v35
	v_cmp_gt_i64_e64 s[28:29], 0, v[19:20]
	v_not_b32_e32 v20, v20
	v_ashrrev_i32_e32 v20, 31, v20
	v_and_b32_e32 v37, v37, v38
	v_xor_b32_e32 v38, s29, v20
	v_xor_b32_e32 v20, s28, v20
	v_and_b32_e32 v36, v36, v20
	v_lshlrev_b32_e32 v20, 28, v35
	v_cmp_gt_i64_e64 s[28:29], 0, v[19:20]
	v_not_b32_e32 v20, v20
	v_ashrrev_i32_e32 v20, 31, v20
	v_and_b32_e32 v37, v37, v38
	;; [unrolled: 8-line block ×5, first 2 shown]
	v_xor_b32_e32 v38, s29, v20
	v_xor_b32_e32 v20, s28, v20
	v_and_b32_e32 v37, v37, v38
	v_and_b32_e32 v38, v36, v20
	v_lshlrev_b32_e32 v20, 24, v35
	v_cmp_gt_i64_e64 s[28:29], 0, v[19:20]
	v_not_b32_e32 v20, v20
	v_ashrrev_i32_e32 v20, 31, v20
	v_xor_b32_e32 v35, s29, v20
	v_xor_b32_e32 v20, s28, v20
	ds_read_b32 v44, v45 offset:12
	v_and_b32_e32 v36, v37, v35
	v_and_b32_e32 v35, v38, v20
	v_mbcnt_lo_u32_b32 v20, v35, 0
	v_mbcnt_hi_u32_b32 v46, v36, v20
	v_cmp_ne_u64_e64 s[28:29], 0, v[35:36]
	v_cmp_eq_u32_e64 s[30:31], 0, v46
	s_and_b64 s[30:31], s[30:31], s[28:29]
	; wave barrier
	s_and_saveexec_b64 s[28:29], s[30:31]
	s_cbranch_execz .LBB167_10
; %bb.9:                                ;   in Loop: Header=BB167_4 Depth=2
	v_bcnt_u32_b32 v20, v35, 0
	v_bcnt_u32_b32 v20, v36, v20
	s_waitcnt lgkmcnt(0)
	v_add_u32_e32 v20, v44, v20
	ds_write_b32 v45, v20 offset:12
.LBB167_10:                             ;   in Loop: Header=BB167_4 Depth=2
	s_or_b64 exec, exec, s[28:29]
	v_lshrrev_b32_e32 v35, s43, v27
	v_lshrrev_b32_e32 v20, s37, v28
	v_and_b32_e32 v35, s44, v35
	v_and_b32_e32 v20, s42, v20
	v_lshlrev_b32_e32 v35, s40, v35
	v_cndmask_b32_e64 v20, 0, v20, s[26:27]
	v_cndmask_b32_e32 v35, 0, v35, vcc
	v_or_b32_e32 v35, v20, v35
	v_mul_lo_u32 v20, v35, 12
	; wave barrier
	v_add_u32_e32 v48, v80, v20
	v_and_b32_e32 v20, 1, v35
	v_add_co_u32_e64 v36, s[28:29], -1, v20
	v_addc_co_u32_e64 v37, s[28:29], 0, -1, s[28:29]
	v_cmp_ne_u32_e64 s[28:29], 0, v20
	v_xor_b32_e32 v20, s29, v37
	v_and_b32_e32 v37, exec_hi, v20
	v_lshlrev_b32_e32 v20, 30, v35
	v_xor_b32_e32 v36, s28, v36
	v_cmp_gt_i64_e64 s[28:29], 0, v[19:20]
	v_not_b32_e32 v20, v20
	v_ashrrev_i32_e32 v20, 31, v20
	v_and_b32_e32 v36, exec_lo, v36
	v_xor_b32_e32 v38, s29, v20
	v_xor_b32_e32 v20, s28, v20
	v_and_b32_e32 v36, v36, v20
	v_lshlrev_b32_e32 v20, 29, v35
	v_cmp_gt_i64_e64 s[28:29], 0, v[19:20]
	v_not_b32_e32 v20, v20
	v_ashrrev_i32_e32 v20, 31, v20
	v_and_b32_e32 v37, v37, v38
	v_xor_b32_e32 v38, s29, v20
	v_xor_b32_e32 v20, s28, v20
	v_and_b32_e32 v36, v36, v20
	v_lshlrev_b32_e32 v20, 28, v35
	v_cmp_gt_i64_e64 s[28:29], 0, v[19:20]
	v_not_b32_e32 v20, v20
	v_ashrrev_i32_e32 v20, 31, v20
	v_and_b32_e32 v37, v37, v38
	;; [unrolled: 8-line block ×5, first 2 shown]
	v_xor_b32_e32 v38, s29, v20
	v_xor_b32_e32 v20, s28, v20
	v_and_b32_e32 v37, v37, v38
	v_and_b32_e32 v38, v36, v20
	v_lshlrev_b32_e32 v20, 24, v35
	v_cmp_gt_i64_e64 s[28:29], 0, v[19:20]
	v_not_b32_e32 v20, v20
	v_ashrrev_i32_e32 v20, 31, v20
	v_xor_b32_e32 v35, s29, v20
	v_xor_b32_e32 v20, s28, v20
	ds_read_b32 v47, v48 offset:12
	v_and_b32_e32 v36, v37, v35
	v_and_b32_e32 v35, v38, v20
	v_mbcnt_lo_u32_b32 v20, v35, 0
	v_mbcnt_hi_u32_b32 v49, v36, v20
	v_cmp_ne_u64_e64 s[28:29], 0, v[35:36]
	v_cmp_eq_u32_e64 s[30:31], 0, v49
	s_and_b64 s[30:31], s[30:31], s[28:29]
	; wave barrier
	s_and_saveexec_b64 s[28:29], s[30:31]
	s_cbranch_execz .LBB167_12
; %bb.11:                               ;   in Loop: Header=BB167_4 Depth=2
	v_bcnt_u32_b32 v20, v35, 0
	v_bcnt_u32_b32 v20, v36, v20
	s_waitcnt lgkmcnt(0)
	v_add_u32_e32 v20, v47, v20
	ds_write_b32 v48, v20 offset:12
.LBB167_12:                             ;   in Loop: Header=BB167_4 Depth=2
	s_or_b64 exec, exec, s[28:29]
	v_lshrrev_b32_e32 v35, s43, v25
	v_lshrrev_b32_e32 v20, s37, v26
	v_and_b32_e32 v35, s44, v35
	v_and_b32_e32 v20, s42, v20
	v_lshlrev_b32_e32 v35, s40, v35
	v_cndmask_b32_e64 v20, 0, v20, s[26:27]
	v_cndmask_b32_e32 v35, 0, v35, vcc
	v_or_b32_e32 v35, v20, v35
	v_mul_lo_u32 v20, v35, 12
	; wave barrier
	v_add_u32_e32 v51, v80, v20
	v_and_b32_e32 v20, 1, v35
	v_add_co_u32_e64 v36, s[28:29], -1, v20
	v_addc_co_u32_e64 v37, s[28:29], 0, -1, s[28:29]
	v_cmp_ne_u32_e64 s[28:29], 0, v20
	v_xor_b32_e32 v20, s29, v37
	v_and_b32_e32 v37, exec_hi, v20
	v_lshlrev_b32_e32 v20, 30, v35
	v_xor_b32_e32 v36, s28, v36
	v_cmp_gt_i64_e64 s[28:29], 0, v[19:20]
	v_not_b32_e32 v20, v20
	v_ashrrev_i32_e32 v20, 31, v20
	v_and_b32_e32 v36, exec_lo, v36
	v_xor_b32_e32 v38, s29, v20
	v_xor_b32_e32 v20, s28, v20
	v_and_b32_e32 v36, v36, v20
	v_lshlrev_b32_e32 v20, 29, v35
	v_cmp_gt_i64_e64 s[28:29], 0, v[19:20]
	v_not_b32_e32 v20, v20
	v_ashrrev_i32_e32 v20, 31, v20
	v_and_b32_e32 v37, v37, v38
	v_xor_b32_e32 v38, s29, v20
	v_xor_b32_e32 v20, s28, v20
	v_and_b32_e32 v36, v36, v20
	v_lshlrev_b32_e32 v20, 28, v35
	v_cmp_gt_i64_e64 s[28:29], 0, v[19:20]
	v_not_b32_e32 v20, v20
	v_ashrrev_i32_e32 v20, 31, v20
	v_and_b32_e32 v37, v37, v38
	;; [unrolled: 8-line block ×5, first 2 shown]
	v_xor_b32_e32 v38, s29, v20
	v_xor_b32_e32 v20, s28, v20
	v_and_b32_e32 v37, v37, v38
	v_and_b32_e32 v38, v36, v20
	v_lshlrev_b32_e32 v20, 24, v35
	v_cmp_gt_i64_e64 s[28:29], 0, v[19:20]
	v_not_b32_e32 v20, v20
	v_ashrrev_i32_e32 v20, 31, v20
	v_xor_b32_e32 v35, s29, v20
	v_xor_b32_e32 v20, s28, v20
	ds_read_b32 v50, v51 offset:12
	v_and_b32_e32 v36, v37, v35
	v_and_b32_e32 v35, v38, v20
	v_mbcnt_lo_u32_b32 v20, v35, 0
	v_mbcnt_hi_u32_b32 v52, v36, v20
	v_cmp_ne_u64_e64 s[28:29], 0, v[35:36]
	v_cmp_eq_u32_e64 s[30:31], 0, v52
	s_and_b64 s[30:31], s[30:31], s[28:29]
	; wave barrier
	s_and_saveexec_b64 s[28:29], s[30:31]
	s_cbranch_execz .LBB167_14
; %bb.13:                               ;   in Loop: Header=BB167_4 Depth=2
	v_bcnt_u32_b32 v20, v35, 0
	v_bcnt_u32_b32 v20, v36, v20
	s_waitcnt lgkmcnt(0)
	v_add_u32_e32 v20, v50, v20
	ds_write_b32 v51, v20 offset:12
.LBB167_14:                             ;   in Loop: Header=BB167_4 Depth=2
	s_or_b64 exec, exec, s[28:29]
	v_lshrrev_b32_e32 v35, s43, v23
	v_lshrrev_b32_e32 v20, s37, v24
	v_and_b32_e32 v35, s44, v35
	v_and_b32_e32 v20, s42, v20
	v_lshlrev_b32_e32 v35, s40, v35
	v_cndmask_b32_e64 v20, 0, v20, s[26:27]
	v_cndmask_b32_e32 v35, 0, v35, vcc
	v_or_b32_e32 v35, v20, v35
	v_mul_lo_u32 v20, v35, 12
	; wave barrier
	v_add_u32_e32 v54, v80, v20
	v_and_b32_e32 v20, 1, v35
	v_add_co_u32_e64 v36, s[28:29], -1, v20
	v_addc_co_u32_e64 v37, s[28:29], 0, -1, s[28:29]
	v_cmp_ne_u32_e64 s[28:29], 0, v20
	v_xor_b32_e32 v20, s29, v37
	v_and_b32_e32 v37, exec_hi, v20
	v_lshlrev_b32_e32 v20, 30, v35
	v_xor_b32_e32 v36, s28, v36
	v_cmp_gt_i64_e64 s[28:29], 0, v[19:20]
	v_not_b32_e32 v20, v20
	v_ashrrev_i32_e32 v20, 31, v20
	v_and_b32_e32 v36, exec_lo, v36
	v_xor_b32_e32 v38, s29, v20
	v_xor_b32_e32 v20, s28, v20
	v_and_b32_e32 v36, v36, v20
	v_lshlrev_b32_e32 v20, 29, v35
	v_cmp_gt_i64_e64 s[28:29], 0, v[19:20]
	v_not_b32_e32 v20, v20
	v_ashrrev_i32_e32 v20, 31, v20
	v_and_b32_e32 v37, v37, v38
	v_xor_b32_e32 v38, s29, v20
	v_xor_b32_e32 v20, s28, v20
	v_and_b32_e32 v36, v36, v20
	v_lshlrev_b32_e32 v20, 28, v35
	v_cmp_gt_i64_e64 s[28:29], 0, v[19:20]
	v_not_b32_e32 v20, v20
	v_ashrrev_i32_e32 v20, 31, v20
	v_and_b32_e32 v37, v37, v38
	;; [unrolled: 8-line block ×5, first 2 shown]
	v_xor_b32_e32 v38, s29, v20
	v_xor_b32_e32 v20, s28, v20
	v_and_b32_e32 v37, v37, v38
	v_and_b32_e32 v38, v36, v20
	v_lshlrev_b32_e32 v20, 24, v35
	v_cmp_gt_i64_e64 s[28:29], 0, v[19:20]
	v_not_b32_e32 v20, v20
	v_ashrrev_i32_e32 v20, 31, v20
	v_xor_b32_e32 v35, s29, v20
	v_xor_b32_e32 v20, s28, v20
	ds_read_b32 v53, v54 offset:12
	v_and_b32_e32 v36, v37, v35
	v_and_b32_e32 v35, v38, v20
	v_mbcnt_lo_u32_b32 v20, v35, 0
	v_mbcnt_hi_u32_b32 v55, v36, v20
	v_cmp_ne_u64_e64 s[28:29], 0, v[35:36]
	v_cmp_eq_u32_e64 s[30:31], 0, v55
	s_and_b64 s[30:31], s[30:31], s[28:29]
	; wave barrier
	s_and_saveexec_b64 s[28:29], s[30:31]
	s_cbranch_execz .LBB167_16
; %bb.15:                               ;   in Loop: Header=BB167_4 Depth=2
	v_bcnt_u32_b32 v20, v35, 0
	v_bcnt_u32_b32 v20, v36, v20
	s_waitcnt lgkmcnt(0)
	v_add_u32_e32 v20, v53, v20
	ds_write_b32 v54, v20 offset:12
.LBB167_16:                             ;   in Loop: Header=BB167_4 Depth=2
	s_or_b64 exec, exec, s[28:29]
	v_lshrrev_b32_e32 v35, s43, v21
	v_lshrrev_b32_e32 v20, s37, v22
	v_and_b32_e32 v35, s44, v35
	v_and_b32_e32 v20, s42, v20
	v_lshlrev_b32_e32 v35, s40, v35
	v_cndmask_b32_e64 v20, 0, v20, s[26:27]
	v_cndmask_b32_e32 v35, 0, v35, vcc
	v_or_b32_e32 v35, v20, v35
	v_mul_lo_u32 v20, v35, 12
	; wave barrier
	v_add_u32_e32 v57, v80, v20
	v_and_b32_e32 v20, 1, v35
	v_add_co_u32_e64 v36, s[28:29], -1, v20
	v_addc_co_u32_e64 v37, s[28:29], 0, -1, s[28:29]
	v_cmp_ne_u32_e64 s[28:29], 0, v20
	v_xor_b32_e32 v20, s29, v37
	v_and_b32_e32 v37, exec_hi, v20
	v_lshlrev_b32_e32 v20, 30, v35
	v_xor_b32_e32 v36, s28, v36
	v_cmp_gt_i64_e64 s[28:29], 0, v[19:20]
	v_not_b32_e32 v20, v20
	v_ashrrev_i32_e32 v20, 31, v20
	v_and_b32_e32 v36, exec_lo, v36
	v_xor_b32_e32 v38, s29, v20
	v_xor_b32_e32 v20, s28, v20
	v_and_b32_e32 v36, v36, v20
	v_lshlrev_b32_e32 v20, 29, v35
	v_cmp_gt_i64_e64 s[28:29], 0, v[19:20]
	v_not_b32_e32 v20, v20
	v_ashrrev_i32_e32 v20, 31, v20
	v_and_b32_e32 v37, v37, v38
	v_xor_b32_e32 v38, s29, v20
	v_xor_b32_e32 v20, s28, v20
	v_and_b32_e32 v36, v36, v20
	v_lshlrev_b32_e32 v20, 28, v35
	v_cmp_gt_i64_e64 s[28:29], 0, v[19:20]
	v_not_b32_e32 v20, v20
	v_ashrrev_i32_e32 v20, 31, v20
	v_and_b32_e32 v37, v37, v38
	;; [unrolled: 8-line block ×5, first 2 shown]
	v_xor_b32_e32 v38, s29, v20
	v_xor_b32_e32 v20, s28, v20
	v_and_b32_e32 v37, v37, v38
	v_and_b32_e32 v38, v36, v20
	v_lshlrev_b32_e32 v20, 24, v35
	v_cmp_gt_i64_e64 s[28:29], 0, v[19:20]
	v_not_b32_e32 v20, v20
	v_ashrrev_i32_e32 v20, 31, v20
	v_xor_b32_e32 v35, s29, v20
	v_xor_b32_e32 v20, s28, v20
	ds_read_b32 v56, v57 offset:12
	v_and_b32_e32 v36, v37, v35
	v_and_b32_e32 v35, v38, v20
	v_mbcnt_lo_u32_b32 v20, v35, 0
	v_mbcnt_hi_u32_b32 v58, v36, v20
	v_cmp_ne_u64_e64 s[28:29], 0, v[35:36]
	v_cmp_eq_u32_e64 s[30:31], 0, v58
	s_and_b64 s[30:31], s[30:31], s[28:29]
	; wave barrier
	s_and_saveexec_b64 s[28:29], s[30:31]
	s_cbranch_execz .LBB167_18
; %bb.17:                               ;   in Loop: Header=BB167_4 Depth=2
	v_bcnt_u32_b32 v20, v35, 0
	v_bcnt_u32_b32 v20, v36, v20
	s_waitcnt lgkmcnt(0)
	v_add_u32_e32 v20, v56, v20
	ds_write_b32 v57, v20 offset:12
.LBB167_18:                             ;   in Loop: Header=BB167_4 Depth=2
	s_or_b64 exec, exec, s[28:29]
	v_lshrrev_b32_e32 v35, s43, v17
	v_lshrrev_b32_e32 v20, s37, v18
	v_and_b32_e32 v35, s44, v35
	v_and_b32_e32 v20, s42, v20
	v_lshlrev_b32_e32 v35, s40, v35
	v_cndmask_b32_e64 v20, 0, v20, s[26:27]
	v_cndmask_b32_e32 v35, 0, v35, vcc
	v_or_b32_e32 v35, v20, v35
	v_mul_lo_u32 v20, v35, 12
	; wave barrier
	v_add_u32_e32 v60, v80, v20
	v_and_b32_e32 v20, 1, v35
	v_add_co_u32_e32 v36, vcc, -1, v20
	v_addc_co_u32_e64 v37, s[26:27], 0, -1, vcc
	v_cmp_ne_u32_e32 vcc, 0, v20
	v_xor_b32_e32 v20, vcc_hi, v37
	v_and_b32_e32 v37, exec_hi, v20
	v_lshlrev_b32_e32 v20, 30, v35
	v_xor_b32_e32 v36, vcc_lo, v36
	v_cmp_gt_i64_e32 vcc, 0, v[19:20]
	v_not_b32_e32 v20, v20
	v_ashrrev_i32_e32 v20, 31, v20
	v_and_b32_e32 v36, exec_lo, v36
	v_xor_b32_e32 v38, vcc_hi, v20
	v_xor_b32_e32 v20, vcc_lo, v20
	v_and_b32_e32 v36, v36, v20
	v_lshlrev_b32_e32 v20, 29, v35
	v_cmp_gt_i64_e32 vcc, 0, v[19:20]
	v_not_b32_e32 v20, v20
	v_ashrrev_i32_e32 v20, 31, v20
	v_and_b32_e32 v37, v37, v38
	v_xor_b32_e32 v38, vcc_hi, v20
	v_xor_b32_e32 v20, vcc_lo, v20
	v_and_b32_e32 v36, v36, v20
	v_lshlrev_b32_e32 v20, 28, v35
	v_cmp_gt_i64_e32 vcc, 0, v[19:20]
	v_not_b32_e32 v20, v20
	v_ashrrev_i32_e32 v20, 31, v20
	v_and_b32_e32 v37, v37, v38
	;; [unrolled: 8-line block ×5, first 2 shown]
	v_xor_b32_e32 v38, vcc_hi, v20
	v_xor_b32_e32 v20, vcc_lo, v20
	v_and_b32_e32 v37, v37, v38
	v_and_b32_e32 v38, v36, v20
	v_lshlrev_b32_e32 v20, 24, v35
	v_cmp_gt_i64_e32 vcc, 0, v[19:20]
	v_not_b32_e32 v20, v20
	v_ashrrev_i32_e32 v20, 31, v20
	v_xor_b32_e32 v35, vcc_hi, v20
	v_xor_b32_e32 v20, vcc_lo, v20
	ds_read_b32 v59, v60 offset:12
	v_and_b32_e32 v36, v37, v35
	v_and_b32_e32 v35, v38, v20
	v_mbcnt_lo_u32_b32 v20, v35, 0
	v_mbcnt_hi_u32_b32 v20, v36, v20
	v_cmp_ne_u64_e32 vcc, 0, v[35:36]
	v_cmp_eq_u32_e64 s[26:27], 0, v20
	s_and_b64 s[28:29], s[26:27], vcc
	; wave barrier
	s_and_saveexec_b64 s[26:27], s[28:29]
	s_cbranch_execz .LBB167_20
; %bb.19:                               ;   in Loop: Header=BB167_4 Depth=2
	v_bcnt_u32_b32 v35, v35, 0
	v_bcnt_u32_b32 v35, v36, v35
	s_waitcnt lgkmcnt(0)
	v_add_u32_e32 v35, v59, v35
	ds_write_b32 v60, v35 offset:12
.LBB167_20:                             ;   in Loop: Header=BB167_4 Depth=2
	s_or_b64 exec, exec, s[26:27]
	; wave barrier
	s_waitcnt lgkmcnt(0)
	s_barrier
	ds_read2_b32 v[37:38], v76 offset0:3 offset1:4
	ds_read2_b32 v[35:36], v76 offset0:5 offset1:6
	s_waitcnt lgkmcnt(1)
	v_add_u32_e32 v61, v38, v37
	s_waitcnt lgkmcnt(0)
	v_add3_u32 v36, v61, v35, v36
	s_nop 1
	v_mov_b32_dpp v61, v36 row_shr:1 row_mask:0xf bank_mask:0xf
	v_cndmask_b32_e64 v61, v61, 0, s[0:1]
	v_add_u32_e32 v36, v61, v36
	s_nop 1
	v_mov_b32_dpp v61, v36 row_shr:2 row_mask:0xf bank_mask:0xf
	v_cndmask_b32_e64 v61, 0, v61, s[2:3]
	v_add_u32_e32 v36, v36, v61
	;; [unrolled: 4-line block ×4, first 2 shown]
	s_nop 1
	v_mov_b32_dpp v61, v36 row_bcast:15 row_mask:0xf bank_mask:0xf
	v_cndmask_b32_e64 v61, v61, 0, s[8:9]
	v_add_u32_e32 v36, v36, v61
	s_nop 1
	v_mov_b32_dpp v61, v36 row_bcast:31 row_mask:0xf bank_mask:0xf
	v_cndmask_b32_e64 v61, 0, v61, s[10:11]
	v_add_u32_e32 v36, v36, v61
	s_and_saveexec_b64 s[26:27], s[12:13]
; %bb.21:                               ;   in Loop: Header=BB167_4 Depth=2
	ds_write_b32 v78, v36
; %bb.22:                               ;   in Loop: Header=BB167_4 Depth=2
	s_or_b64 exec, exec, s[26:27]
	s_waitcnt lgkmcnt(0)
	s_barrier
	s_and_saveexec_b64 s[26:27], s[14:15]
	s_cbranch_execz .LBB167_24
; %bb.23:                               ;   in Loop: Header=BB167_4 Depth=2
	ds_read_b32 v61, v82
	s_waitcnt lgkmcnt(0)
	s_nop 0
	v_mov_b32_dpp v62, v61 row_shr:1 row_mask:0xf bank_mask:0xf
	v_cndmask_b32_e64 v62, v62, 0, s[22:23]
	v_add_u32_e32 v61, v62, v61
	s_nop 1
	v_mov_b32_dpp v62, v61 row_shr:2 row_mask:0xf bank_mask:0xf
	v_cndmask_b32_e64 v62, 0, v62, s[24:25]
	v_add_u32_e32 v61, v61, v62
	ds_write_b32 v82, v61
.LBB167_24:                             ;   in Loop: Header=BB167_4 Depth=2
	s_or_b64 exec, exec, s[26:27]
	v_mov_b32_e32 v61, 0
	s_waitcnt lgkmcnt(0)
	s_barrier
	s_and_saveexec_b64 s[26:27], s[16:17]
; %bb.25:                               ;   in Loop: Header=BB167_4 Depth=2
	ds_read_b32 v61, v79
; %bb.26:                               ;   in Loop: Header=BB167_4 Depth=2
	s_or_b64 exec, exec, s[26:27]
	s_waitcnt lgkmcnt(0)
	v_add_u32_e32 v36, v61, v36
	ds_bpermute_b32 v36, v77, v36
	s_cmp_gt_u32 s37, 55
	s_mov_b64 s[26:27], -1
                                        ; implicit-def: $vgpr63_vgpr64
                                        ; implicit-def: $vgpr65_vgpr66
	s_waitcnt lgkmcnt(0)
	v_cndmask_b32_e64 v36, v36, v61, s[18:19]
	v_cndmask_b32_e64 v36, v36, 0, s[20:21]
	v_add_u32_e32 v37, v36, v37
	v_add_u32_e32 v38, v37, v38
	;; [unrolled: 1-line block ×3, first 2 shown]
	ds_write2_b32 v76, v36, v37 offset0:3 offset1:4
	ds_write2_b32 v76, v38, v35 offset0:5 offset1:6
	s_waitcnt lgkmcnt(0)
	s_barrier
	ds_read_b32 v35, v40 offset:12
	ds_read_b32 v36, v42 offset:12
	;; [unrolled: 1-line block ×8, first 2 shown]
	s_waitcnt lgkmcnt(7)
	v_add_u32_e32 v35, v35, v39
	s_waitcnt lgkmcnt(3)
	v_add3_u32 v39, v52, v50, v40
	s_waitcnt lgkmcnt(2)
	v_add3_u32 v40, v55, v53, v42
	v_add3_u32 v36, v43, v41, v36
	s_waitcnt lgkmcnt(0)
	v_add3_u32 v42, v20, v59, v48
	v_lshrrev_b32_e32 v20, 2, v35
	v_and_b32_e32 v20, 0x3ffffff8, v20
	v_lshl_add_u32 v20, v35, 3, v20
	v_lshrrev_b32_e32 v35, 2, v36
	v_add3_u32 v37, v46, v44, v37
	v_and_b32_e32 v35, 0x3ffffff8, v35
	v_lshl_add_u32 v83, v36, 3, v35
	v_lshrrev_b32_e32 v35, 2, v37
	v_add3_u32 v38, v49, v47, v38
	v_and_b32_e32 v35, 0x3ffffff8, v35
	v_lshl_add_u32 v84, v37, 3, v35
	v_lshrrev_b32_e32 v35, 2, v38
	v_and_b32_e32 v35, 0x3ffffff8, v35
	v_lshl_add_u32 v85, v38, 3, v35
	v_lshrrev_b32_e32 v35, 2, v39
	;; [unrolled: 3-line block ×3, first 2 shown]
	v_add3_u32 v41, v58, v56, v45
	v_and_b32_e32 v35, 0x3ffffff8, v35
	v_lshl_add_u32 v87, v40, 3, v35
	v_lshrrev_b32_e32 v35, 2, v41
	v_and_b32_e32 v35, 0x3ffffff8, v35
	v_lshl_add_u32 v88, v41, 3, v35
	v_lshrrev_b32_e32 v35, 2, v42
	v_and_b32_e32 v35, 0x3ffffff8, v35
	v_lshl_add_u32 v89, v42, 3, v35
                                        ; implicit-def: $vgpr51_vgpr52
                                        ; implicit-def: $vgpr53_vgpr54
                                        ; implicit-def: $vgpr55_vgpr56
                                        ; implicit-def: $vgpr57_vgpr58
                                        ; implicit-def: $vgpr59_vgpr60
                                        ; implicit-def: $vgpr61_vgpr62
                                        ; implicit-def: $vgpr35_vgpr36
                                        ; implicit-def: $vgpr37_vgpr38
                                        ; implicit-def: $vgpr39_vgpr40
                                        ; implicit-def: $vgpr41_vgpr42
                                        ; implicit-def: $vgpr43_vgpr44
                                        ; implicit-def: $vgpr45_vgpr46
                                        ; implicit-def: $vgpr47_vgpr48
                                        ; implicit-def: $vgpr49_vgpr50
	s_cbranch_scc1 .LBB167_3
; %bb.27:                               ;   in Loop: Header=BB167_4 Depth=2
	s_barrier
	ds_write_b64 v20, v[33:34]
	ds_write_b64 v83, v[31:32]
	;; [unrolled: 1-line block ×8, first 2 shown]
	s_waitcnt lgkmcnt(0)
	s_barrier
	ds_read_b64 v[35:36], v68
	ds_read_b64 v[37:38], v69 offset:512
	ds_read_b64 v[39:40], v70 offset:1024
	;; [unrolled: 1-line block ×7, first 2 shown]
	s_waitcnt lgkmcnt(0)
	s_barrier
	ds_write_b64 v20, v[15:16]
	ds_write_b64 v83, v[13:14]
	;; [unrolled: 1-line block ×8, first 2 shown]
	s_waitcnt lgkmcnt(0)
	s_barrier
	ds_read_b64 v[51:52], v68
	ds_read_b64 v[53:54], v69 offset:512
	ds_read_b64 v[55:56], v70 offset:1024
	;; [unrolled: 1-line block ×7, first 2 shown]
	s_add_i32 s36, s36, -8
	s_add_i32 s33, s33, 8
	s_add_i32 s37, s37, 8
	s_mov_b64 s[26:27], 0
	s_waitcnt lgkmcnt(0)
	s_barrier
	s_branch .LBB167_3
.LBB167_28:
	s_add_u32 s0, s38, s34
	s_addc_u32 s1, s39, s35
	v_lshlrev_b32_e32 v0, 3, v0
	s_waitcnt lgkmcnt(3)
	v_add_u32_e32 v1, v20, v15
	v_add_u32_e32 v2, v21, v16
	;; [unrolled: 1-line block ×4, first 2 shown]
	v_mov_b32_e32 v17, s1
	v_add_co_u32_e32 v18, vcc, s0, v0
	s_waitcnt lgkmcnt(2)
	v_add_u32_e32 v11, v24, v11
	v_add_u32_e32 v12, v25, v12
	v_addc_co_u32_e32 v17, vcc, 0, v17, vcc
	global_store_dwordx2 v0, v[1:2], s[0:1]
	global_store_dwordx2 v0, v[15:16], s[0:1] offset:1536
	global_store_dwordx2 v0, v[11:12], s[0:1] offset:3072
	s_movk_i32 s0, 0x1000
	v_add_co_u32_e32 v0, vcc, s0, v18
	v_add_u32_e32 v13, v26, v13
	v_add_u32_e32 v14, v27, v14
	v_addc_co_u32_e32 v1, vcc, 0, v17, vcc
	s_waitcnt lgkmcnt(1)
	v_add_u32_e32 v7, v28, v7
	v_add_u32_e32 v8, v29, v8
	;; [unrolled: 1-line block ×4, first 2 shown]
	global_store_dwordx2 v[0:1], v[13:14], off offset:512
	global_store_dwordx2 v[0:1], v[7:8], off offset:2048
	;; [unrolled: 1-line block ×3, first 2 shown]
	v_add_co_u32_e32 v0, vcc, 0x2000, v18
	s_waitcnt lgkmcnt(0)
	v_add_u32_e32 v3, v32, v3
	v_add_u32_e32 v4, v33, v4
	v_addc_co_u32_e32 v1, vcc, 0, v17, vcc
	v_add_u32_e32 v5, v34, v5
	v_add_u32_e32 v6, v35, v6
	global_store_dwordx2 v[0:1], v[3:4], off offset:1024
	global_store_dwordx2 v[0:1], v[5:6], off offset:2560
	s_endpgm
	.section	.rodata,"a",@progbits
	.p2align	6, 0x0
	.amdhsa_kernel _Z17sort_pairs_kernelI22helper_blocked_blockedN15benchmark_utils11custom_typeIiiEELj192ELj8ELj10EEvPKT0_PS4_
		.amdhsa_group_segment_fixed_size 12672
		.amdhsa_private_segment_fixed_size 0
		.amdhsa_kernarg_size 272
		.amdhsa_user_sgpr_count 6
		.amdhsa_user_sgpr_private_segment_buffer 1
		.amdhsa_user_sgpr_dispatch_ptr 0
		.amdhsa_user_sgpr_queue_ptr 0
		.amdhsa_user_sgpr_kernarg_segment_ptr 1
		.amdhsa_user_sgpr_dispatch_id 0
		.amdhsa_user_sgpr_flat_scratch_init 0
		.amdhsa_user_sgpr_private_segment_size 0
		.amdhsa_uses_dynamic_stack 0
		.amdhsa_system_sgpr_private_segment_wavefront_offset 0
		.amdhsa_system_sgpr_workgroup_id_x 1
		.amdhsa_system_sgpr_workgroup_id_y 0
		.amdhsa_system_sgpr_workgroup_id_z 0
		.amdhsa_system_sgpr_workgroup_info 0
		.amdhsa_system_vgpr_workitem_id 2
		.amdhsa_next_free_vgpr 90
		.amdhsa_next_free_sgpr 98
		.amdhsa_reserve_vcc 1
		.amdhsa_reserve_flat_scratch 0
		.amdhsa_float_round_mode_32 0
		.amdhsa_float_round_mode_16_64 0
		.amdhsa_float_denorm_mode_32 3
		.amdhsa_float_denorm_mode_16_64 3
		.amdhsa_dx10_clamp 1
		.amdhsa_ieee_mode 1
		.amdhsa_fp16_overflow 0
		.amdhsa_exception_fp_ieee_invalid_op 0
		.amdhsa_exception_fp_denorm_src 0
		.amdhsa_exception_fp_ieee_div_zero 0
		.amdhsa_exception_fp_ieee_overflow 0
		.amdhsa_exception_fp_ieee_underflow 0
		.amdhsa_exception_fp_ieee_inexact 0
		.amdhsa_exception_int_div_zero 0
	.end_amdhsa_kernel
	.section	.text._Z17sort_pairs_kernelI22helper_blocked_blockedN15benchmark_utils11custom_typeIiiEELj192ELj8ELj10EEvPKT0_PS4_,"axG",@progbits,_Z17sort_pairs_kernelI22helper_blocked_blockedN15benchmark_utils11custom_typeIiiEELj192ELj8ELj10EEvPKT0_PS4_,comdat
.Lfunc_end167:
	.size	_Z17sort_pairs_kernelI22helper_blocked_blockedN15benchmark_utils11custom_typeIiiEELj192ELj8ELj10EEvPKT0_PS4_, .Lfunc_end167-_Z17sort_pairs_kernelI22helper_blocked_blockedN15benchmark_utils11custom_typeIiiEELj192ELj8ELj10EEvPKT0_PS4_
                                        ; -- End function
	.set _Z17sort_pairs_kernelI22helper_blocked_blockedN15benchmark_utils11custom_typeIiiEELj192ELj8ELj10EEvPKT0_PS4_.num_vgpr, 90
	.set _Z17sort_pairs_kernelI22helper_blocked_blockedN15benchmark_utils11custom_typeIiiEELj192ELj8ELj10EEvPKT0_PS4_.num_agpr, 0
	.set _Z17sort_pairs_kernelI22helper_blocked_blockedN15benchmark_utils11custom_typeIiiEELj192ELj8ELj10EEvPKT0_PS4_.numbered_sgpr, 45
	.set _Z17sort_pairs_kernelI22helper_blocked_blockedN15benchmark_utils11custom_typeIiiEELj192ELj8ELj10EEvPKT0_PS4_.num_named_barrier, 0
	.set _Z17sort_pairs_kernelI22helper_blocked_blockedN15benchmark_utils11custom_typeIiiEELj192ELj8ELj10EEvPKT0_PS4_.private_seg_size, 0
	.set _Z17sort_pairs_kernelI22helper_blocked_blockedN15benchmark_utils11custom_typeIiiEELj192ELj8ELj10EEvPKT0_PS4_.uses_vcc, 1
	.set _Z17sort_pairs_kernelI22helper_blocked_blockedN15benchmark_utils11custom_typeIiiEELj192ELj8ELj10EEvPKT0_PS4_.uses_flat_scratch, 0
	.set _Z17sort_pairs_kernelI22helper_blocked_blockedN15benchmark_utils11custom_typeIiiEELj192ELj8ELj10EEvPKT0_PS4_.has_dyn_sized_stack, 0
	.set _Z17sort_pairs_kernelI22helper_blocked_blockedN15benchmark_utils11custom_typeIiiEELj192ELj8ELj10EEvPKT0_PS4_.has_recursion, 0
	.set _Z17sort_pairs_kernelI22helper_blocked_blockedN15benchmark_utils11custom_typeIiiEELj192ELj8ELj10EEvPKT0_PS4_.has_indirect_call, 0
	.section	.AMDGPU.csdata,"",@progbits
; Kernel info:
; codeLenInByte = 6292
; TotalNumSgprs: 49
; NumVgprs: 90
; ScratchSize: 0
; MemoryBound: 0
; FloatMode: 240
; IeeeMode: 1
; LDSByteSize: 12672 bytes/workgroup (compile time only)
; SGPRBlocks: 12
; VGPRBlocks: 22
; NumSGPRsForWavesPerEU: 102
; NumVGPRsForWavesPerEU: 90
; Occupancy: 2
; WaveLimiterHint : 1
; COMPUTE_PGM_RSRC2:SCRATCH_EN: 0
; COMPUTE_PGM_RSRC2:USER_SGPR: 6
; COMPUTE_PGM_RSRC2:TRAP_HANDLER: 0
; COMPUTE_PGM_RSRC2:TGID_X_EN: 1
; COMPUTE_PGM_RSRC2:TGID_Y_EN: 0
; COMPUTE_PGM_RSRC2:TGID_Z_EN: 0
; COMPUTE_PGM_RSRC2:TIDIG_COMP_CNT: 2
	.section	.text._Z16sort_keys_kernelI22helper_blocked_blockedN15benchmark_utils11custom_typeIiiEELj256ELj1ELj10EEvPKT0_PS4_,"axG",@progbits,_Z16sort_keys_kernelI22helper_blocked_blockedN15benchmark_utils11custom_typeIiiEELj256ELj1ELj10EEvPKT0_PS4_,comdat
	.protected	_Z16sort_keys_kernelI22helper_blocked_blockedN15benchmark_utils11custom_typeIiiEELj256ELj1ELj10EEvPKT0_PS4_ ; -- Begin function _Z16sort_keys_kernelI22helper_blocked_blockedN15benchmark_utils11custom_typeIiiEELj256ELj1ELj10EEvPKT0_PS4_
	.globl	_Z16sort_keys_kernelI22helper_blocked_blockedN15benchmark_utils11custom_typeIiiEELj256ELj1ELj10EEvPKT0_PS4_
	.p2align	8
	.type	_Z16sort_keys_kernelI22helper_blocked_blockedN15benchmark_utils11custom_typeIiiEELj256ELj1ELj10EEvPKT0_PS4_,@function
_Z16sort_keys_kernelI22helper_blocked_blockedN15benchmark_utils11custom_typeIiiEELj256ELj1ELj10EEvPKT0_PS4_: ; @_Z16sort_keys_kernelI22helper_blocked_blockedN15benchmark_utils11custom_typeIiiEELj256ELj1ELj10EEvPKT0_PS4_
; %bb.0:
	s_load_dwordx4 s[28:31], s[4:5], 0x0
	s_load_dword s26, s[4:5], 0x1c
	s_lshl_b32 s36, s6, 8
	s_mov_b32 s37, 0
	s_lshl_b64 s[34:35], s[36:37], 3
	s_waitcnt lgkmcnt(0)
	s_add_u32 s0, s28, s34
	s_addc_u32 s1, s29, s35
	v_lshlrev_b32_e32 v3, 3, v0
	global_load_dwordx2 v[3:4], v3, s[0:1]
	v_mbcnt_lo_u32_b32 v6, -1, 0
	v_mbcnt_hi_u32_b32 v6, -1, v6
	v_subrev_co_u32_e64 v25, s[4:5], 1, v6
	v_and_b32_e32 v26, 64, v6
	v_and_b32_e32 v10, 15, v6
	v_cmp_lt_i32_e64 s[24:25], v25, v26
	v_cmp_eq_u32_e64 s[8:9], 0, v10
	v_cmp_lt_u32_e64 s[10:11], 1, v10
	v_cmp_lt_u32_e64 s[12:13], 3, v10
	;; [unrolled: 1-line block ×3, first 2 shown]
	v_cndmask_b32_e64 v10, v25, v6, s[24:25]
	s_lshr_b32 s24, s26, 16
	s_and_b32 s25, s26, 0xffff
	v_mad_u32_u24 v1, v2, s24, v1
	v_mad_u64_u32 v[1:2], s[24:25], v1, s25, v[0:1]
	v_lshlrev_b32_e32 v22, 4, v0
	v_and_b32_e32 v7, 0xc0, v0
	v_lshrrev_b32_e32 v8, 4, v0
	v_lshlrev_b32_e32 v9, 2, v0
	s_mov_b32 s28, s37
	v_or_b32_e32 v12, 63, v7
	v_lshlrev_b32_e32 v7, 3, v7
	v_mad_i32_i24 v24, v0, -12, v22
	s_mov_b32 s36, s37
	s_mov_b32 s29, s37
	v_and_b32_e32 v11, 16, v6
	v_and_b32_e32 v27, 3, v6
	;; [unrolled: 1-line block ×3, first 2 shown]
	v_lshl_add_u32 v25, v6, 3, v7
	v_add_u32_e32 v26, v24, v9
	v_mov_b32_e32 v7, s36
	v_lshlrev_b32_e32 v28, 2, v10
	v_lshrrev_b32_e32 v1, 4, v1
	v_mov_b32_e32 v9, s28
	s_mov_b32 s33, 10
	s_movk_i32 s38, 0xff
	v_mov_b32_e32 v13, 4
	v_mov_b32_e32 v14, 1
	;; [unrolled: 1-line block ×10, first 2 shown]
	v_cmp_gt_u32_e32 vcc, 4, v0
	v_cmp_lt_u32_e64 s[0:1], 63, v0
	v_cmp_eq_u32_e64 s[2:3], 0, v0
	v_cmp_lt_u32_e64 s[6:7], 31, v6
	v_cmp_eq_u32_e64 s[16:17], 0, v11
	v_cmp_eq_u32_e64 s[18:19], v0, v12
	;; [unrolled: 1-line block ×3, first 2 shown]
	v_cmp_lt_u32_e64 s[22:23], 1, v27
	v_add_u32_e32 v27, -4, v23
	v_mov_b32_e32 v8, s37
	v_and_b32_e32 v29, 0xffffffc, v1
	v_mov_b32_e32 v10, s29
	s_waitcnt vmcnt(0)
	v_xor_b32_e32 v11, 0x80000000, v3
	v_xor_b32_e32 v12, 0x80000000, v4
	s_branch .LBB168_2
.LBB168_1:                              ;   in Loop: Header=BB168_2 Depth=1
	s_or_b64 exec, exec, s[24:25]
	s_waitcnt lgkmcnt(0)
	v_add_u32_e32 v4, v31, v4
	ds_bpermute_b32 v4, v28, v4
	s_add_i32 s33, s33, -1
	s_cmp_eq_u32 s33, 0
	s_waitcnt lgkmcnt(0)
	v_cndmask_b32_e64 v4, v4, v31, s[4:5]
	v_cndmask_b32_e64 v31, v4, 0, s[2:3]
	v_add_u32_e32 v32, v31, v1
	v_add_u32_e32 v1, v32, v2
	;; [unrolled: 1-line block ×3, first 2 shown]
	ds_write2_b64 v22, v[31:32], v[1:2] offset0:2 offset1:3
	s_waitcnt lgkmcnt(0)
	s_barrier
	ds_read_b32 v1, v30 offset:16
	v_lshlrev_b32_e32 v2, 3, v6
	s_waitcnt lgkmcnt(0)
	s_barrier
	v_lshl_add_u32 v1, v1, 3, v2
	ds_write_b64 v1, v[11:12]
	s_waitcnt lgkmcnt(0)
	s_barrier
	ds_read_b64 v[11:12], v26
	s_cbranch_scc1 .LBB168_66
.LBB168_2:                              ; =>This Inner Loop Header: Depth=1
	s_waitcnt lgkmcnt(0)
	v_and_b32_e32 v1, 1, v12
	v_add_co_u32_e64 v2, s[24:25], -1, v1
	v_addc_co_u32_e64 v4, s[24:25], 0, -1, s[24:25]
	v_cmp_ne_u32_e64 s[24:25], 0, v1
	v_lshlrev_b32_e32 v6, 30, v12
	v_xor_b32_e32 v1, s25, v4
	v_xor_b32_e32 v2, s24, v2
	v_cmp_gt_i64_e64 s[24:25], 0, v[5:6]
	v_not_b32_e32 v4, v6
	v_ashrrev_i32_e32 v4, 31, v4
	v_and_b32_e32 v1, exec_hi, v1
	v_xor_b32_e32 v6, s25, v4
	v_and_b32_e32 v2, exec_lo, v2
	v_xor_b32_e32 v4, s24, v4
	v_and_b32_e32 v1, v1, v6
	v_lshlrev_b32_e32 v6, 29, v12
	v_and_b32_e32 v2, v2, v4
	v_cmp_gt_i64_e64 s[24:25], 0, v[5:6]
	v_not_b32_e32 v4, v6
	v_ashrrev_i32_e32 v4, 31, v4
	v_xor_b32_e32 v6, s25, v4
	v_xor_b32_e32 v4, s24, v4
	v_and_b32_e32 v1, v1, v6
	v_lshlrev_b32_e32 v6, 28, v12
	v_and_b32_e32 v2, v2, v4
	v_cmp_gt_i64_e64 s[24:25], 0, v[5:6]
	v_not_b32_e32 v4, v6
	v_ashrrev_i32_e32 v4, 31, v4
	v_xor_b32_e32 v6, s25, v4
	;; [unrolled: 8-line block ×6, first 2 shown]
	v_xor_b32_e32 v30, s24, v2
	v_and_b32_e32 v2, v1, v6
	v_and_b32_e32 v1, v4, v30
	v_mbcnt_lo_u32_b32 v4, v1, 0
	v_mbcnt_hi_u32_b32 v6, v2, v4
	v_cmp_ne_u64_e64 s[24:25], 0, v[1:2]
	v_lshlrev_b32_sdwa v3, v13, v12 dst_sel:DWORD dst_unused:UNUSED_PAD src0_sel:DWORD src1_sel:BYTE_0
	v_cmp_eq_u32_e64 s[26:27], 0, v6
	s_and_b64 s[26:27], s[26:27], s[24:25]
	v_add_u32_e32 v30, v29, v3
	ds_write2_b64 v22, v[7:8], v[9:10] offset0:2 offset1:3
	s_waitcnt lgkmcnt(0)
	s_barrier
	; wave barrier
	s_and_saveexec_b64 s[24:25], s[26:27]
; %bb.3:                                ;   in Loop: Header=BB168_2 Depth=1
	v_bcnt_u32_b32 v1, v1, 0
	v_bcnt_u32_b32 v1, v2, v1
	ds_write_b32 v30, v1 offset:16
; %bb.4:                                ;   in Loop: Header=BB168_2 Depth=1
	s_or_b64 exec, exec, s[24:25]
	; wave barrier
	s_waitcnt lgkmcnt(0)
	s_barrier
	ds_read2_b64 v[1:4], v22 offset0:2 offset1:3
	s_waitcnt lgkmcnt(0)
	v_add_u32_e32 v31, v2, v1
	v_add3_u32 v4, v31, v3, v4
	s_nop 1
	v_mov_b32_dpp v31, v4 row_shr:1 row_mask:0xf bank_mask:0xf
	v_cndmask_b32_e64 v31, v31, 0, s[8:9]
	v_add_u32_e32 v4, v31, v4
	s_nop 1
	v_mov_b32_dpp v31, v4 row_shr:2 row_mask:0xf bank_mask:0xf
	v_cndmask_b32_e64 v31, 0, v31, s[10:11]
	v_add_u32_e32 v4, v4, v31
	s_nop 1
	v_mov_b32_dpp v31, v4 row_shr:4 row_mask:0xf bank_mask:0xf
	v_cndmask_b32_e64 v31, 0, v31, s[12:13]
	v_add_u32_e32 v4, v4, v31
	s_nop 1
	v_mov_b32_dpp v31, v4 row_shr:8 row_mask:0xf bank_mask:0xf
	v_cndmask_b32_e64 v31, 0, v31, s[14:15]
	v_add_u32_e32 v4, v4, v31
	s_nop 1
	v_mov_b32_dpp v31, v4 row_bcast:15 row_mask:0xf bank_mask:0xf
	v_cndmask_b32_e64 v31, v31, 0, s[16:17]
	v_add_u32_e32 v4, v4, v31
	s_nop 1
	v_mov_b32_dpp v31, v4 row_bcast:31 row_mask:0xf bank_mask:0xf
	v_cndmask_b32_e64 v31, 0, v31, s[6:7]
	v_add_u32_e32 v4, v4, v31
	s_and_saveexec_b64 s[24:25], s[18:19]
; %bb.5:                                ;   in Loop: Header=BB168_2 Depth=1
	ds_write_b32 v23, v4
; %bb.6:                                ;   in Loop: Header=BB168_2 Depth=1
	s_or_b64 exec, exec, s[24:25]
	s_waitcnt lgkmcnt(0)
	s_barrier
	s_and_saveexec_b64 s[24:25], vcc
	s_cbranch_execz .LBB168_8
; %bb.7:                                ;   in Loop: Header=BB168_2 Depth=1
	ds_read_b32 v31, v24
	s_waitcnt lgkmcnt(0)
	s_nop 0
	v_mov_b32_dpp v32, v31 row_shr:1 row_mask:0xf bank_mask:0xf
	v_cndmask_b32_e64 v32, v32, 0, s[20:21]
	v_add_u32_e32 v31, v32, v31
	s_nop 1
	v_mov_b32_dpp v32, v31 row_shr:2 row_mask:0xf bank_mask:0xf
	v_cndmask_b32_e64 v32, 0, v32, s[22:23]
	v_add_u32_e32 v31, v31, v32
	ds_write_b32 v24, v31
.LBB168_8:                              ;   in Loop: Header=BB168_2 Depth=1
	s_or_b64 exec, exec, s[24:25]
	v_mov_b32_e32 v31, 0
	s_waitcnt lgkmcnt(0)
	s_barrier
	s_and_saveexec_b64 s[24:25], s[0:1]
; %bb.9:                                ;   in Loop: Header=BB168_2 Depth=1
	ds_read_b32 v31, v27
; %bb.10:                               ;   in Loop: Header=BB168_2 Depth=1
	s_or_b64 exec, exec, s[24:25]
	s_waitcnt lgkmcnt(0)
	v_add_u32_e32 v4, v31, v4
	ds_bpermute_b32 v4, v28, v4
	s_waitcnt lgkmcnt(0)
	v_cndmask_b32_e64 v4, v4, v31, s[4:5]
	v_cndmask_b32_e64 v31, v4, 0, s[2:3]
	v_add_u32_e32 v32, v31, v1
	v_add_u32_e32 v1, v32, v2
	;; [unrolled: 1-line block ×3, first 2 shown]
	ds_write2_b64 v22, v[31:32], v[1:2] offset0:2 offset1:3
	s_waitcnt lgkmcnt(0)
	s_barrier
	ds_read_b32 v1, v30 offset:16
	v_lshlrev_b32_e32 v2, 3, v6
	s_waitcnt lgkmcnt(0)
	s_barrier
	v_lshl_add_u32 v1, v1, 3, v2
	ds_write_b64 v1, v[11:12]
	s_waitcnt lgkmcnt(0)
	s_barrier
	ds_read_b64 v[11:12], v25
	s_waitcnt lgkmcnt(0)
	s_barrier
	ds_write2_b64 v22, v[7:8], v[9:10] offset0:2 offset1:3
	v_lshrrev_b32_e32 v1, 8, v12
	v_and_b32_e32 v2, 1, v1
	v_add_co_u32_e64 v4, s[24:25], -1, v2
	v_addc_co_u32_e64 v6, s[24:25], 0, -1, s[24:25]
	v_cmp_ne_u32_e64 s[24:25], 0, v2
	v_xor_b32_e32 v2, s25, v6
	v_lshlrev_b32_e32 v6, 30, v1
	v_xor_b32_e32 v4, s24, v4
	v_cmp_gt_i64_e64 s[24:25], 0, v[5:6]
	v_not_b32_e32 v6, v6
	v_ashrrev_i32_e32 v6, 31, v6
	v_and_b32_e32 v4, exec_lo, v4
	v_xor_b32_e32 v30, s25, v6
	v_xor_b32_e32 v6, s24, v6
	v_and_b32_e32 v4, v4, v6
	v_lshlrev_b32_e32 v6, 29, v1
	v_cmp_gt_i64_e64 s[24:25], 0, v[5:6]
	v_not_b32_e32 v6, v6
	v_and_b32_e32 v2, exec_hi, v2
	v_ashrrev_i32_e32 v6, 31, v6
	v_and_b32_e32 v2, v2, v30
	v_xor_b32_e32 v30, s25, v6
	v_xor_b32_e32 v6, s24, v6
	v_and_b32_e32 v4, v4, v6
	v_lshlrev_b32_e32 v6, 28, v1
	v_cmp_gt_i64_e64 s[24:25], 0, v[5:6]
	v_not_b32_e32 v6, v6
	v_ashrrev_i32_e32 v6, 31, v6
	v_and_b32_e32 v2, v2, v30
	v_xor_b32_e32 v30, s25, v6
	v_xor_b32_e32 v6, s24, v6
	v_and_b32_e32 v4, v4, v6
	v_lshlrev_b32_e32 v6, 27, v1
	v_cmp_gt_i64_e64 s[24:25], 0, v[5:6]
	v_not_b32_e32 v6, v6
	;; [unrolled: 8-line block ×4, first 2 shown]
	v_ashrrev_i32_e32 v6, 31, v6
	v_and_b32_e32 v2, v2, v30
	v_xor_b32_e32 v30, s25, v6
	v_xor_b32_e32 v6, s24, v6
	v_and_b32_e32 v4, v4, v6
	v_lshlrev_b32_e32 v6, 24, v1
	v_lshlrev_b32_sdwa v3, v13, v1 dst_sel:DWORD dst_unused:UNUSED_PAD src0_sel:DWORD src1_sel:BYTE_0
	v_cmp_gt_i64_e64 s[24:25], 0, v[5:6]
	v_not_b32_e32 v1, v6
	v_ashrrev_i32_e32 v1, 31, v1
	v_xor_b32_e32 v6, s25, v1
	v_xor_b32_e32 v1, s24, v1
	v_and_b32_e32 v2, v2, v30
	v_and_b32_e32 v1, v4, v1
	;; [unrolled: 1-line block ×3, first 2 shown]
	v_mbcnt_lo_u32_b32 v4, v1, 0
	v_mbcnt_hi_u32_b32 v6, v2, v4
	v_cmp_ne_u64_e64 s[24:25], 0, v[1:2]
	v_cmp_eq_u32_e64 s[26:27], 0, v6
	s_and_b64 s[26:27], s[26:27], s[24:25]
	v_add_u32_e32 v30, v29, v3
	s_waitcnt lgkmcnt(0)
	s_barrier
	; wave barrier
	s_and_saveexec_b64 s[24:25], s[26:27]
; %bb.11:                               ;   in Loop: Header=BB168_2 Depth=1
	v_bcnt_u32_b32 v1, v1, 0
	v_bcnt_u32_b32 v1, v2, v1
	ds_write_b32 v30, v1 offset:16
; %bb.12:                               ;   in Loop: Header=BB168_2 Depth=1
	s_or_b64 exec, exec, s[24:25]
	; wave barrier
	s_waitcnt lgkmcnt(0)
	s_barrier
	ds_read2_b64 v[1:4], v22 offset0:2 offset1:3
	s_waitcnt lgkmcnt(0)
	v_add_u32_e32 v31, v2, v1
	v_add3_u32 v4, v31, v3, v4
	s_nop 1
	v_mov_b32_dpp v31, v4 row_shr:1 row_mask:0xf bank_mask:0xf
	v_cndmask_b32_e64 v31, v31, 0, s[8:9]
	v_add_u32_e32 v4, v31, v4
	s_nop 1
	v_mov_b32_dpp v31, v4 row_shr:2 row_mask:0xf bank_mask:0xf
	v_cndmask_b32_e64 v31, 0, v31, s[10:11]
	v_add_u32_e32 v4, v4, v31
	;; [unrolled: 4-line block ×4, first 2 shown]
	s_nop 1
	v_mov_b32_dpp v31, v4 row_bcast:15 row_mask:0xf bank_mask:0xf
	v_cndmask_b32_e64 v31, v31, 0, s[16:17]
	v_add_u32_e32 v4, v4, v31
	s_nop 1
	v_mov_b32_dpp v31, v4 row_bcast:31 row_mask:0xf bank_mask:0xf
	v_cndmask_b32_e64 v31, 0, v31, s[6:7]
	v_add_u32_e32 v4, v4, v31
	s_and_saveexec_b64 s[24:25], s[18:19]
; %bb.13:                               ;   in Loop: Header=BB168_2 Depth=1
	ds_write_b32 v23, v4
; %bb.14:                               ;   in Loop: Header=BB168_2 Depth=1
	s_or_b64 exec, exec, s[24:25]
	s_waitcnt lgkmcnt(0)
	s_barrier
	s_and_saveexec_b64 s[24:25], vcc
	s_cbranch_execz .LBB168_16
; %bb.15:                               ;   in Loop: Header=BB168_2 Depth=1
	ds_read_b32 v31, v24
	s_waitcnt lgkmcnt(0)
	s_nop 0
	v_mov_b32_dpp v32, v31 row_shr:1 row_mask:0xf bank_mask:0xf
	v_cndmask_b32_e64 v32, v32, 0, s[20:21]
	v_add_u32_e32 v31, v32, v31
	s_nop 1
	v_mov_b32_dpp v32, v31 row_shr:2 row_mask:0xf bank_mask:0xf
	v_cndmask_b32_e64 v32, 0, v32, s[22:23]
	v_add_u32_e32 v31, v31, v32
	ds_write_b32 v24, v31
.LBB168_16:                             ;   in Loop: Header=BB168_2 Depth=1
	s_or_b64 exec, exec, s[24:25]
	v_mov_b32_e32 v31, 0
	s_waitcnt lgkmcnt(0)
	s_barrier
	s_and_saveexec_b64 s[24:25], s[0:1]
; %bb.17:                               ;   in Loop: Header=BB168_2 Depth=1
	ds_read_b32 v31, v27
; %bb.18:                               ;   in Loop: Header=BB168_2 Depth=1
	s_or_b64 exec, exec, s[24:25]
	s_waitcnt lgkmcnt(0)
	v_add_u32_e32 v4, v31, v4
	ds_bpermute_b32 v4, v28, v4
	s_waitcnt lgkmcnt(0)
	v_cndmask_b32_e64 v4, v4, v31, s[4:5]
	v_cndmask_b32_e64 v31, v4, 0, s[2:3]
	v_add_u32_e32 v32, v31, v1
	v_add_u32_e32 v1, v32, v2
	;; [unrolled: 1-line block ×3, first 2 shown]
	ds_write2_b64 v22, v[31:32], v[1:2] offset0:2 offset1:3
	s_waitcnt lgkmcnt(0)
	s_barrier
	ds_read_b32 v1, v30 offset:16
	v_lshlrev_b32_e32 v2, 3, v6
	s_waitcnt lgkmcnt(0)
	s_barrier
	v_lshl_add_u32 v1, v1, 3, v2
	ds_write_b64 v1, v[11:12]
	s_waitcnt lgkmcnt(0)
	s_barrier
	ds_read_b64 v[11:12], v25
	v_mov_b32_e32 v1, s36
	v_mov_b32_e32 v3, s28
	;; [unrolled: 1-line block ×4, first 2 shown]
	s_waitcnt lgkmcnt(0)
	s_barrier
	ds_write2_b64 v22, v[1:2], v[3:4] offset0:2 offset1:3
	v_and_b32_sdwa v1, v12, s38 dst_sel:DWORD dst_unused:UNUSED_PAD src0_sel:WORD_1 src1_sel:DWORD
	v_lshlrev_b32_e32 v3, 4, v1
	v_and_b32_sdwa v1, v12, v14 dst_sel:DWORD dst_unused:UNUSED_PAD src0_sel:WORD_1 src1_sel:DWORD
	v_add_co_u32_e64 v2, s[24:25], -1, v1
	v_addc_co_u32_e64 v4, s[24:25], 0, -1, s[24:25]
	v_cmp_ne_u32_e64 s[24:25], 0, v1
	v_lshlrev_b32_sdwa v6, v15, v12 dst_sel:DWORD dst_unused:UNUSED_PAD src0_sel:DWORD src1_sel:WORD_1
	v_xor_b32_e32 v1, s25, v4
	v_xor_b32_e32 v2, s24, v2
	v_cmp_gt_i64_e64 s[24:25], 0, v[5:6]
	v_not_b32_e32 v4, v6
	v_ashrrev_i32_e32 v4, 31, v4
	v_and_b32_e32 v1, exec_hi, v1
	v_xor_b32_e32 v6, s25, v4
	v_and_b32_e32 v2, exec_lo, v2
	v_xor_b32_e32 v4, s24, v4
	v_and_b32_e32 v1, v1, v6
	v_lshlrev_b32_sdwa v6, v16, v12 dst_sel:DWORD dst_unused:UNUSED_PAD src0_sel:DWORD src1_sel:WORD_1
	v_and_b32_e32 v2, v2, v4
	v_cmp_gt_i64_e64 s[24:25], 0, v[5:6]
	v_not_b32_e32 v4, v6
	v_ashrrev_i32_e32 v4, 31, v4
	v_xor_b32_e32 v6, s25, v4
	v_xor_b32_e32 v4, s24, v4
	v_and_b32_e32 v1, v1, v6
	v_lshlrev_b32_sdwa v6, v17, v12 dst_sel:DWORD dst_unused:UNUSED_PAD src0_sel:DWORD src1_sel:WORD_1
	v_and_b32_e32 v2, v2, v4
	v_cmp_gt_i64_e64 s[24:25], 0, v[5:6]
	v_not_b32_e32 v4, v6
	v_ashrrev_i32_e32 v4, 31, v4
	v_xor_b32_e32 v6, s25, v4
	;; [unrolled: 8-line block ×6, first 2 shown]
	v_xor_b32_e32 v30, s24, v2
	v_and_b32_e32 v2, v1, v6
	v_and_b32_e32 v1, v4, v30
	v_mbcnt_lo_u32_b32 v4, v1, 0
	v_mbcnt_hi_u32_b32 v6, v2, v4
	v_cmp_ne_u64_e64 s[24:25], 0, v[1:2]
	v_cmp_eq_u32_e64 s[26:27], 0, v6
	s_and_b64 s[26:27], s[26:27], s[24:25]
	v_add_u32_e32 v30, v29, v3
	s_waitcnt lgkmcnt(0)
	s_barrier
	; wave barrier
	s_and_saveexec_b64 s[24:25], s[26:27]
; %bb.19:                               ;   in Loop: Header=BB168_2 Depth=1
	v_bcnt_u32_b32 v1, v1, 0
	v_bcnt_u32_b32 v1, v2, v1
	ds_write_b32 v30, v1 offset:16
; %bb.20:                               ;   in Loop: Header=BB168_2 Depth=1
	s_or_b64 exec, exec, s[24:25]
	; wave barrier
	s_waitcnt lgkmcnt(0)
	s_barrier
	ds_read2_b64 v[1:4], v22 offset0:2 offset1:3
	s_waitcnt lgkmcnt(0)
	v_add_u32_e32 v31, v2, v1
	v_add3_u32 v4, v31, v3, v4
	s_nop 1
	v_mov_b32_dpp v31, v4 row_shr:1 row_mask:0xf bank_mask:0xf
	v_cndmask_b32_e64 v31, v31, 0, s[8:9]
	v_add_u32_e32 v4, v31, v4
	s_nop 1
	v_mov_b32_dpp v31, v4 row_shr:2 row_mask:0xf bank_mask:0xf
	v_cndmask_b32_e64 v31, 0, v31, s[10:11]
	v_add_u32_e32 v4, v4, v31
	;; [unrolled: 4-line block ×4, first 2 shown]
	s_nop 1
	v_mov_b32_dpp v31, v4 row_bcast:15 row_mask:0xf bank_mask:0xf
	v_cndmask_b32_e64 v31, v31, 0, s[16:17]
	v_add_u32_e32 v4, v4, v31
	s_nop 1
	v_mov_b32_dpp v31, v4 row_bcast:31 row_mask:0xf bank_mask:0xf
	v_cndmask_b32_e64 v31, 0, v31, s[6:7]
	v_add_u32_e32 v4, v4, v31
	s_and_saveexec_b64 s[24:25], s[18:19]
; %bb.21:                               ;   in Loop: Header=BB168_2 Depth=1
	ds_write_b32 v23, v4
; %bb.22:                               ;   in Loop: Header=BB168_2 Depth=1
	s_or_b64 exec, exec, s[24:25]
	s_waitcnt lgkmcnt(0)
	s_barrier
	s_and_saveexec_b64 s[24:25], vcc
	s_cbranch_execz .LBB168_24
; %bb.23:                               ;   in Loop: Header=BB168_2 Depth=1
	ds_read_b32 v31, v24
	s_waitcnt lgkmcnt(0)
	s_nop 0
	v_mov_b32_dpp v32, v31 row_shr:1 row_mask:0xf bank_mask:0xf
	v_cndmask_b32_e64 v32, v32, 0, s[20:21]
	v_add_u32_e32 v31, v32, v31
	s_nop 1
	v_mov_b32_dpp v32, v31 row_shr:2 row_mask:0xf bank_mask:0xf
	v_cndmask_b32_e64 v32, 0, v32, s[22:23]
	v_add_u32_e32 v31, v31, v32
	ds_write_b32 v24, v31
.LBB168_24:                             ;   in Loop: Header=BB168_2 Depth=1
	s_or_b64 exec, exec, s[24:25]
	v_mov_b32_e32 v31, 0
	s_waitcnt lgkmcnt(0)
	s_barrier
	s_and_saveexec_b64 s[24:25], s[0:1]
; %bb.25:                               ;   in Loop: Header=BB168_2 Depth=1
	ds_read_b32 v31, v27
; %bb.26:                               ;   in Loop: Header=BB168_2 Depth=1
	s_or_b64 exec, exec, s[24:25]
	s_waitcnt lgkmcnt(0)
	v_add_u32_e32 v4, v31, v4
	ds_bpermute_b32 v4, v28, v4
	s_waitcnt lgkmcnt(0)
	v_cndmask_b32_e64 v4, v4, v31, s[4:5]
	v_cndmask_b32_e64 v31, v4, 0, s[2:3]
	v_add_u32_e32 v32, v31, v1
	v_add_u32_e32 v1, v32, v2
	;; [unrolled: 1-line block ×3, first 2 shown]
	ds_write2_b64 v22, v[31:32], v[1:2] offset0:2 offset1:3
	s_waitcnt lgkmcnt(0)
	s_barrier
	ds_read_b32 v1, v30 offset:16
	v_lshlrev_b32_e32 v2, 3, v6
	s_waitcnt lgkmcnt(0)
	s_barrier
	v_lshl_add_u32 v1, v1, 3, v2
	ds_write_b64 v1, v[11:12]
	s_waitcnt lgkmcnt(0)
	s_barrier
	ds_read_b64 v[11:12], v25
	v_mov_b32_e32 v1, s36
	v_mov_b32_e32 v3, s28
	;; [unrolled: 1-line block ×4, first 2 shown]
	s_waitcnt lgkmcnt(0)
	s_barrier
	ds_write2_b64 v22, v[1:2], v[3:4] offset0:2 offset1:3
	v_and_b32_sdwa v1, v12, v14 dst_sel:DWORD dst_unused:UNUSED_PAD src0_sel:BYTE_3 src1_sel:DWORD
	v_add_co_u32_e64 v2, s[24:25], -1, v1
	v_addc_co_u32_e64 v4, s[24:25], 0, -1, s[24:25]
	v_cmp_ne_u32_e64 s[24:25], 0, v1
	v_lshlrev_b32_sdwa v6, v15, v12 dst_sel:DWORD dst_unused:UNUSED_PAD src0_sel:DWORD src1_sel:BYTE_3
	v_xor_b32_e32 v1, s25, v4
	v_xor_b32_e32 v2, s24, v2
	v_cmp_gt_i64_e64 s[24:25], 0, v[5:6]
	v_not_b32_e32 v4, v6
	v_ashrrev_i32_e32 v4, 31, v4
	v_and_b32_e32 v1, exec_hi, v1
	v_xor_b32_e32 v6, s25, v4
	v_and_b32_e32 v2, exec_lo, v2
	v_xor_b32_e32 v4, s24, v4
	v_and_b32_e32 v1, v1, v6
	v_lshlrev_b32_sdwa v6, v16, v12 dst_sel:DWORD dst_unused:UNUSED_PAD src0_sel:DWORD src1_sel:BYTE_3
	v_and_b32_e32 v2, v2, v4
	v_cmp_gt_i64_e64 s[24:25], 0, v[5:6]
	v_not_b32_e32 v4, v6
	v_ashrrev_i32_e32 v4, 31, v4
	v_xor_b32_e32 v6, s25, v4
	v_xor_b32_e32 v4, s24, v4
	v_and_b32_e32 v1, v1, v6
	v_lshlrev_b32_sdwa v6, v17, v12 dst_sel:DWORD dst_unused:UNUSED_PAD src0_sel:DWORD src1_sel:BYTE_3
	v_and_b32_e32 v2, v2, v4
	v_cmp_gt_i64_e64 s[24:25], 0, v[5:6]
	v_not_b32_e32 v4, v6
	v_ashrrev_i32_e32 v4, 31, v4
	v_xor_b32_e32 v6, s25, v4
	;; [unrolled: 8-line block ×6, first 2 shown]
	v_xor_b32_e32 v30, s24, v2
	v_and_b32_e32 v2, v1, v6
	v_and_b32_e32 v1, v4, v30
	v_mbcnt_lo_u32_b32 v4, v1, 0
	v_mbcnt_hi_u32_b32 v6, v2, v4
	v_cmp_ne_u64_e64 s[24:25], 0, v[1:2]
	v_lshlrev_b32_sdwa v3, v13, v12 dst_sel:DWORD dst_unused:UNUSED_PAD src0_sel:DWORD src1_sel:BYTE_3
	v_cmp_eq_u32_e64 s[26:27], 0, v6
	s_and_b64 s[26:27], s[26:27], s[24:25]
	v_add_u32_e32 v30, v29, v3
	s_waitcnt lgkmcnt(0)
	s_barrier
	; wave barrier
	s_and_saveexec_b64 s[24:25], s[26:27]
; %bb.27:                               ;   in Loop: Header=BB168_2 Depth=1
	v_bcnt_u32_b32 v1, v1, 0
	v_bcnt_u32_b32 v1, v2, v1
	ds_write_b32 v30, v1 offset:16
; %bb.28:                               ;   in Loop: Header=BB168_2 Depth=1
	s_or_b64 exec, exec, s[24:25]
	; wave barrier
	s_waitcnt lgkmcnt(0)
	s_barrier
	ds_read2_b64 v[1:4], v22 offset0:2 offset1:3
	s_waitcnt lgkmcnt(0)
	v_add_u32_e32 v31, v2, v1
	v_add3_u32 v4, v31, v3, v4
	s_nop 1
	v_mov_b32_dpp v31, v4 row_shr:1 row_mask:0xf bank_mask:0xf
	v_cndmask_b32_e64 v31, v31, 0, s[8:9]
	v_add_u32_e32 v4, v31, v4
	s_nop 1
	v_mov_b32_dpp v31, v4 row_shr:2 row_mask:0xf bank_mask:0xf
	v_cndmask_b32_e64 v31, 0, v31, s[10:11]
	v_add_u32_e32 v4, v4, v31
	;; [unrolled: 4-line block ×4, first 2 shown]
	s_nop 1
	v_mov_b32_dpp v31, v4 row_bcast:15 row_mask:0xf bank_mask:0xf
	v_cndmask_b32_e64 v31, v31, 0, s[16:17]
	v_add_u32_e32 v4, v4, v31
	s_nop 1
	v_mov_b32_dpp v31, v4 row_bcast:31 row_mask:0xf bank_mask:0xf
	v_cndmask_b32_e64 v31, 0, v31, s[6:7]
	v_add_u32_e32 v4, v4, v31
	s_and_saveexec_b64 s[24:25], s[18:19]
; %bb.29:                               ;   in Loop: Header=BB168_2 Depth=1
	ds_write_b32 v23, v4
; %bb.30:                               ;   in Loop: Header=BB168_2 Depth=1
	s_or_b64 exec, exec, s[24:25]
	s_waitcnt lgkmcnt(0)
	s_barrier
	s_and_saveexec_b64 s[24:25], vcc
	s_cbranch_execz .LBB168_32
; %bb.31:                               ;   in Loop: Header=BB168_2 Depth=1
	ds_read_b32 v31, v24
	s_waitcnt lgkmcnt(0)
	s_nop 0
	v_mov_b32_dpp v32, v31 row_shr:1 row_mask:0xf bank_mask:0xf
	v_cndmask_b32_e64 v32, v32, 0, s[20:21]
	v_add_u32_e32 v31, v32, v31
	s_nop 1
	v_mov_b32_dpp v32, v31 row_shr:2 row_mask:0xf bank_mask:0xf
	v_cndmask_b32_e64 v32, 0, v32, s[22:23]
	v_add_u32_e32 v31, v31, v32
	ds_write_b32 v24, v31
.LBB168_32:                             ;   in Loop: Header=BB168_2 Depth=1
	s_or_b64 exec, exec, s[24:25]
	v_mov_b32_e32 v31, 0
	s_waitcnt lgkmcnt(0)
	s_barrier
	s_and_saveexec_b64 s[24:25], s[0:1]
; %bb.33:                               ;   in Loop: Header=BB168_2 Depth=1
	ds_read_b32 v31, v27
; %bb.34:                               ;   in Loop: Header=BB168_2 Depth=1
	s_or_b64 exec, exec, s[24:25]
	s_waitcnt lgkmcnt(0)
	v_add_u32_e32 v4, v31, v4
	ds_bpermute_b32 v4, v28, v4
	s_waitcnt lgkmcnt(0)
	v_cndmask_b32_e64 v4, v4, v31, s[4:5]
	v_cndmask_b32_e64 v31, v4, 0, s[2:3]
	v_add_u32_e32 v32, v31, v1
	v_add_u32_e32 v1, v32, v2
	;; [unrolled: 1-line block ×3, first 2 shown]
	ds_write2_b64 v22, v[31:32], v[1:2] offset0:2 offset1:3
	s_waitcnt lgkmcnt(0)
	s_barrier
	ds_read_b32 v1, v30 offset:16
	v_lshlrev_b32_e32 v2, 3, v6
	s_waitcnt lgkmcnt(0)
	s_barrier
	v_lshl_add_u32 v1, v1, 3, v2
	ds_write_b64 v1, v[11:12]
	s_waitcnt lgkmcnt(0)
	s_barrier
	ds_read_b64 v[11:12], v25
	v_mov_b32_e32 v1, s36
	v_mov_b32_e32 v3, s28
	;; [unrolled: 1-line block ×4, first 2 shown]
	s_waitcnt lgkmcnt(0)
	s_barrier
	ds_write2_b64 v22, v[1:2], v[3:4] offset0:2 offset1:3
	v_and_b32_e32 v1, 1, v11
	v_add_co_u32_e64 v2, s[24:25], -1, v1
	v_addc_co_u32_e64 v4, s[24:25], 0, -1, s[24:25]
	v_cmp_ne_u32_e64 s[24:25], 0, v1
	v_lshlrev_b32_e32 v6, 30, v11
	v_xor_b32_e32 v1, s25, v4
	v_xor_b32_e32 v2, s24, v2
	v_cmp_gt_i64_e64 s[24:25], 0, v[5:6]
	v_not_b32_e32 v4, v6
	v_ashrrev_i32_e32 v4, 31, v4
	v_and_b32_e32 v1, exec_hi, v1
	v_xor_b32_e32 v6, s25, v4
	v_and_b32_e32 v2, exec_lo, v2
	v_xor_b32_e32 v4, s24, v4
	v_and_b32_e32 v1, v1, v6
	v_lshlrev_b32_e32 v6, 29, v11
	v_and_b32_e32 v2, v2, v4
	v_cmp_gt_i64_e64 s[24:25], 0, v[5:6]
	v_not_b32_e32 v4, v6
	v_ashrrev_i32_e32 v4, 31, v4
	v_xor_b32_e32 v6, s25, v4
	v_xor_b32_e32 v4, s24, v4
	v_and_b32_e32 v1, v1, v6
	v_lshlrev_b32_e32 v6, 28, v11
	v_and_b32_e32 v2, v2, v4
	v_cmp_gt_i64_e64 s[24:25], 0, v[5:6]
	v_not_b32_e32 v4, v6
	v_ashrrev_i32_e32 v4, 31, v4
	v_xor_b32_e32 v6, s25, v4
	;; [unrolled: 8-line block ×6, first 2 shown]
	v_xor_b32_e32 v30, s24, v2
	v_and_b32_e32 v2, v1, v6
	v_and_b32_e32 v1, v4, v30
	v_mbcnt_lo_u32_b32 v4, v1, 0
	v_mbcnt_hi_u32_b32 v6, v2, v4
	v_cmp_ne_u64_e64 s[24:25], 0, v[1:2]
	v_lshlrev_b32_sdwa v3, v13, v11 dst_sel:DWORD dst_unused:UNUSED_PAD src0_sel:DWORD src1_sel:BYTE_0
	v_cmp_eq_u32_e64 s[26:27], 0, v6
	s_and_b64 s[26:27], s[26:27], s[24:25]
	v_add_u32_e32 v30, v29, v3
	s_waitcnt lgkmcnt(0)
	s_barrier
	; wave barrier
	s_and_saveexec_b64 s[24:25], s[26:27]
; %bb.35:                               ;   in Loop: Header=BB168_2 Depth=1
	v_bcnt_u32_b32 v1, v1, 0
	v_bcnt_u32_b32 v1, v2, v1
	ds_write_b32 v30, v1 offset:16
; %bb.36:                               ;   in Loop: Header=BB168_2 Depth=1
	s_or_b64 exec, exec, s[24:25]
	; wave barrier
	s_waitcnt lgkmcnt(0)
	s_barrier
	ds_read2_b64 v[1:4], v22 offset0:2 offset1:3
	s_waitcnt lgkmcnt(0)
	v_add_u32_e32 v31, v2, v1
	v_add3_u32 v4, v31, v3, v4
	s_nop 1
	v_mov_b32_dpp v31, v4 row_shr:1 row_mask:0xf bank_mask:0xf
	v_cndmask_b32_e64 v31, v31, 0, s[8:9]
	v_add_u32_e32 v4, v31, v4
	s_nop 1
	v_mov_b32_dpp v31, v4 row_shr:2 row_mask:0xf bank_mask:0xf
	v_cndmask_b32_e64 v31, 0, v31, s[10:11]
	v_add_u32_e32 v4, v4, v31
	;; [unrolled: 4-line block ×4, first 2 shown]
	s_nop 1
	v_mov_b32_dpp v31, v4 row_bcast:15 row_mask:0xf bank_mask:0xf
	v_cndmask_b32_e64 v31, v31, 0, s[16:17]
	v_add_u32_e32 v4, v4, v31
	s_nop 1
	v_mov_b32_dpp v31, v4 row_bcast:31 row_mask:0xf bank_mask:0xf
	v_cndmask_b32_e64 v31, 0, v31, s[6:7]
	v_add_u32_e32 v4, v4, v31
	s_and_saveexec_b64 s[24:25], s[18:19]
; %bb.37:                               ;   in Loop: Header=BB168_2 Depth=1
	ds_write_b32 v23, v4
; %bb.38:                               ;   in Loop: Header=BB168_2 Depth=1
	s_or_b64 exec, exec, s[24:25]
	s_waitcnt lgkmcnt(0)
	s_barrier
	s_and_saveexec_b64 s[24:25], vcc
	s_cbranch_execz .LBB168_40
; %bb.39:                               ;   in Loop: Header=BB168_2 Depth=1
	ds_read_b32 v31, v24
	s_waitcnt lgkmcnt(0)
	s_nop 0
	v_mov_b32_dpp v32, v31 row_shr:1 row_mask:0xf bank_mask:0xf
	v_cndmask_b32_e64 v32, v32, 0, s[20:21]
	v_add_u32_e32 v31, v32, v31
	s_nop 1
	v_mov_b32_dpp v32, v31 row_shr:2 row_mask:0xf bank_mask:0xf
	v_cndmask_b32_e64 v32, 0, v32, s[22:23]
	v_add_u32_e32 v31, v31, v32
	ds_write_b32 v24, v31
.LBB168_40:                             ;   in Loop: Header=BB168_2 Depth=1
	s_or_b64 exec, exec, s[24:25]
	v_mov_b32_e32 v31, 0
	s_waitcnt lgkmcnt(0)
	s_barrier
	s_and_saveexec_b64 s[24:25], s[0:1]
; %bb.41:                               ;   in Loop: Header=BB168_2 Depth=1
	ds_read_b32 v31, v27
; %bb.42:                               ;   in Loop: Header=BB168_2 Depth=1
	s_or_b64 exec, exec, s[24:25]
	s_waitcnt lgkmcnt(0)
	v_add_u32_e32 v4, v31, v4
	ds_bpermute_b32 v4, v28, v4
	s_waitcnt lgkmcnt(0)
	v_cndmask_b32_e64 v4, v4, v31, s[4:5]
	v_cndmask_b32_e64 v31, v4, 0, s[2:3]
	v_add_u32_e32 v32, v31, v1
	v_add_u32_e32 v1, v32, v2
	;; [unrolled: 1-line block ×3, first 2 shown]
	ds_write2_b64 v22, v[31:32], v[1:2] offset0:2 offset1:3
	s_waitcnt lgkmcnt(0)
	s_barrier
	ds_read_b32 v1, v30 offset:16
	v_lshlrev_b32_e32 v2, 3, v6
	s_waitcnt lgkmcnt(0)
	s_barrier
	v_lshl_add_u32 v1, v1, 3, v2
	ds_write_b64 v1, v[11:12]
	s_waitcnt lgkmcnt(0)
	s_barrier
	ds_read_b64 v[11:12], v25
	v_mov_b32_e32 v1, s36
	v_mov_b32_e32 v3, s28
	v_mov_b32_e32 v2, s37
	v_mov_b32_e32 v4, s29
	s_waitcnt lgkmcnt(0)
	s_barrier
	ds_write2_b64 v22, v[1:2], v[3:4] offset0:2 offset1:3
	v_lshrrev_b32_e32 v1, 8, v11
	v_and_b32_e32 v2, 1, v1
	v_add_co_u32_e64 v4, s[24:25], -1, v2
	v_addc_co_u32_e64 v6, s[24:25], 0, -1, s[24:25]
	v_cmp_ne_u32_e64 s[24:25], 0, v2
	v_xor_b32_e32 v2, s25, v6
	v_lshlrev_b32_e32 v6, 30, v1
	v_xor_b32_e32 v4, s24, v4
	v_cmp_gt_i64_e64 s[24:25], 0, v[5:6]
	v_not_b32_e32 v6, v6
	v_ashrrev_i32_e32 v6, 31, v6
	v_and_b32_e32 v4, exec_lo, v4
	v_xor_b32_e32 v30, s25, v6
	v_xor_b32_e32 v6, s24, v6
	v_and_b32_e32 v4, v4, v6
	v_lshlrev_b32_e32 v6, 29, v1
	v_cmp_gt_i64_e64 s[24:25], 0, v[5:6]
	v_not_b32_e32 v6, v6
	v_and_b32_e32 v2, exec_hi, v2
	v_ashrrev_i32_e32 v6, 31, v6
	v_and_b32_e32 v2, v2, v30
	v_xor_b32_e32 v30, s25, v6
	v_xor_b32_e32 v6, s24, v6
	v_and_b32_e32 v4, v4, v6
	v_lshlrev_b32_e32 v6, 28, v1
	v_cmp_gt_i64_e64 s[24:25], 0, v[5:6]
	v_not_b32_e32 v6, v6
	v_ashrrev_i32_e32 v6, 31, v6
	v_and_b32_e32 v2, v2, v30
	v_xor_b32_e32 v30, s25, v6
	v_xor_b32_e32 v6, s24, v6
	v_and_b32_e32 v4, v4, v6
	v_lshlrev_b32_e32 v6, 27, v1
	v_cmp_gt_i64_e64 s[24:25], 0, v[5:6]
	v_not_b32_e32 v6, v6
	;; [unrolled: 8-line block ×4, first 2 shown]
	v_ashrrev_i32_e32 v6, 31, v6
	v_and_b32_e32 v2, v2, v30
	v_xor_b32_e32 v30, s25, v6
	v_xor_b32_e32 v6, s24, v6
	v_and_b32_e32 v4, v4, v6
	v_lshlrev_b32_e32 v6, 24, v1
	v_lshlrev_b32_sdwa v3, v13, v1 dst_sel:DWORD dst_unused:UNUSED_PAD src0_sel:DWORD src1_sel:BYTE_0
	v_cmp_gt_i64_e64 s[24:25], 0, v[5:6]
	v_not_b32_e32 v1, v6
	v_ashrrev_i32_e32 v1, 31, v1
	v_xor_b32_e32 v6, s25, v1
	v_xor_b32_e32 v1, s24, v1
	v_and_b32_e32 v2, v2, v30
	v_and_b32_e32 v1, v4, v1
	v_and_b32_e32 v2, v2, v6
	v_mbcnt_lo_u32_b32 v4, v1, 0
	v_mbcnt_hi_u32_b32 v6, v2, v4
	v_cmp_ne_u64_e64 s[24:25], 0, v[1:2]
	v_cmp_eq_u32_e64 s[26:27], 0, v6
	s_and_b64 s[26:27], s[26:27], s[24:25]
	v_add_u32_e32 v30, v29, v3
	s_waitcnt lgkmcnt(0)
	s_barrier
	; wave barrier
	s_and_saveexec_b64 s[24:25], s[26:27]
; %bb.43:                               ;   in Loop: Header=BB168_2 Depth=1
	v_bcnt_u32_b32 v1, v1, 0
	v_bcnt_u32_b32 v1, v2, v1
	ds_write_b32 v30, v1 offset:16
; %bb.44:                               ;   in Loop: Header=BB168_2 Depth=1
	s_or_b64 exec, exec, s[24:25]
	; wave barrier
	s_waitcnt lgkmcnt(0)
	s_barrier
	ds_read2_b64 v[1:4], v22 offset0:2 offset1:3
	s_waitcnt lgkmcnt(0)
	v_add_u32_e32 v31, v2, v1
	v_add3_u32 v4, v31, v3, v4
	s_nop 1
	v_mov_b32_dpp v31, v4 row_shr:1 row_mask:0xf bank_mask:0xf
	v_cndmask_b32_e64 v31, v31, 0, s[8:9]
	v_add_u32_e32 v4, v31, v4
	s_nop 1
	v_mov_b32_dpp v31, v4 row_shr:2 row_mask:0xf bank_mask:0xf
	v_cndmask_b32_e64 v31, 0, v31, s[10:11]
	v_add_u32_e32 v4, v4, v31
	;; [unrolled: 4-line block ×4, first 2 shown]
	s_nop 1
	v_mov_b32_dpp v31, v4 row_bcast:15 row_mask:0xf bank_mask:0xf
	v_cndmask_b32_e64 v31, v31, 0, s[16:17]
	v_add_u32_e32 v4, v4, v31
	s_nop 1
	v_mov_b32_dpp v31, v4 row_bcast:31 row_mask:0xf bank_mask:0xf
	v_cndmask_b32_e64 v31, 0, v31, s[6:7]
	v_add_u32_e32 v4, v4, v31
	s_and_saveexec_b64 s[24:25], s[18:19]
; %bb.45:                               ;   in Loop: Header=BB168_2 Depth=1
	ds_write_b32 v23, v4
; %bb.46:                               ;   in Loop: Header=BB168_2 Depth=1
	s_or_b64 exec, exec, s[24:25]
	s_waitcnt lgkmcnt(0)
	s_barrier
	s_and_saveexec_b64 s[24:25], vcc
	s_cbranch_execz .LBB168_48
; %bb.47:                               ;   in Loop: Header=BB168_2 Depth=1
	ds_read_b32 v31, v24
	s_waitcnt lgkmcnt(0)
	s_nop 0
	v_mov_b32_dpp v32, v31 row_shr:1 row_mask:0xf bank_mask:0xf
	v_cndmask_b32_e64 v32, v32, 0, s[20:21]
	v_add_u32_e32 v31, v32, v31
	s_nop 1
	v_mov_b32_dpp v32, v31 row_shr:2 row_mask:0xf bank_mask:0xf
	v_cndmask_b32_e64 v32, 0, v32, s[22:23]
	v_add_u32_e32 v31, v31, v32
	ds_write_b32 v24, v31
.LBB168_48:                             ;   in Loop: Header=BB168_2 Depth=1
	s_or_b64 exec, exec, s[24:25]
	v_mov_b32_e32 v31, 0
	s_waitcnt lgkmcnt(0)
	s_barrier
	s_and_saveexec_b64 s[24:25], s[0:1]
; %bb.49:                               ;   in Loop: Header=BB168_2 Depth=1
	ds_read_b32 v31, v27
; %bb.50:                               ;   in Loop: Header=BB168_2 Depth=1
	s_or_b64 exec, exec, s[24:25]
	s_waitcnt lgkmcnt(0)
	v_add_u32_e32 v4, v31, v4
	ds_bpermute_b32 v4, v28, v4
	s_waitcnt lgkmcnt(0)
	v_cndmask_b32_e64 v4, v4, v31, s[4:5]
	v_cndmask_b32_e64 v31, v4, 0, s[2:3]
	v_add_u32_e32 v32, v31, v1
	v_add_u32_e32 v1, v32, v2
	;; [unrolled: 1-line block ×3, first 2 shown]
	ds_write2_b64 v22, v[31:32], v[1:2] offset0:2 offset1:3
	s_waitcnt lgkmcnt(0)
	s_barrier
	ds_read_b32 v1, v30 offset:16
	v_lshlrev_b32_e32 v2, 3, v6
	s_waitcnt lgkmcnt(0)
	s_barrier
	v_lshl_add_u32 v1, v1, 3, v2
	ds_write_b64 v1, v[11:12]
	s_waitcnt lgkmcnt(0)
	s_barrier
	ds_read_b64 v[11:12], v25
	v_mov_b32_e32 v1, s36
	v_mov_b32_e32 v3, s28
	;; [unrolled: 1-line block ×4, first 2 shown]
	s_waitcnt lgkmcnt(0)
	s_barrier
	ds_write2_b64 v22, v[1:2], v[3:4] offset0:2 offset1:3
	v_and_b32_sdwa v1, v11, s38 dst_sel:DWORD dst_unused:UNUSED_PAD src0_sel:WORD_1 src1_sel:DWORD
	v_lshlrev_b32_e32 v3, 4, v1
	v_and_b32_sdwa v1, v11, v14 dst_sel:DWORD dst_unused:UNUSED_PAD src0_sel:WORD_1 src1_sel:DWORD
	v_add_co_u32_e64 v2, s[24:25], -1, v1
	v_addc_co_u32_e64 v4, s[24:25], 0, -1, s[24:25]
	v_cmp_ne_u32_e64 s[24:25], 0, v1
	v_lshlrev_b32_sdwa v6, v15, v11 dst_sel:DWORD dst_unused:UNUSED_PAD src0_sel:DWORD src1_sel:WORD_1
	v_xor_b32_e32 v1, s25, v4
	v_xor_b32_e32 v2, s24, v2
	v_cmp_gt_i64_e64 s[24:25], 0, v[5:6]
	v_not_b32_e32 v4, v6
	v_ashrrev_i32_e32 v4, 31, v4
	v_and_b32_e32 v1, exec_hi, v1
	v_xor_b32_e32 v6, s25, v4
	v_and_b32_e32 v2, exec_lo, v2
	v_xor_b32_e32 v4, s24, v4
	v_and_b32_e32 v1, v1, v6
	v_lshlrev_b32_sdwa v6, v16, v11 dst_sel:DWORD dst_unused:UNUSED_PAD src0_sel:DWORD src1_sel:WORD_1
	v_and_b32_e32 v2, v2, v4
	v_cmp_gt_i64_e64 s[24:25], 0, v[5:6]
	v_not_b32_e32 v4, v6
	v_ashrrev_i32_e32 v4, 31, v4
	v_xor_b32_e32 v6, s25, v4
	v_xor_b32_e32 v4, s24, v4
	v_and_b32_e32 v1, v1, v6
	v_lshlrev_b32_sdwa v6, v17, v11 dst_sel:DWORD dst_unused:UNUSED_PAD src0_sel:DWORD src1_sel:WORD_1
	v_and_b32_e32 v2, v2, v4
	v_cmp_gt_i64_e64 s[24:25], 0, v[5:6]
	v_not_b32_e32 v4, v6
	v_ashrrev_i32_e32 v4, 31, v4
	v_xor_b32_e32 v6, s25, v4
	;; [unrolled: 8-line block ×6, first 2 shown]
	v_xor_b32_e32 v30, s24, v2
	v_and_b32_e32 v2, v1, v6
	v_and_b32_e32 v1, v4, v30
	v_mbcnt_lo_u32_b32 v4, v1, 0
	v_mbcnt_hi_u32_b32 v6, v2, v4
	v_cmp_ne_u64_e64 s[24:25], 0, v[1:2]
	v_cmp_eq_u32_e64 s[26:27], 0, v6
	s_and_b64 s[26:27], s[26:27], s[24:25]
	v_add_u32_e32 v30, v29, v3
	s_waitcnt lgkmcnt(0)
	s_barrier
	; wave barrier
	s_and_saveexec_b64 s[24:25], s[26:27]
; %bb.51:                               ;   in Loop: Header=BB168_2 Depth=1
	v_bcnt_u32_b32 v1, v1, 0
	v_bcnt_u32_b32 v1, v2, v1
	ds_write_b32 v30, v1 offset:16
; %bb.52:                               ;   in Loop: Header=BB168_2 Depth=1
	s_or_b64 exec, exec, s[24:25]
	; wave barrier
	s_waitcnt lgkmcnt(0)
	s_barrier
	ds_read2_b64 v[1:4], v22 offset0:2 offset1:3
	s_waitcnt lgkmcnt(0)
	v_add_u32_e32 v31, v2, v1
	v_add3_u32 v4, v31, v3, v4
	s_nop 1
	v_mov_b32_dpp v31, v4 row_shr:1 row_mask:0xf bank_mask:0xf
	v_cndmask_b32_e64 v31, v31, 0, s[8:9]
	v_add_u32_e32 v4, v31, v4
	s_nop 1
	v_mov_b32_dpp v31, v4 row_shr:2 row_mask:0xf bank_mask:0xf
	v_cndmask_b32_e64 v31, 0, v31, s[10:11]
	v_add_u32_e32 v4, v4, v31
	;; [unrolled: 4-line block ×4, first 2 shown]
	s_nop 1
	v_mov_b32_dpp v31, v4 row_bcast:15 row_mask:0xf bank_mask:0xf
	v_cndmask_b32_e64 v31, v31, 0, s[16:17]
	v_add_u32_e32 v4, v4, v31
	s_nop 1
	v_mov_b32_dpp v31, v4 row_bcast:31 row_mask:0xf bank_mask:0xf
	v_cndmask_b32_e64 v31, 0, v31, s[6:7]
	v_add_u32_e32 v4, v4, v31
	s_and_saveexec_b64 s[24:25], s[18:19]
; %bb.53:                               ;   in Loop: Header=BB168_2 Depth=1
	ds_write_b32 v23, v4
; %bb.54:                               ;   in Loop: Header=BB168_2 Depth=1
	s_or_b64 exec, exec, s[24:25]
	s_waitcnt lgkmcnt(0)
	s_barrier
	s_and_saveexec_b64 s[24:25], vcc
	s_cbranch_execz .LBB168_56
; %bb.55:                               ;   in Loop: Header=BB168_2 Depth=1
	ds_read_b32 v31, v24
	s_waitcnt lgkmcnt(0)
	s_nop 0
	v_mov_b32_dpp v32, v31 row_shr:1 row_mask:0xf bank_mask:0xf
	v_cndmask_b32_e64 v32, v32, 0, s[20:21]
	v_add_u32_e32 v31, v32, v31
	s_nop 1
	v_mov_b32_dpp v32, v31 row_shr:2 row_mask:0xf bank_mask:0xf
	v_cndmask_b32_e64 v32, 0, v32, s[22:23]
	v_add_u32_e32 v31, v31, v32
	ds_write_b32 v24, v31
.LBB168_56:                             ;   in Loop: Header=BB168_2 Depth=1
	s_or_b64 exec, exec, s[24:25]
	v_mov_b32_e32 v31, 0
	s_waitcnt lgkmcnt(0)
	s_barrier
	s_and_saveexec_b64 s[24:25], s[0:1]
; %bb.57:                               ;   in Loop: Header=BB168_2 Depth=1
	ds_read_b32 v31, v27
; %bb.58:                               ;   in Loop: Header=BB168_2 Depth=1
	s_or_b64 exec, exec, s[24:25]
	s_waitcnt lgkmcnt(0)
	v_add_u32_e32 v4, v31, v4
	ds_bpermute_b32 v4, v28, v4
	s_waitcnt lgkmcnt(0)
	v_cndmask_b32_e64 v4, v4, v31, s[4:5]
	v_cndmask_b32_e64 v31, v4, 0, s[2:3]
	v_add_u32_e32 v32, v31, v1
	v_add_u32_e32 v1, v32, v2
	;; [unrolled: 1-line block ×3, first 2 shown]
	ds_write2_b64 v22, v[31:32], v[1:2] offset0:2 offset1:3
	s_waitcnt lgkmcnt(0)
	s_barrier
	ds_read_b32 v1, v30 offset:16
	v_lshlrev_b32_e32 v2, 3, v6
	s_waitcnt lgkmcnt(0)
	s_barrier
	v_lshl_add_u32 v1, v1, 3, v2
	ds_write_b64 v1, v[11:12]
	s_waitcnt lgkmcnt(0)
	s_barrier
	ds_read_b64 v[11:12], v25
	v_mov_b32_e32 v1, s36
	v_mov_b32_e32 v3, s28
	;; [unrolled: 1-line block ×4, first 2 shown]
	s_waitcnt lgkmcnt(0)
	s_barrier
	ds_write2_b64 v22, v[1:2], v[3:4] offset0:2 offset1:3
	v_and_b32_sdwa v1, v11, v14 dst_sel:DWORD dst_unused:UNUSED_PAD src0_sel:BYTE_3 src1_sel:DWORD
	v_add_co_u32_e64 v2, s[24:25], -1, v1
	v_addc_co_u32_e64 v4, s[24:25], 0, -1, s[24:25]
	v_cmp_ne_u32_e64 s[24:25], 0, v1
	v_lshlrev_b32_sdwa v6, v15, v11 dst_sel:DWORD dst_unused:UNUSED_PAD src0_sel:DWORD src1_sel:BYTE_3
	v_xor_b32_e32 v1, s25, v4
	v_xor_b32_e32 v2, s24, v2
	v_cmp_gt_i64_e64 s[24:25], 0, v[5:6]
	v_not_b32_e32 v4, v6
	v_ashrrev_i32_e32 v4, 31, v4
	v_and_b32_e32 v1, exec_hi, v1
	v_xor_b32_e32 v6, s25, v4
	v_and_b32_e32 v2, exec_lo, v2
	v_xor_b32_e32 v4, s24, v4
	v_and_b32_e32 v1, v1, v6
	v_lshlrev_b32_sdwa v6, v16, v11 dst_sel:DWORD dst_unused:UNUSED_PAD src0_sel:DWORD src1_sel:BYTE_3
	v_and_b32_e32 v2, v2, v4
	v_cmp_gt_i64_e64 s[24:25], 0, v[5:6]
	v_not_b32_e32 v4, v6
	v_ashrrev_i32_e32 v4, 31, v4
	v_xor_b32_e32 v6, s25, v4
	v_xor_b32_e32 v4, s24, v4
	v_and_b32_e32 v1, v1, v6
	v_lshlrev_b32_sdwa v6, v17, v11 dst_sel:DWORD dst_unused:UNUSED_PAD src0_sel:DWORD src1_sel:BYTE_3
	v_and_b32_e32 v2, v2, v4
	v_cmp_gt_i64_e64 s[24:25], 0, v[5:6]
	v_not_b32_e32 v4, v6
	v_ashrrev_i32_e32 v4, 31, v4
	v_xor_b32_e32 v6, s25, v4
	;; [unrolled: 8-line block ×6, first 2 shown]
	v_xor_b32_e32 v30, s24, v2
	v_and_b32_e32 v2, v1, v6
	v_and_b32_e32 v1, v4, v30
	v_mbcnt_lo_u32_b32 v4, v1, 0
	v_mbcnt_hi_u32_b32 v6, v2, v4
	v_cmp_ne_u64_e64 s[24:25], 0, v[1:2]
	v_lshlrev_b32_sdwa v3, v13, v11 dst_sel:DWORD dst_unused:UNUSED_PAD src0_sel:DWORD src1_sel:BYTE_3
	v_cmp_eq_u32_e64 s[26:27], 0, v6
	s_and_b64 s[26:27], s[26:27], s[24:25]
	v_add_u32_e32 v30, v29, v3
	s_waitcnt lgkmcnt(0)
	s_barrier
	; wave barrier
	s_and_saveexec_b64 s[24:25], s[26:27]
; %bb.59:                               ;   in Loop: Header=BB168_2 Depth=1
	v_bcnt_u32_b32 v1, v1, 0
	v_bcnt_u32_b32 v1, v2, v1
	ds_write_b32 v30, v1 offset:16
; %bb.60:                               ;   in Loop: Header=BB168_2 Depth=1
	s_or_b64 exec, exec, s[24:25]
	; wave barrier
	s_waitcnt lgkmcnt(0)
	s_barrier
	ds_read2_b64 v[1:4], v22 offset0:2 offset1:3
	s_waitcnt lgkmcnt(0)
	v_add_u32_e32 v31, v2, v1
	v_add3_u32 v4, v31, v3, v4
	s_nop 1
	v_mov_b32_dpp v31, v4 row_shr:1 row_mask:0xf bank_mask:0xf
	v_cndmask_b32_e64 v31, v31, 0, s[8:9]
	v_add_u32_e32 v4, v31, v4
	s_nop 1
	v_mov_b32_dpp v31, v4 row_shr:2 row_mask:0xf bank_mask:0xf
	v_cndmask_b32_e64 v31, 0, v31, s[10:11]
	v_add_u32_e32 v4, v4, v31
	;; [unrolled: 4-line block ×4, first 2 shown]
	s_nop 1
	v_mov_b32_dpp v31, v4 row_bcast:15 row_mask:0xf bank_mask:0xf
	v_cndmask_b32_e64 v31, v31, 0, s[16:17]
	v_add_u32_e32 v4, v4, v31
	s_nop 1
	v_mov_b32_dpp v31, v4 row_bcast:31 row_mask:0xf bank_mask:0xf
	v_cndmask_b32_e64 v31, 0, v31, s[6:7]
	v_add_u32_e32 v4, v4, v31
	s_and_saveexec_b64 s[24:25], s[18:19]
; %bb.61:                               ;   in Loop: Header=BB168_2 Depth=1
	ds_write_b32 v23, v4
; %bb.62:                               ;   in Loop: Header=BB168_2 Depth=1
	s_or_b64 exec, exec, s[24:25]
	s_waitcnt lgkmcnt(0)
	s_barrier
	s_and_saveexec_b64 s[24:25], vcc
	s_cbranch_execz .LBB168_64
; %bb.63:                               ;   in Loop: Header=BB168_2 Depth=1
	ds_read_b32 v31, v24
	s_waitcnt lgkmcnt(0)
	s_nop 0
	v_mov_b32_dpp v32, v31 row_shr:1 row_mask:0xf bank_mask:0xf
	v_cndmask_b32_e64 v32, v32, 0, s[20:21]
	v_add_u32_e32 v31, v32, v31
	s_nop 1
	v_mov_b32_dpp v32, v31 row_shr:2 row_mask:0xf bank_mask:0xf
	v_cndmask_b32_e64 v32, 0, v32, s[22:23]
	v_add_u32_e32 v31, v31, v32
	ds_write_b32 v24, v31
.LBB168_64:                             ;   in Loop: Header=BB168_2 Depth=1
	s_or_b64 exec, exec, s[24:25]
	v_mov_b32_e32 v31, 0
	s_waitcnt lgkmcnt(0)
	s_barrier
	s_and_saveexec_b64 s[24:25], s[0:1]
	s_cbranch_execz .LBB168_1
; %bb.65:                               ;   in Loop: Header=BB168_2 Depth=1
	ds_read_b32 v31, v27
	s_branch .LBB168_1
.LBB168_66:
	s_add_u32 s0, s30, s34
	s_waitcnt lgkmcnt(0)
	v_xor_b32_e32 v2, 0x80000000, v12
	v_xor_b32_e32 v1, 0x80000000, v11
	s_addc_u32 s1, s31, s35
	v_lshlrev_b32_e32 v0, 3, v0
	global_store_dwordx2 v0, v[1:2], s[0:1]
	s_endpgm
	.section	.rodata,"a",@progbits
	.p2align	6, 0x0
	.amdhsa_kernel _Z16sort_keys_kernelI22helper_blocked_blockedN15benchmark_utils11custom_typeIiiEELj256ELj1ELj10EEvPKT0_PS4_
		.amdhsa_group_segment_fixed_size 4112
		.amdhsa_private_segment_fixed_size 0
		.amdhsa_kernarg_size 272
		.amdhsa_user_sgpr_count 6
		.amdhsa_user_sgpr_private_segment_buffer 1
		.amdhsa_user_sgpr_dispatch_ptr 0
		.amdhsa_user_sgpr_queue_ptr 0
		.amdhsa_user_sgpr_kernarg_segment_ptr 1
		.amdhsa_user_sgpr_dispatch_id 0
		.amdhsa_user_sgpr_flat_scratch_init 0
		.amdhsa_user_sgpr_private_segment_size 0
		.amdhsa_uses_dynamic_stack 0
		.amdhsa_system_sgpr_private_segment_wavefront_offset 0
		.amdhsa_system_sgpr_workgroup_id_x 1
		.amdhsa_system_sgpr_workgroup_id_y 0
		.amdhsa_system_sgpr_workgroup_id_z 0
		.amdhsa_system_sgpr_workgroup_info 0
		.amdhsa_system_vgpr_workitem_id 2
		.amdhsa_next_free_vgpr 33
		.amdhsa_next_free_sgpr 39
		.amdhsa_reserve_vcc 1
		.amdhsa_reserve_flat_scratch 0
		.amdhsa_float_round_mode_32 0
		.amdhsa_float_round_mode_16_64 0
		.amdhsa_float_denorm_mode_32 3
		.amdhsa_float_denorm_mode_16_64 3
		.amdhsa_dx10_clamp 1
		.amdhsa_ieee_mode 1
		.amdhsa_fp16_overflow 0
		.amdhsa_exception_fp_ieee_invalid_op 0
		.amdhsa_exception_fp_denorm_src 0
		.amdhsa_exception_fp_ieee_div_zero 0
		.amdhsa_exception_fp_ieee_overflow 0
		.amdhsa_exception_fp_ieee_underflow 0
		.amdhsa_exception_fp_ieee_inexact 0
		.amdhsa_exception_int_div_zero 0
	.end_amdhsa_kernel
	.section	.text._Z16sort_keys_kernelI22helper_blocked_blockedN15benchmark_utils11custom_typeIiiEELj256ELj1ELj10EEvPKT0_PS4_,"axG",@progbits,_Z16sort_keys_kernelI22helper_blocked_blockedN15benchmark_utils11custom_typeIiiEELj256ELj1ELj10EEvPKT0_PS4_,comdat
.Lfunc_end168:
	.size	_Z16sort_keys_kernelI22helper_blocked_blockedN15benchmark_utils11custom_typeIiiEELj256ELj1ELj10EEvPKT0_PS4_, .Lfunc_end168-_Z16sort_keys_kernelI22helper_blocked_blockedN15benchmark_utils11custom_typeIiiEELj256ELj1ELj10EEvPKT0_PS4_
                                        ; -- End function
	.set _Z16sort_keys_kernelI22helper_blocked_blockedN15benchmark_utils11custom_typeIiiEELj256ELj1ELj10EEvPKT0_PS4_.num_vgpr, 33
	.set _Z16sort_keys_kernelI22helper_blocked_blockedN15benchmark_utils11custom_typeIiiEELj256ELj1ELj10EEvPKT0_PS4_.num_agpr, 0
	.set _Z16sort_keys_kernelI22helper_blocked_blockedN15benchmark_utils11custom_typeIiiEELj256ELj1ELj10EEvPKT0_PS4_.numbered_sgpr, 39
	.set _Z16sort_keys_kernelI22helper_blocked_blockedN15benchmark_utils11custom_typeIiiEELj256ELj1ELj10EEvPKT0_PS4_.num_named_barrier, 0
	.set _Z16sort_keys_kernelI22helper_blocked_blockedN15benchmark_utils11custom_typeIiiEELj256ELj1ELj10EEvPKT0_PS4_.private_seg_size, 0
	.set _Z16sort_keys_kernelI22helper_blocked_blockedN15benchmark_utils11custom_typeIiiEELj256ELj1ELj10EEvPKT0_PS4_.uses_vcc, 1
	.set _Z16sort_keys_kernelI22helper_blocked_blockedN15benchmark_utils11custom_typeIiiEELj256ELj1ELj10EEvPKT0_PS4_.uses_flat_scratch, 0
	.set _Z16sort_keys_kernelI22helper_blocked_blockedN15benchmark_utils11custom_typeIiiEELj256ELj1ELj10EEvPKT0_PS4_.has_dyn_sized_stack, 0
	.set _Z16sort_keys_kernelI22helper_blocked_blockedN15benchmark_utils11custom_typeIiiEELj256ELj1ELj10EEvPKT0_PS4_.has_recursion, 0
	.set _Z16sort_keys_kernelI22helper_blocked_blockedN15benchmark_utils11custom_typeIiiEELj256ELj1ELj10EEvPKT0_PS4_.has_indirect_call, 0
	.section	.AMDGPU.csdata,"",@progbits
; Kernel info:
; codeLenInByte = 7292
; TotalNumSgprs: 43
; NumVgprs: 33
; ScratchSize: 0
; MemoryBound: 0
; FloatMode: 240
; IeeeMode: 1
; LDSByteSize: 4112 bytes/workgroup (compile time only)
; SGPRBlocks: 5
; VGPRBlocks: 8
; NumSGPRsForWavesPerEU: 43
; NumVGPRsForWavesPerEU: 33
; Occupancy: 7
; WaveLimiterHint : 0
; COMPUTE_PGM_RSRC2:SCRATCH_EN: 0
; COMPUTE_PGM_RSRC2:USER_SGPR: 6
; COMPUTE_PGM_RSRC2:TRAP_HANDLER: 0
; COMPUTE_PGM_RSRC2:TGID_X_EN: 1
; COMPUTE_PGM_RSRC2:TGID_Y_EN: 0
; COMPUTE_PGM_RSRC2:TGID_Z_EN: 0
; COMPUTE_PGM_RSRC2:TIDIG_COMP_CNT: 2
	.section	.text._Z17sort_pairs_kernelI22helper_blocked_blockedN15benchmark_utils11custom_typeIiiEELj256ELj1ELj10EEvPKT0_PS4_,"axG",@progbits,_Z17sort_pairs_kernelI22helper_blocked_blockedN15benchmark_utils11custom_typeIiiEELj256ELj1ELj10EEvPKT0_PS4_,comdat
	.protected	_Z17sort_pairs_kernelI22helper_blocked_blockedN15benchmark_utils11custom_typeIiiEELj256ELj1ELj10EEvPKT0_PS4_ ; -- Begin function _Z17sort_pairs_kernelI22helper_blocked_blockedN15benchmark_utils11custom_typeIiiEELj256ELj1ELj10EEvPKT0_PS4_
	.globl	_Z17sort_pairs_kernelI22helper_blocked_blockedN15benchmark_utils11custom_typeIiiEELj256ELj1ELj10EEvPKT0_PS4_
	.p2align	8
	.type	_Z17sort_pairs_kernelI22helper_blocked_blockedN15benchmark_utils11custom_typeIiiEELj256ELj1ELj10EEvPKT0_PS4_,@function
_Z17sort_pairs_kernelI22helper_blocked_blockedN15benchmark_utils11custom_typeIiiEELj256ELj1ELj10EEvPKT0_PS4_: ; @_Z17sort_pairs_kernelI22helper_blocked_blockedN15benchmark_utils11custom_typeIiiEELj256ELj1ELj10EEvPKT0_PS4_
; %bb.0:
	s_load_dwordx4 s[28:31], s[4:5], 0x0
	s_load_dword s26, s[4:5], 0x1c
	s_lshl_b32 s36, s6, 8
	s_mov_b32 s37, 0
	s_lshl_b64 s[34:35], s[36:37], 3
	s_waitcnt lgkmcnt(0)
	s_add_u32 s0, s28, s34
	s_addc_u32 s1, s29, s35
	v_lshlrev_b32_e32 v3, 3, v0
	global_load_dwordx2 v[3:4], v3, s[0:1]
	s_lshr_b32 s27, s26, 16
	v_mbcnt_lo_u32_b32 v6, -1, 0
	s_and_b32 s26, s26, 0xffff
	v_mad_u32_u24 v1, v2, s27, v1
	v_mbcnt_hi_u32_b32 v6, -1, v6
	v_mad_u64_u32 v[1:2], s[26:27], v1, s26, v[0:1]
	v_subrev_co_u32_e64 v13, s[6:7], 1, v6
	v_and_b32_e32 v14, 64, v6
	v_lshlrev_b32_e32 v20, 4, v0
	v_and_b32_e32 v7, 0xc0, v0
	v_and_b32_e32 v10, 15, v6
	v_cmp_lt_i32_e32 vcc, v13, v14
	v_lshrrev_b32_e32 v8, 4, v0
	v_lshlrev_b32_e32 v9, 2, v0
	s_mov_b32 s28, s37
	v_or_b32_e32 v12, 63, v7
	v_and_b32_e32 v23, 3, v6
	v_lshlrev_b32_e32 v7, 3, v7
	v_mad_i32_i24 v22, v0, -12, v20
	s_mov_b32 s36, s37
	v_cmp_eq_u32_e64 s[10:11], 0, v10
	v_cmp_lt_u32_e64 s[12:13], 1, v10
	v_cmp_lt_u32_e64 s[14:15], 3, v10
	;; [unrolled: 1-line block ×3, first 2 shown]
	v_cndmask_b32_e32 v10, v13, v6, vcc
	s_mov_b32 s29, s37
	v_and_b32_e32 v11, 16, v6
	v_and_b32_e32 v21, 12, v8
	v_cmp_eq_u32_e64 s[22:23], 0, v23
	v_cmp_lt_u32_e64 s[24:25], 1, v23
	v_lshl_add_u32 v23, v6, 3, v7
	v_add_u32_e32 v24, v22, v9
	v_mov_b32_e32 v7, s36
	v_lshlrev_b32_e32 v26, 2, v10
	v_lshrrev_b32_e32 v1, 4, v1
	v_mov_b32_e32 v9, s28
	s_movk_i32 s33, 0xff
	v_mov_b32_e32 v15, 4
	v_mov_b32_e32 v16, 27
	;; [unrolled: 1-line block ×6, first 2 shown]
	v_cmp_gt_u32_e64 s[0:1], 4, v0
	v_cmp_lt_u32_e64 s[2:3], 63, v0
	v_cmp_eq_u32_e64 s[4:5], 0, v0
	s_mov_b32 s38, s37
	v_cmp_lt_u32_e64 s[8:9], 31, v6
	v_cmp_eq_u32_e64 s[18:19], 0, v11
	v_cmp_eq_u32_e64 s[20:21], v0, v12
	v_add_u32_e32 v25, -4, v21
	v_mov_b32_e32 v8, s37
	v_and_b32_e32 v27, 0xffffffc, v1
	v_mov_b32_e32 v10, s29
	s_waitcnt vmcnt(0)
	v_add_u32_e32 v14, 1, v4
	v_add_u32_e32 v13, 1, v3
	v_xor_b32_e32 v11, 0x80000000, v3
	v_xor_b32_e32 v12, 0x80000000, v4
	s_branch .LBB169_2
.LBB169_1:                              ;   in Loop: Header=BB169_2 Depth=1
	s_barrier
	ds_write_b64 v6, v[3:4]
	s_waitcnt lgkmcnt(0)
	s_barrier
	ds_read_b64 v[11:12], v24
	s_waitcnt lgkmcnt(0)
	s_barrier
	ds_write_b64 v6, v[1:2]
	s_waitcnt lgkmcnt(0)
	s_barrier
	ds_read_b64 v[13:14], v24
	s_add_i32 s38, s38, 1
	s_cmp_eq_u32 s38, 10
	s_cbranch_scc1 .LBB169_38
.LBB169_2:                              ; =>This Loop Header: Depth=1
                                        ;     Child Loop BB169_28 Depth 2
	v_and_b32_e32 v1, 1, v12
	v_add_co_u32_e32 v2, vcc, -1, v1
	v_addc_co_u32_e64 v4, s[26:27], 0, -1, vcc
	v_cmp_ne_u32_e32 vcc, 0, v1
	v_lshlrev_b32_e32 v6, 30, v12
	v_xor_b32_e32 v1, vcc_hi, v4
	v_xor_b32_e32 v2, vcc_lo, v2
	v_cmp_gt_i64_e32 vcc, 0, v[5:6]
	v_not_b32_e32 v4, v6
	v_ashrrev_i32_e32 v4, 31, v4
	v_and_b32_e32 v1, exec_hi, v1
	v_xor_b32_e32 v6, vcc_hi, v4
	v_and_b32_e32 v2, exec_lo, v2
	v_xor_b32_e32 v4, vcc_lo, v4
	v_and_b32_e32 v1, v1, v6
	v_lshlrev_b32_e32 v6, 29, v12
	v_and_b32_e32 v2, v2, v4
	v_cmp_gt_i64_e32 vcc, 0, v[5:6]
	v_not_b32_e32 v4, v6
	v_ashrrev_i32_e32 v4, 31, v4
	v_xor_b32_e32 v6, vcc_hi, v4
	v_xor_b32_e32 v4, vcc_lo, v4
	v_and_b32_e32 v1, v1, v6
	v_lshlrev_b32_e32 v6, 28, v12
	v_and_b32_e32 v2, v2, v4
	v_cmp_gt_i64_e32 vcc, 0, v[5:6]
	v_not_b32_e32 v4, v6
	v_ashrrev_i32_e32 v4, 31, v4
	v_xor_b32_e32 v6, vcc_hi, v4
	;; [unrolled: 8-line block ×6, first 2 shown]
	v_xor_b32_e32 v28, vcc_lo, v2
	v_and_b32_e32 v2, v1, v6
	v_and_b32_e32 v1, v4, v28
	v_mbcnt_lo_u32_b32 v4, v1, 0
	v_mbcnt_hi_u32_b32 v6, v2, v4
	v_cmp_ne_u64_e32 vcc, 0, v[1:2]
	v_lshlrev_b32_sdwa v3, v15, v12 dst_sel:DWORD dst_unused:UNUSED_PAD src0_sel:DWORD src1_sel:BYTE_0
	v_cmp_eq_u32_e64 s[26:27], 0, v6
	s_and_b64 s[40:41], s[26:27], vcc
	v_add_u32_e32 v28, v27, v3
	ds_write2_b64 v20, v[7:8], v[9:10] offset0:2 offset1:3
	s_waitcnt lgkmcnt(0)
	s_barrier
	; wave barrier
	s_and_saveexec_b64 s[26:27], s[40:41]
; %bb.3:                                ;   in Loop: Header=BB169_2 Depth=1
	v_bcnt_u32_b32 v1, v1, 0
	v_bcnt_u32_b32 v1, v2, v1
	ds_write_b32 v28, v1 offset:16
; %bb.4:                                ;   in Loop: Header=BB169_2 Depth=1
	s_or_b64 exec, exec, s[26:27]
	; wave barrier
	s_waitcnt lgkmcnt(0)
	s_barrier
	ds_read2_b64 v[1:4], v20 offset0:2 offset1:3
	s_waitcnt lgkmcnt(0)
	v_add_u32_e32 v29, v2, v1
	v_add3_u32 v4, v29, v3, v4
	s_nop 1
	v_mov_b32_dpp v29, v4 row_shr:1 row_mask:0xf bank_mask:0xf
	v_cndmask_b32_e64 v29, v29, 0, s[10:11]
	v_add_u32_e32 v4, v29, v4
	s_nop 1
	v_mov_b32_dpp v29, v4 row_shr:2 row_mask:0xf bank_mask:0xf
	v_cndmask_b32_e64 v29, 0, v29, s[12:13]
	v_add_u32_e32 v4, v4, v29
	;; [unrolled: 4-line block ×4, first 2 shown]
	s_nop 1
	v_mov_b32_dpp v29, v4 row_bcast:15 row_mask:0xf bank_mask:0xf
	v_cndmask_b32_e64 v29, v29, 0, s[18:19]
	v_add_u32_e32 v4, v4, v29
	s_nop 1
	v_mov_b32_dpp v29, v4 row_bcast:31 row_mask:0xf bank_mask:0xf
	v_cndmask_b32_e64 v29, 0, v29, s[8:9]
	v_add_u32_e32 v4, v4, v29
	s_and_saveexec_b64 s[26:27], s[20:21]
; %bb.5:                                ;   in Loop: Header=BB169_2 Depth=1
	ds_write_b32 v21, v4
; %bb.6:                                ;   in Loop: Header=BB169_2 Depth=1
	s_or_b64 exec, exec, s[26:27]
	s_waitcnt lgkmcnt(0)
	s_barrier
	s_and_saveexec_b64 s[26:27], s[0:1]
	s_cbranch_execz .LBB169_8
; %bb.7:                                ;   in Loop: Header=BB169_2 Depth=1
	ds_read_b32 v29, v22
	s_waitcnt lgkmcnt(0)
	s_nop 0
	v_mov_b32_dpp v30, v29 row_shr:1 row_mask:0xf bank_mask:0xf
	v_cndmask_b32_e64 v30, v30, 0, s[22:23]
	v_add_u32_e32 v29, v30, v29
	s_nop 1
	v_mov_b32_dpp v30, v29 row_shr:2 row_mask:0xf bank_mask:0xf
	v_cndmask_b32_e64 v30, 0, v30, s[24:25]
	v_add_u32_e32 v29, v29, v30
	ds_write_b32 v22, v29
.LBB169_8:                              ;   in Loop: Header=BB169_2 Depth=1
	s_or_b64 exec, exec, s[26:27]
	v_mov_b32_e32 v29, 0
	s_waitcnt lgkmcnt(0)
	s_barrier
	s_and_saveexec_b64 s[26:27], s[2:3]
; %bb.9:                                ;   in Loop: Header=BB169_2 Depth=1
	ds_read_b32 v29, v25
; %bb.10:                               ;   in Loop: Header=BB169_2 Depth=1
	s_or_b64 exec, exec, s[26:27]
	s_waitcnt lgkmcnt(0)
	v_add_u32_e32 v4, v29, v4
	ds_bpermute_b32 v4, v26, v4
	s_waitcnt lgkmcnt(0)
	v_cndmask_b32_e64 v4, v4, v29, s[6:7]
	v_cndmask_b32_e64 v29, v4, 0, s[4:5]
	v_add_u32_e32 v30, v29, v1
	v_add_u32_e32 v1, v30, v2
	;; [unrolled: 1-line block ×3, first 2 shown]
	ds_write2_b64 v20, v[29:30], v[1:2] offset0:2 offset1:3
	s_waitcnt lgkmcnt(0)
	s_barrier
	ds_read_b32 v1, v28 offset:16
	v_lshlrev_b32_e32 v2, 3, v6
	s_waitcnt lgkmcnt(0)
	s_barrier
	v_lshl_add_u32 v1, v1, 3, v2
	ds_write_b64 v1, v[11:12]
	s_waitcnt lgkmcnt(0)
	s_barrier
	ds_read_b64 v[11:12], v23
	s_waitcnt lgkmcnt(0)
	s_barrier
	ds_write_b64 v1, v[13:14]
	v_lshrrev_b32_e32 v1, 8, v12
	v_and_b32_e32 v2, 1, v1
	v_add_co_u32_e32 v4, vcc, -1, v2
	v_addc_co_u32_e64 v6, s[26:27], 0, -1, vcc
	v_cmp_ne_u32_e32 vcc, 0, v2
	v_xor_b32_e32 v2, vcc_hi, v6
	v_lshlrev_b32_e32 v6, 30, v1
	v_xor_b32_e32 v4, vcc_lo, v4
	v_cmp_gt_i64_e32 vcc, 0, v[5:6]
	v_not_b32_e32 v6, v6
	v_ashrrev_i32_e32 v6, 31, v6
	v_and_b32_e32 v4, exec_lo, v4
	v_xor_b32_e32 v28, vcc_hi, v6
	v_xor_b32_e32 v6, vcc_lo, v6
	v_and_b32_e32 v4, v4, v6
	v_lshlrev_b32_e32 v6, 29, v1
	v_cmp_gt_i64_e32 vcc, 0, v[5:6]
	v_not_b32_e32 v6, v6
	v_and_b32_e32 v2, exec_hi, v2
	v_ashrrev_i32_e32 v6, 31, v6
	v_and_b32_e32 v2, v2, v28
	v_xor_b32_e32 v28, vcc_hi, v6
	v_xor_b32_e32 v6, vcc_lo, v6
	v_and_b32_e32 v4, v4, v6
	v_lshlrev_b32_e32 v6, 28, v1
	v_cmp_gt_i64_e32 vcc, 0, v[5:6]
	v_not_b32_e32 v6, v6
	v_ashrrev_i32_e32 v6, 31, v6
	v_and_b32_e32 v2, v2, v28
	v_xor_b32_e32 v28, vcc_hi, v6
	v_xor_b32_e32 v6, vcc_lo, v6
	v_and_b32_e32 v4, v4, v6
	v_lshlrev_b32_e32 v6, 27, v1
	v_cmp_gt_i64_e32 vcc, 0, v[5:6]
	v_not_b32_e32 v6, v6
	;; [unrolled: 8-line block ×4, first 2 shown]
	v_ashrrev_i32_e32 v6, 31, v6
	v_and_b32_e32 v2, v2, v28
	v_xor_b32_e32 v28, vcc_hi, v6
	v_xor_b32_e32 v6, vcc_lo, v6
	v_and_b32_e32 v4, v4, v6
	v_lshlrev_b32_e32 v6, 24, v1
	v_lshlrev_b32_sdwa v3, v15, v1 dst_sel:DWORD dst_unused:UNUSED_PAD src0_sel:DWORD src1_sel:BYTE_0
	v_cmp_gt_i64_e32 vcc, 0, v[5:6]
	v_not_b32_e32 v1, v6
	v_ashrrev_i32_e32 v1, 31, v1
	v_xor_b32_e32 v6, vcc_hi, v1
	v_xor_b32_e32 v1, vcc_lo, v1
	s_waitcnt lgkmcnt(0)
	s_barrier
	ds_read_b64 v[13:14], v23
	v_and_b32_e32 v2, v2, v28
	v_and_b32_e32 v1, v4, v1
	;; [unrolled: 1-line block ×3, first 2 shown]
	v_mbcnt_lo_u32_b32 v4, v1, 0
	v_mbcnt_hi_u32_b32 v6, v2, v4
	v_cmp_ne_u64_e32 vcc, 0, v[1:2]
	v_cmp_eq_u32_e64 s[26:27], 0, v6
	s_and_b64 s[40:41], s[26:27], vcc
	v_add_u32_e32 v28, v27, v3
	s_waitcnt lgkmcnt(0)
	s_barrier
	ds_write2_b64 v20, v[7:8], v[9:10] offset0:2 offset1:3
	s_waitcnt lgkmcnt(0)
	s_barrier
	; wave barrier
	s_and_saveexec_b64 s[26:27], s[40:41]
; %bb.11:                               ;   in Loop: Header=BB169_2 Depth=1
	v_bcnt_u32_b32 v1, v1, 0
	v_bcnt_u32_b32 v1, v2, v1
	ds_write_b32 v28, v1 offset:16
; %bb.12:                               ;   in Loop: Header=BB169_2 Depth=1
	s_or_b64 exec, exec, s[26:27]
	; wave barrier
	s_waitcnt lgkmcnt(0)
	s_barrier
	ds_read2_b64 v[1:4], v20 offset0:2 offset1:3
	s_waitcnt lgkmcnt(0)
	v_add_u32_e32 v29, v2, v1
	v_add3_u32 v4, v29, v3, v4
	s_nop 1
	v_mov_b32_dpp v29, v4 row_shr:1 row_mask:0xf bank_mask:0xf
	v_cndmask_b32_e64 v29, v29, 0, s[10:11]
	v_add_u32_e32 v4, v29, v4
	s_nop 1
	v_mov_b32_dpp v29, v4 row_shr:2 row_mask:0xf bank_mask:0xf
	v_cndmask_b32_e64 v29, 0, v29, s[12:13]
	v_add_u32_e32 v4, v4, v29
	;; [unrolled: 4-line block ×4, first 2 shown]
	s_nop 1
	v_mov_b32_dpp v29, v4 row_bcast:15 row_mask:0xf bank_mask:0xf
	v_cndmask_b32_e64 v29, v29, 0, s[18:19]
	v_add_u32_e32 v4, v4, v29
	s_nop 1
	v_mov_b32_dpp v29, v4 row_bcast:31 row_mask:0xf bank_mask:0xf
	v_cndmask_b32_e64 v29, 0, v29, s[8:9]
	v_add_u32_e32 v4, v4, v29
	s_and_saveexec_b64 s[26:27], s[20:21]
; %bb.13:                               ;   in Loop: Header=BB169_2 Depth=1
	ds_write_b32 v21, v4
; %bb.14:                               ;   in Loop: Header=BB169_2 Depth=1
	s_or_b64 exec, exec, s[26:27]
	s_waitcnt lgkmcnt(0)
	s_barrier
	s_and_saveexec_b64 s[26:27], s[0:1]
	s_cbranch_execz .LBB169_16
; %bb.15:                               ;   in Loop: Header=BB169_2 Depth=1
	ds_read_b32 v29, v22
	s_waitcnt lgkmcnt(0)
	s_nop 0
	v_mov_b32_dpp v30, v29 row_shr:1 row_mask:0xf bank_mask:0xf
	v_cndmask_b32_e64 v30, v30, 0, s[22:23]
	v_add_u32_e32 v29, v30, v29
	s_nop 1
	v_mov_b32_dpp v30, v29 row_shr:2 row_mask:0xf bank_mask:0xf
	v_cndmask_b32_e64 v30, 0, v30, s[24:25]
	v_add_u32_e32 v29, v29, v30
	ds_write_b32 v22, v29
.LBB169_16:                             ;   in Loop: Header=BB169_2 Depth=1
	s_or_b64 exec, exec, s[26:27]
	v_mov_b32_e32 v29, 0
	s_waitcnt lgkmcnt(0)
	s_barrier
	s_and_saveexec_b64 s[26:27], s[2:3]
; %bb.17:                               ;   in Loop: Header=BB169_2 Depth=1
	ds_read_b32 v29, v25
; %bb.18:                               ;   in Loop: Header=BB169_2 Depth=1
	s_or_b64 exec, exec, s[26:27]
	s_waitcnt lgkmcnt(0)
	v_add_u32_e32 v4, v29, v4
	ds_bpermute_b32 v4, v26, v4
	s_waitcnt lgkmcnt(0)
	v_cndmask_b32_e64 v4, v4, v29, s[6:7]
	v_cndmask_b32_e64 v29, v4, 0, s[4:5]
	v_add_u32_e32 v30, v29, v1
	v_add_u32_e32 v1, v30, v2
	;; [unrolled: 1-line block ×3, first 2 shown]
	ds_write2_b64 v20, v[29:30], v[1:2] offset0:2 offset1:3
	s_waitcnt lgkmcnt(0)
	s_barrier
	ds_read_b32 v1, v28 offset:16
	v_lshlrev_b32_e32 v2, 3, v6
	s_waitcnt lgkmcnt(0)
	s_barrier
	v_lshl_add_u32 v1, v1, 3, v2
	ds_write_b64 v1, v[11:12]
	s_waitcnt lgkmcnt(0)
	s_barrier
	ds_read_b64 v[11:12], v23
	s_waitcnt lgkmcnt(0)
	s_barrier
	ds_write_b64 v1, v[13:14]
	v_mov_b32_e32 v1, s36
	v_mov_b32_e32 v3, s28
	;; [unrolled: 1-line block ×4, first 2 shown]
	s_waitcnt lgkmcnt(0)
	s_barrier
	ds_read_b64 v[13:14], v23
	s_waitcnt lgkmcnt(0)
	s_barrier
	ds_write2_b64 v20, v[1:2], v[3:4] offset0:2 offset1:3
	v_and_b32_sdwa v1, v12, s33 dst_sel:DWORD dst_unused:UNUSED_PAD src0_sel:WORD_1 src1_sel:DWORD
	v_lshlrev_b32_e32 v3, 4, v1
	v_mov_b32_e32 v1, 1
	v_and_b32_sdwa v1, v12, v1 dst_sel:DWORD dst_unused:UNUSED_PAD src0_sel:WORD_1 src1_sel:DWORD
	v_add_co_u32_e32 v2, vcc, -1, v1
	v_addc_co_u32_e64 v4, s[26:27], 0, -1, vcc
	v_cmp_ne_u32_e32 vcc, 0, v1
	v_xor_b32_e32 v1, vcc_hi, v4
	v_mov_b32_e32 v4, 30
	v_lshlrev_b32_sdwa v6, v4, v12 dst_sel:DWORD dst_unused:UNUSED_PAD src0_sel:DWORD src1_sel:WORD_1
	v_xor_b32_e32 v2, vcc_lo, v2
	v_cmp_gt_i64_e32 vcc, 0, v[5:6]
	v_not_b32_e32 v4, v6
	v_ashrrev_i32_e32 v4, 31, v4
	v_and_b32_e32 v2, exec_lo, v2
	v_xor_b32_e32 v6, vcc_hi, v4
	v_xor_b32_e32 v4, vcc_lo, v4
	v_and_b32_e32 v1, exec_hi, v1
	v_and_b32_e32 v2, v2, v4
	v_mov_b32_e32 v4, 29
	v_and_b32_e32 v1, v1, v6
	v_lshlrev_b32_sdwa v6, v4, v12 dst_sel:DWORD dst_unused:UNUSED_PAD src0_sel:DWORD src1_sel:WORD_1
	v_cmp_gt_i64_e32 vcc, 0, v[5:6]
	v_not_b32_e32 v4, v6
	v_ashrrev_i32_e32 v4, 31, v4
	v_xor_b32_e32 v6, vcc_hi, v4
	v_xor_b32_e32 v4, vcc_lo, v4
	v_and_b32_e32 v2, v2, v4
	v_mov_b32_e32 v4, 28
	v_and_b32_e32 v1, v1, v6
	v_lshlrev_b32_sdwa v6, v4, v12 dst_sel:DWORD dst_unused:UNUSED_PAD src0_sel:DWORD src1_sel:WORD_1
	v_cmp_gt_i64_e32 vcc, 0, v[5:6]
	v_not_b32_e32 v4, v6
	v_ashrrev_i32_e32 v4, 31, v4
	v_xor_b32_e32 v6, vcc_hi, v4
	v_xor_b32_e32 v4, vcc_lo, v4
	v_and_b32_e32 v1, v1, v6
	v_lshlrev_b32_sdwa v6, v16, v12 dst_sel:DWORD dst_unused:UNUSED_PAD src0_sel:DWORD src1_sel:WORD_1
	v_and_b32_e32 v2, v2, v4
	v_cmp_gt_i64_e32 vcc, 0, v[5:6]
	v_not_b32_e32 v4, v6
	v_ashrrev_i32_e32 v4, 31, v4
	v_xor_b32_e32 v6, vcc_hi, v4
	v_xor_b32_e32 v4, vcc_lo, v4
	v_and_b32_e32 v1, v1, v6
	v_lshlrev_b32_sdwa v6, v17, v12 dst_sel:DWORD dst_unused:UNUSED_PAD src0_sel:DWORD src1_sel:WORD_1
	v_and_b32_e32 v2, v2, v4
	;; [unrolled: 8-line block ×4, first 2 shown]
	v_cmp_gt_i64_e32 vcc, 0, v[5:6]
	v_not_b32_e32 v2, v6
	v_ashrrev_i32_e32 v2, 31, v2
	v_xor_b32_e32 v6, vcc_hi, v2
	v_xor_b32_e32 v28, vcc_lo, v2
	v_and_b32_e32 v2, v1, v6
	v_and_b32_e32 v1, v4, v28
	v_mbcnt_lo_u32_b32 v4, v1, 0
	v_mbcnt_hi_u32_b32 v6, v2, v4
	v_cmp_ne_u64_e32 vcc, 0, v[1:2]
	v_cmp_eq_u32_e64 s[26:27], 0, v6
	s_and_b64 s[40:41], s[26:27], vcc
	v_add_u32_e32 v28, v27, v3
	s_waitcnt lgkmcnt(0)
	s_barrier
	; wave barrier
	s_and_saveexec_b64 s[26:27], s[40:41]
; %bb.19:                               ;   in Loop: Header=BB169_2 Depth=1
	v_bcnt_u32_b32 v1, v1, 0
	v_bcnt_u32_b32 v1, v2, v1
	ds_write_b32 v28, v1 offset:16
; %bb.20:                               ;   in Loop: Header=BB169_2 Depth=1
	s_or_b64 exec, exec, s[26:27]
	; wave barrier
	s_waitcnt lgkmcnt(0)
	s_barrier
	ds_read2_b64 v[1:4], v20 offset0:2 offset1:3
	s_waitcnt lgkmcnt(0)
	v_add_u32_e32 v29, v2, v1
	v_add3_u32 v4, v29, v3, v4
	s_nop 1
	v_mov_b32_dpp v29, v4 row_shr:1 row_mask:0xf bank_mask:0xf
	v_cndmask_b32_e64 v29, v29, 0, s[10:11]
	v_add_u32_e32 v4, v29, v4
	s_nop 1
	v_mov_b32_dpp v29, v4 row_shr:2 row_mask:0xf bank_mask:0xf
	v_cndmask_b32_e64 v29, 0, v29, s[12:13]
	v_add_u32_e32 v4, v4, v29
	;; [unrolled: 4-line block ×4, first 2 shown]
	s_nop 1
	v_mov_b32_dpp v29, v4 row_bcast:15 row_mask:0xf bank_mask:0xf
	v_cndmask_b32_e64 v29, v29, 0, s[18:19]
	v_add_u32_e32 v4, v4, v29
	s_nop 1
	v_mov_b32_dpp v29, v4 row_bcast:31 row_mask:0xf bank_mask:0xf
	v_cndmask_b32_e64 v29, 0, v29, s[8:9]
	v_add_u32_e32 v4, v4, v29
	s_and_saveexec_b64 s[26:27], s[20:21]
; %bb.21:                               ;   in Loop: Header=BB169_2 Depth=1
	ds_write_b32 v21, v4
; %bb.22:                               ;   in Loop: Header=BB169_2 Depth=1
	s_or_b64 exec, exec, s[26:27]
	s_waitcnt lgkmcnt(0)
	s_barrier
	s_and_saveexec_b64 s[26:27], s[0:1]
	s_cbranch_execz .LBB169_24
; %bb.23:                               ;   in Loop: Header=BB169_2 Depth=1
	ds_read_b32 v29, v22
	s_waitcnt lgkmcnt(0)
	s_nop 0
	v_mov_b32_dpp v30, v29 row_shr:1 row_mask:0xf bank_mask:0xf
	v_cndmask_b32_e64 v30, v30, 0, s[22:23]
	v_add_u32_e32 v29, v30, v29
	s_nop 1
	v_mov_b32_dpp v30, v29 row_shr:2 row_mask:0xf bank_mask:0xf
	v_cndmask_b32_e64 v30, 0, v30, s[24:25]
	v_add_u32_e32 v29, v29, v30
	ds_write_b32 v22, v29
.LBB169_24:                             ;   in Loop: Header=BB169_2 Depth=1
	s_or_b64 exec, exec, s[26:27]
	v_mov_b32_e32 v29, 0
	s_waitcnt lgkmcnt(0)
	s_barrier
	s_and_saveexec_b64 s[26:27], s[2:3]
; %bb.25:                               ;   in Loop: Header=BB169_2 Depth=1
	ds_read_b32 v29, v25
; %bb.26:                               ;   in Loop: Header=BB169_2 Depth=1
	s_or_b64 exec, exec, s[26:27]
	s_waitcnt lgkmcnt(0)
	v_add_u32_e32 v4, v29, v4
	ds_bpermute_b32 v4, v26, v4
	s_mov_b32 s39, 24
	s_mov_b32 s40, 8
	s_waitcnt lgkmcnt(0)
	v_cndmask_b32_e64 v4, v4, v29, s[6:7]
	v_cndmask_b32_e64 v29, v4, 0, s[4:5]
	v_add_u32_e32 v30, v29, v1
	v_add_u32_e32 v1, v30, v2
	;; [unrolled: 1-line block ×3, first 2 shown]
	ds_write2_b64 v20, v[29:30], v[1:2] offset0:2 offset1:3
	s_waitcnt lgkmcnt(0)
	s_barrier
	ds_read_b32 v1, v28 offset:16
	v_lshlrev_b32_e32 v2, 3, v6
	s_waitcnt lgkmcnt(0)
	s_barrier
	v_lshl_add_u32 v1, v1, 3, v2
	ds_write_b64 v1, v[11:12]
	s_waitcnt lgkmcnt(0)
	s_barrier
	ds_read_b64 v[11:12], v23
	s_waitcnt lgkmcnt(0)
	s_barrier
	ds_write_b64 v1, v[13:14]
	s_waitcnt lgkmcnt(0)
	s_barrier
	ds_read_b64 v[13:14], v23
	s_waitcnt lgkmcnt(0)
	s_barrier
	s_branch .LBB169_28
.LBB169_27:                             ;   in Loop: Header=BB169_28 Depth=2
	s_barrier
	ds_write_b64 v6, v[3:4]
	s_waitcnt lgkmcnt(0)
	s_barrier
	ds_read_b64 v[11:12], v23
	s_waitcnt lgkmcnt(0)
	s_barrier
	ds_write_b64 v6, v[1:2]
	s_waitcnt lgkmcnt(0)
	s_barrier
	ds_read_b64 v[13:14], v23
	s_add_i32 s40, s40, -8
	s_add_i32 s39, s39, 8
	s_waitcnt lgkmcnt(0)
	s_barrier
	s_cbranch_execz .LBB169_1
.LBB169_28:                             ;   Parent Loop BB169_2 Depth=1
                                        ; =>  This Inner Loop Header: Depth=2
	s_cmp_lt_u32 s39, 32
	s_cselect_b64 vcc, -1, 0
	s_cmp_gt_u32 s39, 31
	s_cselect_b64 s[26:27], -1, 0
	s_max_i32 s41, s40, 0
	s_max_i32 s42, s39, 32
	s_sub_i32 s43, s42, 32
	s_sub_i32 s42, s42, s41
	;; [unrolled: 1-line block ×3, first 2 shown]
	s_min_i32 s42, s42, 32
	s_sub_i32 s42, s42, s43
	s_lshl_b32 s44, -1, s42
	v_mov_b32_e32 v1, s36
	v_mov_b32_e32 v3, s28
	s_not_b32 s44, s44
	v_mov_b32_e32 v2, s37
	v_mov_b32_e32 v4, s29
	s_cmp_lg_u32 s42, 32
	ds_write2_b64 v20, v[1:2], v[3:4] offset0:2 offset1:3
	s_cselect_b32 s42, s44, -1
	v_lshrrev_b32_e32 v2, s43, v11
	v_lshrrev_b32_e32 v1, s39, v12
	v_and_b32_e32 v2, s42, v2
	v_bfe_u32 v1, v1, 0, s40
	v_lshlrev_b32_e32 v2, s41, v2
	v_cndmask_b32_e32 v1, 0, v1, vcc
	v_cndmask_b32_e64 v2, 0, v2, s[26:27]
	v_or_b32_e32 v1, v1, v2
	v_and_b32_e32 v2, 1, v1
	v_add_co_u32_e32 v4, vcc, -1, v2
	v_addc_co_u32_e64 v6, s[26:27], 0, -1, vcc
	v_cmp_ne_u32_e32 vcc, 0, v2
	v_xor_b32_e32 v2, vcc_hi, v6
	v_lshlrev_b32_e32 v6, 30, v1
	v_xor_b32_e32 v4, vcc_lo, v4
	v_cmp_gt_i64_e32 vcc, 0, v[5:6]
	v_not_b32_e32 v6, v6
	v_ashrrev_i32_e32 v6, 31, v6
	v_and_b32_e32 v4, exec_lo, v4
	v_xor_b32_e32 v28, vcc_hi, v6
	v_xor_b32_e32 v6, vcc_lo, v6
	v_and_b32_e32 v4, v4, v6
	v_lshlrev_b32_e32 v6, 29, v1
	v_cmp_gt_i64_e32 vcc, 0, v[5:6]
	v_not_b32_e32 v6, v6
	v_and_b32_e32 v2, exec_hi, v2
	v_ashrrev_i32_e32 v6, 31, v6
	v_and_b32_e32 v2, v2, v28
	v_xor_b32_e32 v28, vcc_hi, v6
	v_xor_b32_e32 v6, vcc_lo, v6
	v_and_b32_e32 v4, v4, v6
	v_lshlrev_b32_e32 v6, 28, v1
	v_cmp_gt_i64_e32 vcc, 0, v[5:6]
	v_not_b32_e32 v6, v6
	v_ashrrev_i32_e32 v6, 31, v6
	v_and_b32_e32 v2, v2, v28
	v_xor_b32_e32 v28, vcc_hi, v6
	v_xor_b32_e32 v6, vcc_lo, v6
	v_and_b32_e32 v4, v4, v6
	v_lshlrev_b32_e32 v6, 27, v1
	v_cmp_gt_i64_e32 vcc, 0, v[5:6]
	v_not_b32_e32 v6, v6
	;; [unrolled: 8-line block ×4, first 2 shown]
	v_ashrrev_i32_e32 v6, 31, v6
	v_and_b32_e32 v2, v2, v28
	v_xor_b32_e32 v28, vcc_hi, v6
	v_xor_b32_e32 v6, vcc_lo, v6
	v_and_b32_e32 v4, v4, v6
	v_lshlrev_b32_e32 v6, 24, v1
	v_lshlrev_b32_e32 v3, 4, v1
	v_cmp_gt_i64_e32 vcc, 0, v[5:6]
	v_not_b32_e32 v1, v6
	v_ashrrev_i32_e32 v1, 31, v1
	v_xor_b32_e32 v6, vcc_hi, v1
	v_xor_b32_e32 v1, vcc_lo, v1
	v_and_b32_e32 v2, v2, v28
	v_and_b32_e32 v1, v4, v1
	;; [unrolled: 1-line block ×3, first 2 shown]
	v_mbcnt_lo_u32_b32 v4, v1, 0
	v_mbcnt_hi_u32_b32 v6, v2, v4
	v_cmp_ne_u64_e32 vcc, 0, v[1:2]
	v_cmp_eq_u32_e64 s[26:27], 0, v6
	s_and_b64 s[42:43], s[26:27], vcc
	v_add_u32_e32 v28, v27, v3
	s_waitcnt lgkmcnt(0)
	s_barrier
	; wave barrier
	s_and_saveexec_b64 s[26:27], s[42:43]
; %bb.29:                               ;   in Loop: Header=BB169_28 Depth=2
	v_bcnt_u32_b32 v1, v1, 0
	v_bcnt_u32_b32 v1, v2, v1
	ds_write_b32 v28, v1 offset:16
; %bb.30:                               ;   in Loop: Header=BB169_28 Depth=2
	s_or_b64 exec, exec, s[26:27]
	; wave barrier
	s_waitcnt lgkmcnt(0)
	s_barrier
	ds_read2_b64 v[1:4], v20 offset0:2 offset1:3
	s_waitcnt lgkmcnt(0)
	v_add_u32_e32 v29, v2, v1
	v_add3_u32 v4, v29, v3, v4
	s_nop 1
	v_mov_b32_dpp v29, v4 row_shr:1 row_mask:0xf bank_mask:0xf
	v_cndmask_b32_e64 v29, v29, 0, s[10:11]
	v_add_u32_e32 v4, v29, v4
	s_nop 1
	v_mov_b32_dpp v29, v4 row_shr:2 row_mask:0xf bank_mask:0xf
	v_cndmask_b32_e64 v29, 0, v29, s[12:13]
	v_add_u32_e32 v4, v4, v29
	;; [unrolled: 4-line block ×4, first 2 shown]
	s_nop 1
	v_mov_b32_dpp v29, v4 row_bcast:15 row_mask:0xf bank_mask:0xf
	v_cndmask_b32_e64 v29, v29, 0, s[18:19]
	v_add_u32_e32 v4, v4, v29
	s_nop 1
	v_mov_b32_dpp v29, v4 row_bcast:31 row_mask:0xf bank_mask:0xf
	v_cndmask_b32_e64 v29, 0, v29, s[8:9]
	v_add_u32_e32 v4, v4, v29
	s_and_saveexec_b64 s[26:27], s[20:21]
; %bb.31:                               ;   in Loop: Header=BB169_28 Depth=2
	ds_write_b32 v21, v4
; %bb.32:                               ;   in Loop: Header=BB169_28 Depth=2
	s_or_b64 exec, exec, s[26:27]
	s_waitcnt lgkmcnt(0)
	s_barrier
	s_and_saveexec_b64 s[26:27], s[0:1]
	s_cbranch_execz .LBB169_34
; %bb.33:                               ;   in Loop: Header=BB169_28 Depth=2
	ds_read_b32 v29, v22
	s_waitcnt lgkmcnt(0)
	s_nop 0
	v_mov_b32_dpp v30, v29 row_shr:1 row_mask:0xf bank_mask:0xf
	v_cndmask_b32_e64 v30, v30, 0, s[22:23]
	v_add_u32_e32 v29, v30, v29
	s_nop 1
	v_mov_b32_dpp v30, v29 row_shr:2 row_mask:0xf bank_mask:0xf
	v_cndmask_b32_e64 v30, 0, v30, s[24:25]
	v_add_u32_e32 v29, v29, v30
	ds_write_b32 v22, v29
.LBB169_34:                             ;   in Loop: Header=BB169_28 Depth=2
	s_or_b64 exec, exec, s[26:27]
	v_mov_b32_e32 v29, 0
	s_waitcnt lgkmcnt(0)
	s_barrier
	s_and_saveexec_b64 s[26:27], s[2:3]
; %bb.35:                               ;   in Loop: Header=BB169_28 Depth=2
	ds_read_b32 v29, v25
; %bb.36:                               ;   in Loop: Header=BB169_28 Depth=2
	s_or_b64 exec, exec, s[26:27]
	s_waitcnt lgkmcnt(0)
	v_add_u32_e32 v4, v29, v4
	ds_bpermute_b32 v4, v26, v4
	s_cmp_gt_u32 s39, 55
	s_waitcnt lgkmcnt(0)
	v_cndmask_b32_e64 v4, v4, v29, s[6:7]
	v_cndmask_b32_e64 v29, v4, 0, s[4:5]
	v_add_u32_e32 v30, v29, v1
	v_add_u32_e32 v1, v30, v2
	;; [unrolled: 1-line block ×3, first 2 shown]
	ds_write2_b64 v20, v[29:30], v[1:2] offset0:2 offset1:3
	s_waitcnt lgkmcnt(0)
	s_barrier
	ds_read_b32 v1, v28 offset:16
	v_lshlrev_b32_e32 v2, 3, v6
	v_mov_b32_e32 v3, v11
	v_mov_b32_e32 v4, v12
	s_waitcnt lgkmcnt(0)
	v_lshl_add_u32 v6, v1, 3, v2
	v_mov_b32_e32 v1, v13
	v_mov_b32_e32 v2, v14
	s_cbranch_scc0 .LBB169_27
; %bb.37:                               ;   in Loop: Header=BB169_2 Depth=1
                                        ; implicit-def: $sgpr39
                                        ; implicit-def: $vgpr13
                                        ; implicit-def: $vgpr11
                                        ; implicit-def: $sgpr40
	s_branch .LBB169_1
.LBB169_38:
	s_brev_b32 s0, 1
	s_waitcnt lgkmcnt(0)
	v_add3_u32 v1, v13, v11, s0
	v_add3_u32 v2, v14, v12, s0
	s_add_u32 s0, s30, s34
	s_addc_u32 s1, s31, s35
	v_lshlrev_b32_e32 v0, 3, v0
	global_store_dwordx2 v0, v[1:2], s[0:1]
	s_endpgm
	.section	.rodata,"a",@progbits
	.p2align	6, 0x0
	.amdhsa_kernel _Z17sort_pairs_kernelI22helper_blocked_blockedN15benchmark_utils11custom_typeIiiEELj256ELj1ELj10EEvPKT0_PS4_
		.amdhsa_group_segment_fixed_size 4112
		.amdhsa_private_segment_fixed_size 0
		.amdhsa_kernarg_size 272
		.amdhsa_user_sgpr_count 6
		.amdhsa_user_sgpr_private_segment_buffer 1
		.amdhsa_user_sgpr_dispatch_ptr 0
		.amdhsa_user_sgpr_queue_ptr 0
		.amdhsa_user_sgpr_kernarg_segment_ptr 1
		.amdhsa_user_sgpr_dispatch_id 0
		.amdhsa_user_sgpr_flat_scratch_init 0
		.amdhsa_user_sgpr_private_segment_size 0
		.amdhsa_uses_dynamic_stack 0
		.amdhsa_system_sgpr_private_segment_wavefront_offset 0
		.amdhsa_system_sgpr_workgroup_id_x 1
		.amdhsa_system_sgpr_workgroup_id_y 0
		.amdhsa_system_sgpr_workgroup_id_z 0
		.amdhsa_system_sgpr_workgroup_info 0
		.amdhsa_system_vgpr_workitem_id 2
		.amdhsa_next_free_vgpr 31
		.amdhsa_next_free_sgpr 45
		.amdhsa_reserve_vcc 1
		.amdhsa_reserve_flat_scratch 0
		.amdhsa_float_round_mode_32 0
		.amdhsa_float_round_mode_16_64 0
		.amdhsa_float_denorm_mode_32 3
		.amdhsa_float_denorm_mode_16_64 3
		.amdhsa_dx10_clamp 1
		.amdhsa_ieee_mode 1
		.amdhsa_fp16_overflow 0
		.amdhsa_exception_fp_ieee_invalid_op 0
		.amdhsa_exception_fp_denorm_src 0
		.amdhsa_exception_fp_ieee_div_zero 0
		.amdhsa_exception_fp_ieee_overflow 0
		.amdhsa_exception_fp_ieee_underflow 0
		.amdhsa_exception_fp_ieee_inexact 0
		.amdhsa_exception_int_div_zero 0
	.end_amdhsa_kernel
	.section	.text._Z17sort_pairs_kernelI22helper_blocked_blockedN15benchmark_utils11custom_typeIiiEELj256ELj1ELj10EEvPKT0_PS4_,"axG",@progbits,_Z17sort_pairs_kernelI22helper_blocked_blockedN15benchmark_utils11custom_typeIiiEELj256ELj1ELj10EEvPKT0_PS4_,comdat
.Lfunc_end169:
	.size	_Z17sort_pairs_kernelI22helper_blocked_blockedN15benchmark_utils11custom_typeIiiEELj256ELj1ELj10EEvPKT0_PS4_, .Lfunc_end169-_Z17sort_pairs_kernelI22helper_blocked_blockedN15benchmark_utils11custom_typeIiiEELj256ELj1ELj10EEvPKT0_PS4_
                                        ; -- End function
	.set _Z17sort_pairs_kernelI22helper_blocked_blockedN15benchmark_utils11custom_typeIiiEELj256ELj1ELj10EEvPKT0_PS4_.num_vgpr, 31
	.set _Z17sort_pairs_kernelI22helper_blocked_blockedN15benchmark_utils11custom_typeIiiEELj256ELj1ELj10EEvPKT0_PS4_.num_agpr, 0
	.set _Z17sort_pairs_kernelI22helper_blocked_blockedN15benchmark_utils11custom_typeIiiEELj256ELj1ELj10EEvPKT0_PS4_.numbered_sgpr, 45
	.set _Z17sort_pairs_kernelI22helper_blocked_blockedN15benchmark_utils11custom_typeIiiEELj256ELj1ELj10EEvPKT0_PS4_.num_named_barrier, 0
	.set _Z17sort_pairs_kernelI22helper_blocked_blockedN15benchmark_utils11custom_typeIiiEELj256ELj1ELj10EEvPKT0_PS4_.private_seg_size, 0
	.set _Z17sort_pairs_kernelI22helper_blocked_blockedN15benchmark_utils11custom_typeIiiEELj256ELj1ELj10EEvPKT0_PS4_.uses_vcc, 1
	.set _Z17sort_pairs_kernelI22helper_blocked_blockedN15benchmark_utils11custom_typeIiiEELj256ELj1ELj10EEvPKT0_PS4_.uses_flat_scratch, 0
	.set _Z17sort_pairs_kernelI22helper_blocked_blockedN15benchmark_utils11custom_typeIiiEELj256ELj1ELj10EEvPKT0_PS4_.has_dyn_sized_stack, 0
	.set _Z17sort_pairs_kernelI22helper_blocked_blockedN15benchmark_utils11custom_typeIiiEELj256ELj1ELj10EEvPKT0_PS4_.has_recursion, 0
	.set _Z17sort_pairs_kernelI22helper_blocked_blockedN15benchmark_utils11custom_typeIiiEELj256ELj1ELj10EEvPKT0_PS4_.has_indirect_call, 0
	.section	.AMDGPU.csdata,"",@progbits
; Kernel info:
; codeLenInByte = 4008
; TotalNumSgprs: 49
; NumVgprs: 31
; ScratchSize: 0
; MemoryBound: 0
; FloatMode: 240
; IeeeMode: 1
; LDSByteSize: 4112 bytes/workgroup (compile time only)
; SGPRBlocks: 6
; VGPRBlocks: 7
; NumSGPRsForWavesPerEU: 49
; NumVGPRsForWavesPerEU: 31
; Occupancy: 8
; WaveLimiterHint : 0
; COMPUTE_PGM_RSRC2:SCRATCH_EN: 0
; COMPUTE_PGM_RSRC2:USER_SGPR: 6
; COMPUTE_PGM_RSRC2:TRAP_HANDLER: 0
; COMPUTE_PGM_RSRC2:TGID_X_EN: 1
; COMPUTE_PGM_RSRC2:TGID_Y_EN: 0
; COMPUTE_PGM_RSRC2:TGID_Z_EN: 0
; COMPUTE_PGM_RSRC2:TIDIG_COMP_CNT: 2
	.section	.text._Z16sort_keys_kernelI22helper_blocked_blockedN15benchmark_utils11custom_typeIiiEELj256ELj3ELj10EEvPKT0_PS4_,"axG",@progbits,_Z16sort_keys_kernelI22helper_blocked_blockedN15benchmark_utils11custom_typeIiiEELj256ELj3ELj10EEvPKT0_PS4_,comdat
	.protected	_Z16sort_keys_kernelI22helper_blocked_blockedN15benchmark_utils11custom_typeIiiEELj256ELj3ELj10EEvPKT0_PS4_ ; -- Begin function _Z16sort_keys_kernelI22helper_blocked_blockedN15benchmark_utils11custom_typeIiiEELj256ELj3ELj10EEvPKT0_PS4_
	.globl	_Z16sort_keys_kernelI22helper_blocked_blockedN15benchmark_utils11custom_typeIiiEELj256ELj3ELj10EEvPKT0_PS4_
	.p2align	8
	.type	_Z16sort_keys_kernelI22helper_blocked_blockedN15benchmark_utils11custom_typeIiiEELj256ELj3ELj10EEvPKT0_PS4_,@function
_Z16sort_keys_kernelI22helper_blocked_blockedN15benchmark_utils11custom_typeIiiEELj256ELj3ELj10EEvPKT0_PS4_: ; @_Z16sort_keys_kernelI22helper_blocked_blockedN15benchmark_utils11custom_typeIiiEELj256ELj3ELj10EEvPKT0_PS4_
; %bb.0:
	s_load_dwordx4 s[36:39], s[4:5], 0x0
	s_load_dword s2, s[4:5], 0x1c
	s_mul_i32 s34, s6, 0x300
	s_mov_b32 s35, 0
	s_lshl_b64 s[40:41], s[34:35], 3
	s_waitcnt lgkmcnt(0)
	s_add_u32 s0, s36, s40
	s_addc_u32 s1, s37, s41
	v_lshlrev_b32_e32 v7, 3, v0
	v_mov_b32_e32 v3, s1
	v_add_co_u32_e32 v4, vcc, s0, v7
	v_addc_co_u32_e32 v3, vcc, 0, v3, vcc
	s_movk_i32 s3, 0x1000
	v_add_co_u32_e32 v5, vcc, s3, v4
	v_addc_co_u32_e32 v6, vcc, 0, v3, vcc
	global_load_dwordx2 v[3:4], v7, s[0:1]
	global_load_dwordx2 v[13:14], v7, s[0:1] offset:2048
	global_load_dwordx2 v[11:12], v[5:6], off
	s_lshr_b32 s0, s2, 16
	v_mbcnt_lo_u32_b32 v6, -1, 0
	s_and_b32 s1, s2, 0xffff
	v_mad_u32_u24 v1, v2, s0, v1
	v_mbcnt_hi_u32_b32 v6, -1, v6
	v_mad_u64_u32 v[1:2], s[0:1], v1, s1, v[0:1]
	v_lshrrev_b32_e32 v7, 6, v0
	v_and_b32_e32 v2, 15, v6
	v_mul_u32_u24_e32 v8, 0xc0, v7
	v_cmp_eq_u32_e64 s[0:1], 0, v2
	v_cmp_lt_u32_e64 s[2:3], 1, v2
	v_cmp_lt_u32_e64 s[4:5], 3, v2
	;; [unrolled: 1-line block ×3, first 2 shown]
	v_and_b32_e32 v2, 16, v6
	v_lshlrev_b32_e32 v8, 3, v8
	v_lshlrev_b32_e32 v9, 3, v6
	v_cmp_eq_u32_e64 s[8:9], 0, v2
	v_and_b32_e32 v2, 0xc0, v0
	v_mad_u32_u24 v19, v6, 24, v8
	v_add_u32_e32 v20, v9, v8
	v_or_b32_e32 v8, 63, v2
	v_cmp_eq_u32_e64 s[10:11], v0, v8
	v_subrev_co_u32_e64 v8, s[12:13], 1, v6
	v_and_b32_e32 v10, 64, v6
	v_cmp_lt_i32_e32 vcc, v8, v10
	v_lshlrev_b32_e32 v21, 4, v0
	v_cndmask_b32_e32 v8, v8, v6, vcc
	v_lshrrev_b32_e32 v1, 4, v1
	v_mul_u32_u24_e32 v2, 24, v2
	s_mov_b32 s34, s35
	s_mov_b32 s26, s35
	v_cmp_lt_u32_e64 s[14:15], 31, v6
	v_lshlrev_b32_e32 v22, 2, v8
	v_lshlrev_b32_e32 v23, 2, v7
	v_and_b32_e32 v6, 3, v6
	v_mad_i32_i24 v24, v0, -12, v21
	v_and_b32_e32 v25, 0xffffffc, v1
	v_add_u32_e32 v26, v9, v2
	v_mul_u32_u24_e32 v1, 20, v0
	s_mov_b32 s27, s35
	v_mov_b32_e32 v7, s34
	v_mov_b32_e32 v9, s26
	;; [unrolled: 1-line block ×3, first 2 shown]
	v_cmp_gt_u32_e64 s[16:17], 4, v0
	v_cmp_lt_u32_e64 s[18:19], 63, v0
	v_cmp_eq_u32_e64 s[20:21], 0, v0
	v_cmp_eq_u32_e64 s[22:23], 0, v6
	v_cmp_lt_u32_e64 s[24:25], 1, v6
	v_add_u32_e32 v27, v24, v1
	v_mov_b32_e32 v8, s35
	v_mov_b32_e32 v10, s27
	s_branch .LBB170_2
.LBB170_1:                              ;   in Loop: Header=BB170_2 Depth=1
	s_barrier
	ds_write_b64 v29, v[15:16]
	ds_write_b64 v28, v[13:14]
	;; [unrolled: 1-line block ×3, first 2 shown]
	s_waitcnt lgkmcnt(0)
	s_barrier
	ds_read2_b64 v[11:14], v27 offset1:1
	ds_read_b64 v[1:2], v27 offset:16
	s_add_i32 s35, s35, 1
	s_cmp_eq_u32 s35, 10
	s_waitcnt lgkmcnt(1)
	v_xor_b32_e32 v3, 0x80000000, v11
	v_xor_b32_e32 v4, 0x80000000, v12
	;; [unrolled: 1-line block ×4, first 2 shown]
	s_waitcnt lgkmcnt(0)
	v_xor_b32_e32 v11, 0x80000000, v1
	v_xor_b32_e32 v12, 0x80000000, v2
	s_cbranch_scc1 .LBB170_18
.LBB170_2:                              ; =>This Loop Header: Depth=1
                                        ;     Child Loop BB170_4 Depth 2
	s_waitcnt vmcnt(2)
	v_xor_b32_e32 v2, 0x80000000, v4
	v_xor_b32_e32 v1, 0x80000000, v3
	s_waitcnt vmcnt(1)
	v_xor_b32_e32 v4, 0x80000000, v14
	v_xor_b32_e32 v3, 0x80000000, v13
	;; [unrolled: 3-line block ×3, first 2 shown]
	ds_write2_b64 v19, v[1:2], v[3:4] offset1:1
	ds_write_b64 v19, v[11:12] offset:16
	; wave barrier
	ds_read2st64_b64 v[1:4], v20 offset1:1
	ds_read_b64 v[17:18], v20 offset:1024
	s_mov_b32 s33, 8
	s_mov_b32 s34, 32
	;; [unrolled: 1-line block ×3, first 2 shown]
	s_waitcnt lgkmcnt(0)
	s_barrier
	; wave barrier
	s_barrier
	s_branch .LBB170_4
.LBB170_3:                              ;   in Loop: Header=BB170_4 Depth=2
	s_andn2_b64 vcc, exec, s[26:27]
	s_cbranch_vccz .LBB170_1
.LBB170_4:                              ;   Parent Loop BB170_2 Depth=1
                                        ; =>  This Inner Loop Header: Depth=2
	s_min_i32 s28, s33, 32
	s_cmp_lt_u32 s36, 32
	s_cselect_b64 s[26:27], -1, 0
	s_cmp_gt_u32 s36, 31
	s_cselect_b64 vcc, -1, 0
	s_sub_i32 s28, s28, 32
	s_add_i32 s29, s28, s34
	s_lshl_b32 s29, -1, s29
	s_not_b32 s29, s29
	s_cmp_lg_u32 s28, s36
	s_cselect_b32 s42, s29, -1
	s_max_i32 s37, s34, 0
	s_max_i32 s28, s36, 32
	s_sub_i32 s43, s28, 32
	s_sub_i32 s28, s28, s37
	;; [unrolled: 1-line block ×3, first 2 shown]
	s_min_i32 s28, s28, 32
	s_sub_i32 s28, s28, s43
	s_lshl_b32 s29, -1, s28
	v_mov_b32_e32 v16, v2
	s_not_b32 s29, s29
	v_mov_b32_e32 v15, v1
	s_cmp_lg_u32 s28, 32
	s_cselect_b32 s44, s29, -1
	v_lshrrev_b32_e32 v2, s43, v15
	v_lshrrev_b32_e32 v1, s36, v16
	v_and_b32_e32 v2, s44, v2
	v_and_b32_e32 v1, s42, v1
	v_lshlrev_b32_e32 v2, s37, v2
	v_cndmask_b32_e64 v1, 0, v1, s[26:27]
	v_cndmask_b32_e32 v2, 0, v2, vcc
	v_or_b32_e32 v1, v1, v2
	v_mov_b32_e32 v14, v4
	v_and_b32_e32 v2, 1, v1
	v_mov_b32_e32 v13, v3
	v_add_co_u32_e64 v4, s[28:29], -1, v2
	v_addc_co_u32_e64 v6, s[28:29], 0, -1, s[28:29]
	v_cmp_ne_u32_e64 s[28:29], 0, v2
	v_xor_b32_e32 v2, s29, v6
	v_lshlrev_b32_e32 v6, 30, v1
	v_xor_b32_e32 v4, s28, v4
	v_cmp_gt_i64_e64 s[28:29], 0, v[5:6]
	v_not_b32_e32 v6, v6
	v_mov_b32_e32 v11, v17
	v_ashrrev_i32_e32 v6, 31, v6
	v_mov_b32_e32 v12, v18
	v_and_b32_e32 v4, exec_lo, v4
	v_xor_b32_e32 v17, s29, v6
	v_xor_b32_e32 v6, s28, v6
	v_and_b32_e32 v4, v4, v6
	v_lshlrev_b32_e32 v6, 29, v1
	v_cmp_gt_i64_e64 s[28:29], 0, v[5:6]
	v_not_b32_e32 v6, v6
	v_and_b32_e32 v2, exec_hi, v2
	v_ashrrev_i32_e32 v6, 31, v6
	v_and_b32_e32 v2, v2, v17
	v_xor_b32_e32 v17, s29, v6
	v_xor_b32_e32 v6, s28, v6
	v_and_b32_e32 v4, v4, v6
	v_lshlrev_b32_e32 v6, 28, v1
	v_cmp_gt_i64_e64 s[28:29], 0, v[5:6]
	v_not_b32_e32 v6, v6
	v_ashrrev_i32_e32 v6, 31, v6
	v_and_b32_e32 v2, v2, v17
	v_xor_b32_e32 v17, s29, v6
	v_xor_b32_e32 v6, s28, v6
	v_and_b32_e32 v4, v4, v6
	v_lshlrev_b32_e32 v6, 27, v1
	v_cmp_gt_i64_e64 s[28:29], 0, v[5:6]
	v_not_b32_e32 v6, v6
	;; [unrolled: 8-line block ×4, first 2 shown]
	v_ashrrev_i32_e32 v6, 31, v6
	v_and_b32_e32 v2, v2, v17
	v_xor_b32_e32 v17, s29, v6
	v_xor_b32_e32 v6, s28, v6
	v_and_b32_e32 v4, v4, v6
	v_lshlrev_b32_e32 v6, 24, v1
	v_lshlrev_b32_e32 v3, 4, v1
	v_cmp_gt_i64_e64 s[28:29], 0, v[5:6]
	v_not_b32_e32 v1, v6
	v_ashrrev_i32_e32 v1, 31, v1
	v_xor_b32_e32 v6, s29, v1
	v_xor_b32_e32 v1, s28, v1
	v_and_b32_e32 v2, v2, v17
	v_and_b32_e32 v1, v4, v1
	v_and_b32_e32 v2, v2, v6
	v_mbcnt_lo_u32_b32 v4, v1, 0
	v_mbcnt_hi_u32_b32 v17, v2, v4
	v_cmp_ne_u64_e64 s[28:29], 0, v[1:2]
	v_cmp_eq_u32_e64 s[30:31], 0, v17
	s_and_b64 s[30:31], s[30:31], s[28:29]
	v_add_u32_e32 v18, v25, v3
	ds_write2_b64 v21, v[7:8], v[9:10] offset0:2 offset1:3
	s_waitcnt lgkmcnt(0)
	s_barrier
	; wave barrier
	s_and_saveexec_b64 s[28:29], s[30:31]
; %bb.5:                                ;   in Loop: Header=BB170_4 Depth=2
	v_bcnt_u32_b32 v1, v1, 0
	v_bcnt_u32_b32 v1, v2, v1
	ds_write_b32 v18, v1 offset:16
; %bb.6:                                ;   in Loop: Header=BB170_4 Depth=2
	s_or_b64 exec, exec, s[28:29]
	v_lshrrev_b32_e32 v2, s43, v13
	v_lshrrev_b32_e32 v1, s36, v14
	v_and_b32_e32 v2, s44, v2
	v_and_b32_e32 v1, s42, v1
	v_lshlrev_b32_e32 v2, s37, v2
	v_cndmask_b32_e64 v1, 0, v1, s[26:27]
	v_cndmask_b32_e32 v2, 0, v2, vcc
	v_or_b32_e32 v1, v1, v2
	v_lshlrev_b32_e32 v2, 4, v1
	v_add_u32_e32 v29, v25, v2
	v_and_b32_e32 v2, 1, v1
	v_add_co_u32_e64 v3, s[28:29], -1, v2
	v_addc_co_u32_e64 v4, s[28:29], 0, -1, s[28:29]
	v_cmp_ne_u32_e64 s[28:29], 0, v2
	v_lshlrev_b32_e32 v6, 30, v1
	v_xor_b32_e32 v2, s29, v4
	v_xor_b32_e32 v3, s28, v3
	v_cmp_gt_i64_e64 s[28:29], 0, v[5:6]
	v_not_b32_e32 v4, v6
	v_ashrrev_i32_e32 v4, 31, v4
	v_and_b32_e32 v2, exec_hi, v2
	v_xor_b32_e32 v6, s29, v4
	v_and_b32_e32 v3, exec_lo, v3
	v_xor_b32_e32 v4, s28, v4
	v_and_b32_e32 v2, v2, v6
	v_lshlrev_b32_e32 v6, 29, v1
	v_and_b32_e32 v3, v3, v4
	v_cmp_gt_i64_e64 s[28:29], 0, v[5:6]
	v_not_b32_e32 v4, v6
	v_ashrrev_i32_e32 v4, 31, v4
	v_xor_b32_e32 v6, s29, v4
	v_xor_b32_e32 v4, s28, v4
	v_and_b32_e32 v2, v2, v6
	v_lshlrev_b32_e32 v6, 28, v1
	v_and_b32_e32 v3, v3, v4
	v_cmp_gt_i64_e64 s[28:29], 0, v[5:6]
	v_not_b32_e32 v4, v6
	v_ashrrev_i32_e32 v4, 31, v4
	v_xor_b32_e32 v6, s29, v4
	;; [unrolled: 8-line block ×5, first 2 shown]
	v_and_b32_e32 v2, v2, v6
	v_lshlrev_b32_e32 v6, 24, v1
	v_xor_b32_e32 v4, s28, v4
	v_cmp_gt_i64_e64 s[28:29], 0, v[5:6]
	v_not_b32_e32 v1, v6
	v_ashrrev_i32_e32 v1, 31, v1
	v_and_b32_e32 v3, v3, v4
	v_xor_b32_e32 v4, s29, v1
	v_xor_b32_e32 v1, s28, v1
	; wave barrier
	ds_read_b32 v28, v29 offset:16
	v_and_b32_e32 v1, v3, v1
	v_and_b32_e32 v2, v2, v4
	v_mbcnt_lo_u32_b32 v3, v1, 0
	v_mbcnt_hi_u32_b32 v30, v2, v3
	v_cmp_ne_u64_e64 s[28:29], 0, v[1:2]
	v_cmp_eq_u32_e64 s[30:31], 0, v30
	s_and_b64 s[30:31], s[30:31], s[28:29]
	; wave barrier
	s_and_saveexec_b64 s[28:29], s[30:31]
	s_cbranch_execz .LBB170_8
; %bb.7:                                ;   in Loop: Header=BB170_4 Depth=2
	v_bcnt_u32_b32 v1, v1, 0
	v_bcnt_u32_b32 v1, v2, v1
	s_waitcnt lgkmcnt(0)
	v_add_u32_e32 v1, v28, v1
	ds_write_b32 v29, v1 offset:16
.LBB170_8:                              ;   in Loop: Header=BB170_4 Depth=2
	s_or_b64 exec, exec, s[28:29]
	v_lshrrev_b32_e32 v2, s43, v11
	v_lshrrev_b32_e32 v1, s36, v12
	v_and_b32_e32 v2, s44, v2
	v_and_b32_e32 v1, s42, v1
	v_lshlrev_b32_e32 v2, s37, v2
	v_cndmask_b32_e64 v1, 0, v1, s[26:27]
	v_cndmask_b32_e32 v2, 0, v2, vcc
	v_or_b32_e32 v1, v1, v2
	v_lshlrev_b32_e32 v2, 4, v1
	v_add_u32_e32 v32, v25, v2
	v_and_b32_e32 v2, 1, v1
	v_add_co_u32_e32 v3, vcc, -1, v2
	v_addc_co_u32_e64 v4, s[26:27], 0, -1, vcc
	v_cmp_ne_u32_e32 vcc, 0, v2
	v_lshlrev_b32_e32 v6, 30, v1
	v_xor_b32_e32 v2, vcc_hi, v4
	v_xor_b32_e32 v3, vcc_lo, v3
	v_cmp_gt_i64_e32 vcc, 0, v[5:6]
	v_not_b32_e32 v4, v6
	v_ashrrev_i32_e32 v4, 31, v4
	v_and_b32_e32 v2, exec_hi, v2
	v_xor_b32_e32 v6, vcc_hi, v4
	v_and_b32_e32 v3, exec_lo, v3
	v_xor_b32_e32 v4, vcc_lo, v4
	v_and_b32_e32 v2, v2, v6
	v_lshlrev_b32_e32 v6, 29, v1
	v_and_b32_e32 v3, v3, v4
	v_cmp_gt_i64_e32 vcc, 0, v[5:6]
	v_not_b32_e32 v4, v6
	v_ashrrev_i32_e32 v4, 31, v4
	v_xor_b32_e32 v6, vcc_hi, v4
	v_xor_b32_e32 v4, vcc_lo, v4
	v_and_b32_e32 v2, v2, v6
	v_lshlrev_b32_e32 v6, 28, v1
	v_and_b32_e32 v3, v3, v4
	v_cmp_gt_i64_e32 vcc, 0, v[5:6]
	v_not_b32_e32 v4, v6
	v_ashrrev_i32_e32 v4, 31, v4
	v_xor_b32_e32 v6, vcc_hi, v4
	;; [unrolled: 8-line block ×5, first 2 shown]
	v_and_b32_e32 v2, v2, v6
	v_lshlrev_b32_e32 v6, 24, v1
	v_xor_b32_e32 v4, vcc_lo, v4
	v_cmp_gt_i64_e32 vcc, 0, v[5:6]
	v_not_b32_e32 v1, v6
	v_ashrrev_i32_e32 v1, 31, v1
	v_and_b32_e32 v3, v3, v4
	v_xor_b32_e32 v4, vcc_hi, v1
	v_xor_b32_e32 v1, vcc_lo, v1
	; wave barrier
	ds_read_b32 v31, v32 offset:16
	v_and_b32_e32 v1, v3, v1
	v_and_b32_e32 v2, v2, v4
	v_mbcnt_lo_u32_b32 v3, v1, 0
	v_mbcnt_hi_u32_b32 v6, v2, v3
	v_cmp_ne_u64_e32 vcc, 0, v[1:2]
	v_cmp_eq_u32_e64 s[26:27], 0, v6
	s_and_b64 s[28:29], s[26:27], vcc
	; wave barrier
	s_and_saveexec_b64 s[26:27], s[28:29]
	s_cbranch_execz .LBB170_10
; %bb.9:                                ;   in Loop: Header=BB170_4 Depth=2
	v_bcnt_u32_b32 v1, v1, 0
	v_bcnt_u32_b32 v1, v2, v1
	s_waitcnt lgkmcnt(0)
	v_add_u32_e32 v1, v31, v1
	ds_write_b32 v32, v1 offset:16
.LBB170_10:                             ;   in Loop: Header=BB170_4 Depth=2
	s_or_b64 exec, exec, s[26:27]
	; wave barrier
	s_waitcnt lgkmcnt(0)
	s_barrier
	ds_read2_b64 v[1:4], v21 offset0:2 offset1:3
	s_waitcnt lgkmcnt(0)
	v_add_u32_e32 v33, v2, v1
	v_add3_u32 v4, v33, v3, v4
	s_nop 1
	v_mov_b32_dpp v33, v4 row_shr:1 row_mask:0xf bank_mask:0xf
	v_cndmask_b32_e64 v33, v33, 0, s[0:1]
	v_add_u32_e32 v4, v33, v4
	s_nop 1
	v_mov_b32_dpp v33, v4 row_shr:2 row_mask:0xf bank_mask:0xf
	v_cndmask_b32_e64 v33, 0, v33, s[2:3]
	v_add_u32_e32 v4, v4, v33
	;; [unrolled: 4-line block ×4, first 2 shown]
	s_nop 1
	v_mov_b32_dpp v33, v4 row_bcast:15 row_mask:0xf bank_mask:0xf
	v_cndmask_b32_e64 v33, v33, 0, s[8:9]
	v_add_u32_e32 v4, v4, v33
	s_nop 1
	v_mov_b32_dpp v33, v4 row_bcast:31 row_mask:0xf bank_mask:0xf
	v_cndmask_b32_e64 v33, 0, v33, s[14:15]
	v_add_u32_e32 v4, v4, v33
	s_and_saveexec_b64 s[26:27], s[10:11]
; %bb.11:                               ;   in Loop: Header=BB170_4 Depth=2
	ds_write_b32 v23, v4
; %bb.12:                               ;   in Loop: Header=BB170_4 Depth=2
	s_or_b64 exec, exec, s[26:27]
	s_waitcnt lgkmcnt(0)
	s_barrier
	s_and_saveexec_b64 s[26:27], s[16:17]
	s_cbranch_execz .LBB170_14
; %bb.13:                               ;   in Loop: Header=BB170_4 Depth=2
	ds_read_b32 v33, v24
	s_waitcnt lgkmcnt(0)
	s_nop 0
	v_mov_b32_dpp v34, v33 row_shr:1 row_mask:0xf bank_mask:0xf
	v_cndmask_b32_e64 v34, v34, 0, s[22:23]
	v_add_u32_e32 v33, v34, v33
	s_nop 1
	v_mov_b32_dpp v34, v33 row_shr:2 row_mask:0xf bank_mask:0xf
	v_cndmask_b32_e64 v34, 0, v34, s[24:25]
	v_add_u32_e32 v33, v33, v34
	ds_write_b32 v24, v33
.LBB170_14:                             ;   in Loop: Header=BB170_4 Depth=2
	s_or_b64 exec, exec, s[26:27]
	v_mov_b32_e32 v33, 0
	s_waitcnt lgkmcnt(0)
	s_barrier
	s_and_saveexec_b64 s[26:27], s[18:19]
; %bb.15:                               ;   in Loop: Header=BB170_4 Depth=2
	v_add_u32_e32 v33, -4, v23
	ds_read_b32 v33, v33
; %bb.16:                               ;   in Loop: Header=BB170_4 Depth=2
	s_or_b64 exec, exec, s[26:27]
	s_waitcnt lgkmcnt(0)
	v_add_u32_e32 v4, v33, v4
	ds_bpermute_b32 v4, v22, v4
	s_cmp_gt_u32 s36, 55
	s_mov_b64 s[26:27], -1
	s_waitcnt lgkmcnt(0)
	v_cndmask_b32_e64 v4, v4, v33, s[12:13]
	v_cndmask_b32_e64 v33, v4, 0, s[20:21]
	v_add_u32_e32 v34, v33, v1
	v_add_u32_e32 v1, v34, v2
	;; [unrolled: 1-line block ×3, first 2 shown]
	ds_write2_b64 v21, v[33:34], v[1:2] offset0:2 offset1:3
	s_waitcnt lgkmcnt(0)
	s_barrier
	ds_read_b32 v1, v18 offset:16
	ds_read_b32 v2, v29 offset:16
	ds_read_b32 v3, v32 offset:16
	v_lshlrev_b32_e32 v4, 3, v17
	s_waitcnt lgkmcnt(0)
	v_lshl_add_u32 v29, v1, 3, v4
	v_lshlrev_b32_e32 v1, 3, v30
	v_lshlrev_b32_e32 v4, 3, v28
	;; [unrolled: 1-line block ×3, first 2 shown]
	v_add3_u32 v28, v1, v4, v2
	v_lshlrev_b32_e32 v1, 3, v6
	v_lshlrev_b32_e32 v2, 3, v31
	;; [unrolled: 1-line block ×3, first 2 shown]
	v_add3_u32 v6, v1, v2, v3
                                        ; implicit-def: $vgpr1_vgpr2
                                        ; implicit-def: $vgpr17_vgpr18
	s_cbranch_scc1 .LBB170_3
; %bb.17:                               ;   in Loop: Header=BB170_4 Depth=2
	s_barrier
	ds_write_b64 v29, v[15:16]
	ds_write_b64 v28, v[13:14]
	ds_write_b64 v6, v[11:12]
	s_waitcnt lgkmcnt(0)
	s_barrier
	ds_read2st64_b64 v[1:4], v26 offset1:1
	ds_read_b64 v[17:18], v26 offset:1024
	s_add_i32 s34, s34, -8
	s_add_i32 s33, s33, 8
	s_add_i32 s36, s36, 8
	s_mov_b64 s[26:27], 0
	s_waitcnt lgkmcnt(0)
	s_barrier
	s_branch .LBB170_3
.LBB170_18:
	s_add_u32 s0, s38, s40
	s_addc_u32 s1, s39, s41
	v_lshlrev_b32_e32 v0, 3, v0
	v_mov_b32_e32 v1, s1
	v_add_co_u32_e32 v2, vcc, s0, v0
	v_addc_co_u32_e32 v1, vcc, 0, v1, vcc
	global_store_dwordx2 v0, v[3:4], s[0:1]
	global_store_dwordx2 v0, v[13:14], s[0:1] offset:2048
	v_add_co_u32_e32 v0, vcc, 0x1000, v2
	v_addc_co_u32_e32 v1, vcc, 0, v1, vcc
	global_store_dwordx2 v[0:1], v[11:12], off
	s_endpgm
	.section	.rodata,"a",@progbits
	.p2align	6, 0x0
	.amdhsa_kernel _Z16sort_keys_kernelI22helper_blocked_blockedN15benchmark_utils11custom_typeIiiEELj256ELj3ELj10EEvPKT0_PS4_
		.amdhsa_group_segment_fixed_size 6144
		.amdhsa_private_segment_fixed_size 0
		.amdhsa_kernarg_size 272
		.amdhsa_user_sgpr_count 6
		.amdhsa_user_sgpr_private_segment_buffer 1
		.amdhsa_user_sgpr_dispatch_ptr 0
		.amdhsa_user_sgpr_queue_ptr 0
		.amdhsa_user_sgpr_kernarg_segment_ptr 1
		.amdhsa_user_sgpr_dispatch_id 0
		.amdhsa_user_sgpr_flat_scratch_init 0
		.amdhsa_user_sgpr_private_segment_size 0
		.amdhsa_uses_dynamic_stack 0
		.amdhsa_system_sgpr_private_segment_wavefront_offset 0
		.amdhsa_system_sgpr_workgroup_id_x 1
		.amdhsa_system_sgpr_workgroup_id_y 0
		.amdhsa_system_sgpr_workgroup_id_z 0
		.amdhsa_system_sgpr_workgroup_info 0
		.amdhsa_system_vgpr_workitem_id 2
		.amdhsa_next_free_vgpr 35
		.amdhsa_next_free_sgpr 45
		.amdhsa_reserve_vcc 1
		.amdhsa_reserve_flat_scratch 0
		.amdhsa_float_round_mode_32 0
		.amdhsa_float_round_mode_16_64 0
		.amdhsa_float_denorm_mode_32 3
		.amdhsa_float_denorm_mode_16_64 3
		.amdhsa_dx10_clamp 1
		.amdhsa_ieee_mode 1
		.amdhsa_fp16_overflow 0
		.amdhsa_exception_fp_ieee_invalid_op 0
		.amdhsa_exception_fp_denorm_src 0
		.amdhsa_exception_fp_ieee_div_zero 0
		.amdhsa_exception_fp_ieee_overflow 0
		.amdhsa_exception_fp_ieee_underflow 0
		.amdhsa_exception_fp_ieee_inexact 0
		.amdhsa_exception_int_div_zero 0
	.end_amdhsa_kernel
	.section	.text._Z16sort_keys_kernelI22helper_blocked_blockedN15benchmark_utils11custom_typeIiiEELj256ELj3ELj10EEvPKT0_PS4_,"axG",@progbits,_Z16sort_keys_kernelI22helper_blocked_blockedN15benchmark_utils11custom_typeIiiEELj256ELj3ELj10EEvPKT0_PS4_,comdat
.Lfunc_end170:
	.size	_Z16sort_keys_kernelI22helper_blocked_blockedN15benchmark_utils11custom_typeIiiEELj256ELj3ELj10EEvPKT0_PS4_, .Lfunc_end170-_Z16sort_keys_kernelI22helper_blocked_blockedN15benchmark_utils11custom_typeIiiEELj256ELj3ELj10EEvPKT0_PS4_
                                        ; -- End function
	.set _Z16sort_keys_kernelI22helper_blocked_blockedN15benchmark_utils11custom_typeIiiEELj256ELj3ELj10EEvPKT0_PS4_.num_vgpr, 35
	.set _Z16sort_keys_kernelI22helper_blocked_blockedN15benchmark_utils11custom_typeIiiEELj256ELj3ELj10EEvPKT0_PS4_.num_agpr, 0
	.set _Z16sort_keys_kernelI22helper_blocked_blockedN15benchmark_utils11custom_typeIiiEELj256ELj3ELj10EEvPKT0_PS4_.numbered_sgpr, 45
	.set _Z16sort_keys_kernelI22helper_blocked_blockedN15benchmark_utils11custom_typeIiiEELj256ELj3ELj10EEvPKT0_PS4_.num_named_barrier, 0
	.set _Z16sort_keys_kernelI22helper_blocked_blockedN15benchmark_utils11custom_typeIiiEELj256ELj3ELj10EEvPKT0_PS4_.private_seg_size, 0
	.set _Z16sort_keys_kernelI22helper_blocked_blockedN15benchmark_utils11custom_typeIiiEELj256ELj3ELj10EEvPKT0_PS4_.uses_vcc, 1
	.set _Z16sort_keys_kernelI22helper_blocked_blockedN15benchmark_utils11custom_typeIiiEELj256ELj3ELj10EEvPKT0_PS4_.uses_flat_scratch, 0
	.set _Z16sort_keys_kernelI22helper_blocked_blockedN15benchmark_utils11custom_typeIiiEELj256ELj3ELj10EEvPKT0_PS4_.has_dyn_sized_stack, 0
	.set _Z16sort_keys_kernelI22helper_blocked_blockedN15benchmark_utils11custom_typeIiiEELj256ELj3ELj10EEvPKT0_PS4_.has_recursion, 0
	.set _Z16sort_keys_kernelI22helper_blocked_blockedN15benchmark_utils11custom_typeIiiEELj256ELj3ELj10EEvPKT0_PS4_.has_indirect_call, 0
	.section	.AMDGPU.csdata,"",@progbits
; Kernel info:
; codeLenInByte = 2608
; TotalNumSgprs: 49
; NumVgprs: 35
; ScratchSize: 0
; MemoryBound: 0
; FloatMode: 240
; IeeeMode: 1
; LDSByteSize: 6144 bytes/workgroup (compile time only)
; SGPRBlocks: 6
; VGPRBlocks: 8
; NumSGPRsForWavesPerEU: 49
; NumVGPRsForWavesPerEU: 35
; Occupancy: 7
; WaveLimiterHint : 1
; COMPUTE_PGM_RSRC2:SCRATCH_EN: 0
; COMPUTE_PGM_RSRC2:USER_SGPR: 6
; COMPUTE_PGM_RSRC2:TRAP_HANDLER: 0
; COMPUTE_PGM_RSRC2:TGID_X_EN: 1
; COMPUTE_PGM_RSRC2:TGID_Y_EN: 0
; COMPUTE_PGM_RSRC2:TGID_Z_EN: 0
; COMPUTE_PGM_RSRC2:TIDIG_COMP_CNT: 2
	.section	.text._Z17sort_pairs_kernelI22helper_blocked_blockedN15benchmark_utils11custom_typeIiiEELj256ELj3ELj10EEvPKT0_PS4_,"axG",@progbits,_Z17sort_pairs_kernelI22helper_blocked_blockedN15benchmark_utils11custom_typeIiiEELj256ELj3ELj10EEvPKT0_PS4_,comdat
	.protected	_Z17sort_pairs_kernelI22helper_blocked_blockedN15benchmark_utils11custom_typeIiiEELj256ELj3ELj10EEvPKT0_PS4_ ; -- Begin function _Z17sort_pairs_kernelI22helper_blocked_blockedN15benchmark_utils11custom_typeIiiEELj256ELj3ELj10EEvPKT0_PS4_
	.globl	_Z17sort_pairs_kernelI22helper_blocked_blockedN15benchmark_utils11custom_typeIiiEELj256ELj3ELj10EEvPKT0_PS4_
	.p2align	8
	.type	_Z17sort_pairs_kernelI22helper_blocked_blockedN15benchmark_utils11custom_typeIiiEELj256ELj3ELj10EEvPKT0_PS4_,@function
_Z17sort_pairs_kernelI22helper_blocked_blockedN15benchmark_utils11custom_typeIiiEELj256ELj3ELj10EEvPKT0_PS4_: ; @_Z17sort_pairs_kernelI22helper_blocked_blockedN15benchmark_utils11custom_typeIiiEELj256ELj3ELj10EEvPKT0_PS4_
; %bb.0:
	s_load_dwordx4 s[36:39], s[4:5], 0x0
	s_load_dword s28, s[4:5], 0x1c
	s_mul_i32 s40, s6, 0x300
	s_mov_b32 s41, 0
	s_lshl_b64 s[34:35], s[40:41], 3
	s_waitcnt lgkmcnt(0)
	s_add_u32 s0, s36, s34
	s_addc_u32 s1, s37, s35
	v_lshlrev_b32_e32 v5, 3, v0
	v_mov_b32_e32 v3, s1
	v_add_co_u32_e32 v6, vcc, s0, v5
	v_addc_co_u32_e32 v7, vcc, 0, v3, vcc
	global_load_dwordx2 v[3:4], v5, s[0:1]
	global_load_dwordx2 v[15:16], v5, s[0:1] offset:2048
	s_movk_i32 s0, 0x1000
	v_add_co_u32_e32 v5, vcc, s0, v6
	v_addc_co_u32_e32 v6, vcc, 0, v7, vcc
	global_load_dwordx2 v[17:18], v[5:6], off
	s_lshr_b32 s29, s28, 16
	v_mbcnt_lo_u32_b32 v5, -1, 0
	s_and_b32 s28, s28, 0xffff
	v_mad_u32_u24 v1, v2, s29, v1
	v_mbcnt_hi_u32_b32 v5, -1, v5
	v_mad_u64_u32 v[1:2], s[28:29], v1, s28, v[0:1]
	v_lshrrev_b32_e32 v6, 6, v0
	v_and_b32_e32 v7, 0xc0, v0
	v_subrev_co_u32_e64 v19, s[8:9], 1, v5
	v_and_b32_e32 v20, 64, v5
	v_mul_u32_u24_e32 v10, 0xc0, v6
	v_or_b32_e32 v14, 63, v7
	v_cmp_lt_i32_e32 vcc, v19, v20
	v_lshlrev_b32_e32 v31, 4, v0
	s_mov_b32 s26, s41
	v_lshlrev_b32_e32 v13, 3, v5
	v_and_b32_e32 v11, 15, v5
	v_and_b32_e32 v12, 16, v5
	v_mul_u32_u24_e32 v7, 24, v7
	s_mov_b32 s40, s41
	v_cmp_eq_u32_e64 s[20:21], v0, v14
	v_lshlrev_b32_e32 v10, 3, v10
	v_cndmask_b32_e32 v14, v19, v5, vcc
	v_mul_u32_u24_e32 v8, 20, v0
	s_mov_b32 s27, s41
	v_lshlrev_b32_e32 v32, 2, v6
	v_mad_i32_i24 v33, v0, -12, v31
	v_and_b32_e32 v6, 3, v5
	v_cmp_eq_u32_e64 s[10:11], 0, v11
	v_cmp_lt_u32_e64 s[12:13], 1, v11
	v_cmp_lt_u32_e64 s[14:15], 3, v11
	;; [unrolled: 1-line block ×3, first 2 shown]
	v_cmp_eq_u32_e64 s[18:19], 0, v12
	v_add_u32_e32 v34, v13, v7
	v_mov_b32_e32 v11, s40
	v_add_u32_e32 v38, v13, v10
	v_lshlrev_b32_e32 v39, 2, v14
	v_lshrrev_b32_e32 v1, 4, v1
	v_mov_b32_e32 v13, s26
	v_mov_b32_e32 v9, 0
	v_cmp_gt_u32_e64 s[0:1], 4, v0
	v_cmp_lt_u32_e64 s[2:3], 63, v0
	v_cmp_eq_u32_e64 s[4:5], 0, v0
	v_cmp_lt_u32_e64 s[6:7], 31, v5
	v_cmp_eq_u32_e64 s[22:23], 0, v6
	v_cmp_lt_u32_e64 s[24:25], 1, v6
	v_add_u32_e32 v35, v33, v8
	v_add_u32_e32 v36, -4, v32
	v_mov_b32_e32 v12, s41
	v_mad_u32_u24 v37, v5, 24, v10
	v_and_b32_e32 v40, 0xffffffc, v1
	v_mov_b32_e32 v14, s27
	s_waitcnt vmcnt(2)
	v_add_u32_e32 v6, 1, v4
	v_add_u32_e32 v5, 1, v3
	s_waitcnt vmcnt(1)
	v_add_u32_e32 v8, 1, v16
	v_add_u32_e32 v7, 1, v15
	;; [unrolled: 3-line block ×3, first 2 shown]
	s_branch .LBB171_2
.LBB171_1:                              ;   in Loop: Header=BB171_2 Depth=1
	s_barrier
	ds_write_b64 v41, v[25:26]
	ds_write_b64 v42, v[23:24]
	ds_write_b64 v10, v[21:22]
	s_waitcnt lgkmcnt(0)
	s_barrier
	ds_read2_b64 v[21:24], v35 offset1:1
	ds_read_b64 v[1:2], v35 offset:16
	s_waitcnt lgkmcnt(0)
	s_barrier
	ds_write_b64 v41, v[19:20]
	ds_write_b64 v42, v[17:18]
	;; [unrolled: 1-line block ×3, first 2 shown]
	s_waitcnt lgkmcnt(0)
	s_barrier
	ds_read2_b64 v[5:8], v35 offset1:1
	ds_read_b64 v[19:20], v35 offset:16
	s_add_i32 s41, s41, 1
	v_xor_b32_e32 v3, 0x80000000, v21
	v_xor_b32_e32 v4, 0x80000000, v22
	;; [unrolled: 1-line block ×5, first 2 shown]
	s_cmp_lg_u32 s41, 10
	v_xor_b32_e32 v18, 0x80000000, v2
	s_cbranch_scc0 .LBB171_18
.LBB171_2:                              ; =>This Loop Header: Depth=1
                                        ;     Child Loop BB171_4 Depth 2
	v_xor_b32_e32 v2, 0x80000000, v4
	v_xor_b32_e32 v1, 0x80000000, v3
	;; [unrolled: 1-line block ×6, first 2 shown]
	ds_write2_b64 v37, v[1:2], v[3:4] offset1:1
	ds_write_b64 v37, v[15:16] offset:16
	; wave barrier
	ds_read2st64_b64 v[1:4], v38 offset1:1
	ds_read_b64 v[27:28], v38 offset:1024
	; wave barrier
	s_waitcnt lgkmcnt(5)
	ds_write2_b64 v37, v[5:6], v[7:8] offset1:1
	s_waitcnt lgkmcnt(5)
	ds_write_b64 v37, v[19:20] offset:16
	; wave barrier
	ds_read2st64_b64 v[5:8], v38 offset1:1
	ds_read_b64 v[29:30], v38 offset:1024
	s_mov_b32 s33, 8
	s_mov_b32 s36, 32
	;; [unrolled: 1-line block ×3, first 2 shown]
	s_waitcnt lgkmcnt(0)
	s_barrier
	s_branch .LBB171_4
.LBB171_3:                              ;   in Loop: Header=BB171_4 Depth=2
	s_andn2_b64 vcc, exec, s[26:27]
	s_cbranch_vccz .LBB171_1
.LBB171_4:                              ;   Parent Loop BB171_2 Depth=1
                                        ; =>  This Inner Loop Header: Depth=2
	s_min_i32 s28, s33, 32
	s_cmp_lt_u32 s37, 32
	s_cselect_b64 s[26:27], -1, 0
	s_cmp_gt_u32 s37, 31
	s_cselect_b64 vcc, -1, 0
	s_sub_i32 s28, s28, 32
	s_add_i32 s29, s28, s36
	s_lshl_b32 s29, -1, s29
	s_not_b32 s29, s29
	s_cmp_lg_u32 s28, s37
	s_cselect_b32 s42, s29, -1
	s_max_i32 s40, s36, 0
	s_max_i32 s28, s37, 32
	s_sub_i32 s43, s28, 32
	s_sub_i32 s28, s28, s40
	;; [unrolled: 1-line block ×3, first 2 shown]
	s_min_i32 s28, s28, 32
	s_sub_i32 s28, s28, s43
	s_lshl_b32 s29, -1, s28
	v_mov_b32_e32 v26, v2
	s_not_b32 s29, s29
	v_mov_b32_e32 v25, v1
	s_cmp_lg_u32 s28, 32
	s_cselect_b32 s44, s29, -1
	v_lshrrev_b32_e32 v2, s43, v25
	v_lshrrev_b32_e32 v1, s37, v26
	v_and_b32_e32 v2, s44, v2
	v_and_b32_e32 v1, s42, v1
	v_lshlrev_b32_e32 v2, s40, v2
	v_cndmask_b32_e64 v1, 0, v1, s[26:27]
	v_cndmask_b32_e32 v2, 0, v2, vcc
	v_or_b32_e32 v1, v1, v2
	v_mov_b32_e32 v24, v4
	v_and_b32_e32 v2, 1, v1
	v_mov_b32_e32 v20, v6
	v_mov_b32_e32 v23, v3
	v_add_co_u32_e64 v4, s[28:29], -1, v2
	v_mov_b32_e32 v19, v5
	v_addc_co_u32_e64 v5, s[28:29], 0, -1, s[28:29]
	v_cmp_ne_u32_e64 s[28:29], 0, v2
	v_lshlrev_b32_e32 v10, 30, v1
	v_xor_b32_e32 v2, s29, v5
	v_xor_b32_e32 v4, s28, v4
	v_cmp_gt_i64_e64 s[28:29], 0, v[9:10]
	v_not_b32_e32 v5, v10
	v_ashrrev_i32_e32 v5, 31, v5
	v_and_b32_e32 v4, exec_lo, v4
	v_xor_b32_e32 v6, s29, v5
	v_xor_b32_e32 v5, s28, v5
	v_lshlrev_b32_e32 v10, 29, v1
	v_and_b32_e32 v4, v4, v5
	v_cmp_gt_i64_e64 s[28:29], 0, v[9:10]
	v_not_b32_e32 v5, v10
	v_and_b32_e32 v2, exec_hi, v2
	v_ashrrev_i32_e32 v5, 31, v5
	v_and_b32_e32 v2, v2, v6
	v_xor_b32_e32 v6, s29, v5
	v_xor_b32_e32 v5, s28, v5
	v_lshlrev_b32_e32 v10, 28, v1
	v_and_b32_e32 v4, v4, v5
	v_cmp_gt_i64_e64 s[28:29], 0, v[9:10]
	v_not_b32_e32 v5, v10
	v_ashrrev_i32_e32 v5, 31, v5
	v_and_b32_e32 v2, v2, v6
	v_xor_b32_e32 v6, s29, v5
	v_xor_b32_e32 v5, s28, v5
	v_lshlrev_b32_e32 v10, 27, v1
	v_and_b32_e32 v4, v4, v5
	v_cmp_gt_i64_e64 s[28:29], 0, v[9:10]
	v_not_b32_e32 v5, v10
	v_ashrrev_i32_e32 v5, 31, v5
	v_and_b32_e32 v2, v2, v6
	v_xor_b32_e32 v6, s29, v5
	v_xor_b32_e32 v5, s28, v5
	v_lshlrev_b32_e32 v10, 26, v1
	v_and_b32_e32 v4, v4, v5
	v_cmp_gt_i64_e64 s[28:29], 0, v[9:10]
	v_not_b32_e32 v5, v10
	v_ashrrev_i32_e32 v5, 31, v5
	v_and_b32_e32 v2, v2, v6
	v_xor_b32_e32 v6, s29, v5
	v_xor_b32_e32 v5, s28, v5
	v_lshlrev_b32_e32 v10, 25, v1
	v_and_b32_e32 v4, v4, v5
	v_cmp_gt_i64_e64 s[28:29], 0, v[9:10]
	v_not_b32_e32 v5, v10
	v_ashrrev_i32_e32 v5, 31, v5
	v_lshlrev_b32_e32 v10, 24, v1
	v_lshlrev_b32_e32 v3, 4, v1
	v_and_b32_e32 v2, v2, v6
	v_xor_b32_e32 v6, s29, v5
	v_xor_b32_e32 v5, s28, v5
	v_cmp_gt_i64_e64 s[28:29], 0, v[9:10]
	v_not_b32_e32 v1, v10
	v_ashrrev_i32_e32 v1, 31, v1
	v_and_b32_e32 v4, v4, v5
	v_xor_b32_e32 v5, s29, v1
	v_xor_b32_e32 v1, s28, v1
	v_and_b32_e32 v2, v2, v6
	v_and_b32_e32 v1, v4, v1
	;; [unrolled: 1-line block ×3, first 2 shown]
	v_mbcnt_lo_u32_b32 v4, v1, 0
	v_mbcnt_hi_u32_b32 v5, v2, v4
	v_cmp_ne_u64_e64 s[28:29], 0, v[1:2]
	v_mov_b32_e32 v18, v8
	v_mov_b32_e32 v15, v29
	;; [unrolled: 1-line block ×3, first 2 shown]
	v_cmp_eq_u32_e64 s[30:31], 0, v5
	v_mov_b32_e32 v17, v7
	v_mov_b32_e32 v16, v30
	;; [unrolled: 1-line block ×3, first 2 shown]
	s_and_b64 s[30:31], s[30:31], s[28:29]
	v_add_u32_e32 v6, v40, v3
	ds_write2_b64 v31, v[11:12], v[13:14] offset0:2 offset1:3
	s_waitcnt lgkmcnt(0)
	s_barrier
	; wave barrier
	s_and_saveexec_b64 s[28:29], s[30:31]
; %bb.5:                                ;   in Loop: Header=BB171_4 Depth=2
	v_bcnt_u32_b32 v1, v1, 0
	v_bcnt_u32_b32 v1, v2, v1
	ds_write_b32 v6, v1 offset:16
; %bb.6:                                ;   in Loop: Header=BB171_4 Depth=2
	s_or_b64 exec, exec, s[28:29]
	v_lshrrev_b32_e32 v2, s43, v23
	v_lshrrev_b32_e32 v1, s37, v24
	v_and_b32_e32 v2, s44, v2
	v_and_b32_e32 v1, s42, v1
	v_lshlrev_b32_e32 v2, s40, v2
	v_cndmask_b32_e64 v1, 0, v1, s[26:27]
	v_cndmask_b32_e32 v2, 0, v2, vcc
	v_or_b32_e32 v1, v1, v2
	v_lshlrev_b32_e32 v2, 4, v1
	v_add_u32_e32 v8, v40, v2
	v_and_b32_e32 v2, 1, v1
	v_add_co_u32_e64 v3, s[28:29], -1, v2
	v_addc_co_u32_e64 v4, s[28:29], 0, -1, s[28:29]
	v_cmp_ne_u32_e64 s[28:29], 0, v2
	v_lshlrev_b32_e32 v10, 30, v1
	v_xor_b32_e32 v2, s29, v4
	v_xor_b32_e32 v3, s28, v3
	v_cmp_gt_i64_e64 s[28:29], 0, v[9:10]
	v_not_b32_e32 v4, v10
	v_ashrrev_i32_e32 v4, 31, v4
	v_and_b32_e32 v2, exec_hi, v2
	v_xor_b32_e32 v10, s29, v4
	v_and_b32_e32 v3, exec_lo, v3
	v_xor_b32_e32 v4, s28, v4
	v_and_b32_e32 v2, v2, v10
	v_lshlrev_b32_e32 v10, 29, v1
	v_and_b32_e32 v3, v3, v4
	v_cmp_gt_i64_e64 s[28:29], 0, v[9:10]
	v_not_b32_e32 v4, v10
	v_ashrrev_i32_e32 v4, 31, v4
	v_xor_b32_e32 v10, s29, v4
	v_xor_b32_e32 v4, s28, v4
	v_and_b32_e32 v2, v2, v10
	v_lshlrev_b32_e32 v10, 28, v1
	v_and_b32_e32 v3, v3, v4
	v_cmp_gt_i64_e64 s[28:29], 0, v[9:10]
	v_not_b32_e32 v4, v10
	v_ashrrev_i32_e32 v4, 31, v4
	v_xor_b32_e32 v10, s29, v4
	;; [unrolled: 8-line block ×5, first 2 shown]
	v_and_b32_e32 v2, v2, v10
	v_lshlrev_b32_e32 v10, 24, v1
	v_xor_b32_e32 v4, s28, v4
	v_cmp_gt_i64_e64 s[28:29], 0, v[9:10]
	v_not_b32_e32 v1, v10
	v_ashrrev_i32_e32 v1, 31, v1
	v_and_b32_e32 v3, v3, v4
	v_xor_b32_e32 v4, s29, v1
	v_xor_b32_e32 v1, s28, v1
	; wave barrier
	ds_read_b32 v7, v8 offset:16
	v_and_b32_e32 v1, v3, v1
	v_and_b32_e32 v2, v2, v4
	v_mbcnt_lo_u32_b32 v3, v1, 0
	v_mbcnt_hi_u32_b32 v27, v2, v3
	v_cmp_ne_u64_e64 s[28:29], 0, v[1:2]
	v_cmp_eq_u32_e64 s[30:31], 0, v27
	s_and_b64 s[30:31], s[30:31], s[28:29]
	; wave barrier
	s_and_saveexec_b64 s[28:29], s[30:31]
	s_cbranch_execz .LBB171_8
; %bb.7:                                ;   in Loop: Header=BB171_4 Depth=2
	v_bcnt_u32_b32 v1, v1, 0
	v_bcnt_u32_b32 v1, v2, v1
	s_waitcnt lgkmcnt(0)
	v_add_u32_e32 v1, v7, v1
	ds_write_b32 v8, v1 offset:16
.LBB171_8:                              ;   in Loop: Header=BB171_4 Depth=2
	s_or_b64 exec, exec, s[28:29]
	v_lshrrev_b32_e32 v2, s43, v21
	v_lshrrev_b32_e32 v1, s37, v22
	v_and_b32_e32 v2, s44, v2
	v_and_b32_e32 v1, s42, v1
	v_lshlrev_b32_e32 v2, s40, v2
	v_cndmask_b32_e64 v1, 0, v1, s[26:27]
	v_cndmask_b32_e32 v2, 0, v2, vcc
	v_or_b32_e32 v1, v1, v2
	v_lshlrev_b32_e32 v2, 4, v1
	v_add_u32_e32 v29, v40, v2
	v_and_b32_e32 v2, 1, v1
	v_add_co_u32_e32 v3, vcc, -1, v2
	v_addc_co_u32_e64 v4, s[26:27], 0, -1, vcc
	v_cmp_ne_u32_e32 vcc, 0, v2
	v_lshlrev_b32_e32 v10, 30, v1
	v_xor_b32_e32 v2, vcc_hi, v4
	v_xor_b32_e32 v3, vcc_lo, v3
	v_cmp_gt_i64_e32 vcc, 0, v[9:10]
	v_not_b32_e32 v4, v10
	v_ashrrev_i32_e32 v4, 31, v4
	v_and_b32_e32 v2, exec_hi, v2
	v_xor_b32_e32 v10, vcc_hi, v4
	v_and_b32_e32 v3, exec_lo, v3
	v_xor_b32_e32 v4, vcc_lo, v4
	v_and_b32_e32 v2, v2, v10
	v_lshlrev_b32_e32 v10, 29, v1
	v_and_b32_e32 v3, v3, v4
	v_cmp_gt_i64_e32 vcc, 0, v[9:10]
	v_not_b32_e32 v4, v10
	v_ashrrev_i32_e32 v4, 31, v4
	v_xor_b32_e32 v10, vcc_hi, v4
	v_xor_b32_e32 v4, vcc_lo, v4
	v_and_b32_e32 v2, v2, v10
	v_lshlrev_b32_e32 v10, 28, v1
	v_and_b32_e32 v3, v3, v4
	v_cmp_gt_i64_e32 vcc, 0, v[9:10]
	v_not_b32_e32 v4, v10
	v_ashrrev_i32_e32 v4, 31, v4
	v_xor_b32_e32 v10, vcc_hi, v4
	;; [unrolled: 8-line block ×5, first 2 shown]
	v_and_b32_e32 v2, v2, v10
	v_lshlrev_b32_e32 v10, 24, v1
	v_xor_b32_e32 v4, vcc_lo, v4
	v_cmp_gt_i64_e32 vcc, 0, v[9:10]
	v_not_b32_e32 v1, v10
	v_ashrrev_i32_e32 v1, 31, v1
	v_and_b32_e32 v3, v3, v4
	v_xor_b32_e32 v4, vcc_hi, v1
	v_xor_b32_e32 v1, vcc_lo, v1
	; wave barrier
	ds_read_b32 v28, v29 offset:16
	v_and_b32_e32 v1, v3, v1
	v_and_b32_e32 v2, v2, v4
	v_mbcnt_lo_u32_b32 v3, v1, 0
	v_mbcnt_hi_u32_b32 v10, v2, v3
	v_cmp_ne_u64_e32 vcc, 0, v[1:2]
	v_cmp_eq_u32_e64 s[26:27], 0, v10
	s_and_b64 s[28:29], s[26:27], vcc
	; wave barrier
	s_and_saveexec_b64 s[26:27], s[28:29]
	s_cbranch_execz .LBB171_10
; %bb.9:                                ;   in Loop: Header=BB171_4 Depth=2
	v_bcnt_u32_b32 v1, v1, 0
	v_bcnt_u32_b32 v1, v2, v1
	s_waitcnt lgkmcnt(0)
	v_add_u32_e32 v1, v28, v1
	ds_write_b32 v29, v1 offset:16
.LBB171_10:                             ;   in Loop: Header=BB171_4 Depth=2
	s_or_b64 exec, exec, s[26:27]
	; wave barrier
	s_waitcnt lgkmcnt(0)
	s_barrier
	ds_read2_b64 v[1:4], v31 offset0:2 offset1:3
	s_waitcnt lgkmcnt(0)
	v_add_u32_e32 v30, v2, v1
	v_add3_u32 v4, v30, v3, v4
	s_nop 1
	v_mov_b32_dpp v30, v4 row_shr:1 row_mask:0xf bank_mask:0xf
	v_cndmask_b32_e64 v30, v30, 0, s[10:11]
	v_add_u32_e32 v4, v30, v4
	s_nop 1
	v_mov_b32_dpp v30, v4 row_shr:2 row_mask:0xf bank_mask:0xf
	v_cndmask_b32_e64 v30, 0, v30, s[12:13]
	v_add_u32_e32 v4, v4, v30
	;; [unrolled: 4-line block ×4, first 2 shown]
	s_nop 1
	v_mov_b32_dpp v30, v4 row_bcast:15 row_mask:0xf bank_mask:0xf
	v_cndmask_b32_e64 v30, v30, 0, s[18:19]
	v_add_u32_e32 v4, v4, v30
	s_nop 1
	v_mov_b32_dpp v30, v4 row_bcast:31 row_mask:0xf bank_mask:0xf
	v_cndmask_b32_e64 v30, 0, v30, s[6:7]
	v_add_u32_e32 v4, v4, v30
	s_and_saveexec_b64 s[26:27], s[20:21]
; %bb.11:                               ;   in Loop: Header=BB171_4 Depth=2
	ds_write_b32 v32, v4
; %bb.12:                               ;   in Loop: Header=BB171_4 Depth=2
	s_or_b64 exec, exec, s[26:27]
	s_waitcnt lgkmcnt(0)
	s_barrier
	s_and_saveexec_b64 s[26:27], s[0:1]
	s_cbranch_execz .LBB171_14
; %bb.13:                               ;   in Loop: Header=BB171_4 Depth=2
	ds_read_b32 v30, v33
	s_waitcnt lgkmcnt(0)
	s_nop 0
	v_mov_b32_dpp v41, v30 row_shr:1 row_mask:0xf bank_mask:0xf
	v_cndmask_b32_e64 v41, v41, 0, s[22:23]
	v_add_u32_e32 v30, v41, v30
	s_nop 1
	v_mov_b32_dpp v41, v30 row_shr:2 row_mask:0xf bank_mask:0xf
	v_cndmask_b32_e64 v41, 0, v41, s[24:25]
	v_add_u32_e32 v30, v30, v41
	ds_write_b32 v33, v30
.LBB171_14:                             ;   in Loop: Header=BB171_4 Depth=2
	s_or_b64 exec, exec, s[26:27]
	v_mov_b32_e32 v30, 0
	s_waitcnt lgkmcnt(0)
	s_barrier
	s_and_saveexec_b64 s[26:27], s[2:3]
; %bb.15:                               ;   in Loop: Header=BB171_4 Depth=2
	ds_read_b32 v30, v36
; %bb.16:                               ;   in Loop: Header=BB171_4 Depth=2
	s_or_b64 exec, exec, s[26:27]
	s_waitcnt lgkmcnt(0)
	v_add_u32_e32 v4, v30, v4
	ds_bpermute_b32 v4, v39, v4
	s_cmp_gt_u32 s37, 55
	s_mov_b64 s[26:27], -1
	s_waitcnt lgkmcnt(0)
	v_cndmask_b32_e64 v4, v4, v30, s[8:9]
	v_cndmask_b32_e64 v41, v4, 0, s[4:5]
	v_add_u32_e32 v42, v41, v1
	v_add_u32_e32 v1, v42, v2
	;; [unrolled: 1-line block ×3, first 2 shown]
	ds_write2_b64 v31, v[41:42], v[1:2] offset0:2 offset1:3
	s_waitcnt lgkmcnt(0)
	s_barrier
	ds_read_b32 v1, v6 offset:16
	ds_read_b32 v2, v8 offset:16
	;; [unrolled: 1-line block ×3, first 2 shown]
	v_lshlrev_b32_e32 v4, 3, v5
	s_waitcnt lgkmcnt(0)
	v_lshl_add_u32 v41, v1, 3, v4
	v_lshlrev_b32_e32 v1, 3, v27
	v_lshlrev_b32_e32 v4, 3, v7
	;; [unrolled: 1-line block ×3, first 2 shown]
	v_add3_u32 v42, v1, v4, v2
	v_lshlrev_b32_e32 v1, 3, v10
	v_lshlrev_b32_e32 v2, 3, v28
	;; [unrolled: 1-line block ×3, first 2 shown]
	v_add3_u32 v10, v1, v2, v3
                                        ; implicit-def: $vgpr5_vgpr6
                                        ; implicit-def: $vgpr29_vgpr30
                                        ; implicit-def: $vgpr1_vgpr2
                                        ; implicit-def: $vgpr27_vgpr28
	s_cbranch_scc1 .LBB171_3
; %bb.17:                               ;   in Loop: Header=BB171_4 Depth=2
	s_barrier
	ds_write_b64 v41, v[25:26]
	ds_write_b64 v42, v[23:24]
	;; [unrolled: 1-line block ×3, first 2 shown]
	s_waitcnt lgkmcnt(0)
	s_barrier
	ds_read2st64_b64 v[1:4], v34 offset1:1
	ds_read_b64 v[27:28], v34 offset:1024
	s_waitcnt lgkmcnt(0)
	s_barrier
	ds_write_b64 v41, v[19:20]
	ds_write_b64 v42, v[17:18]
	;; [unrolled: 1-line block ×3, first 2 shown]
	s_waitcnt lgkmcnt(0)
	s_barrier
	ds_read2st64_b64 v[5:8], v34 offset1:1
	ds_read_b64 v[29:30], v34 offset:1024
	s_add_i32 s36, s36, -8
	s_add_i32 s33, s33, 8
	s_add_i32 s37, s37, 8
	s_mov_b64 s[26:27], 0
	s_waitcnt lgkmcnt(0)
	s_barrier
	s_branch .LBB171_3
.LBB171_18:
	s_add_u32 s0, s38, s34
	s_addc_u32 s1, s39, s35
	v_lshlrev_b32_e32 v0, 3, v0
	s_waitcnt lgkmcnt(1)
	v_add_u32_e32 v1, v3, v5
	v_add_u32_e32 v2, v4, v6
	;; [unrolled: 1-line block ×4, first 2 shown]
	v_mov_b32_e32 v7, s1
	v_add_co_u32_e32 v8, vcc, s0, v0
	v_addc_co_u32_e32 v7, vcc, 0, v7, vcc
	global_store_dwordx2 v0, v[1:2], s[0:1]
	global_store_dwordx2 v0, v[3:4], s[0:1] offset:2048
	v_add_co_u32_e32 v0, vcc, 0x1000, v8
	s_waitcnt lgkmcnt(0)
	v_add_u32_e32 v5, v17, v19
	v_add_u32_e32 v6, v18, v20
	v_addc_co_u32_e32 v1, vcc, 0, v7, vcc
	global_store_dwordx2 v[0:1], v[5:6], off
	s_endpgm
	.section	.rodata,"a",@progbits
	.p2align	6, 0x0
	.amdhsa_kernel _Z17sort_pairs_kernelI22helper_blocked_blockedN15benchmark_utils11custom_typeIiiEELj256ELj3ELj10EEvPKT0_PS4_
		.amdhsa_group_segment_fixed_size 6144
		.amdhsa_private_segment_fixed_size 0
		.amdhsa_kernarg_size 272
		.amdhsa_user_sgpr_count 6
		.amdhsa_user_sgpr_private_segment_buffer 1
		.amdhsa_user_sgpr_dispatch_ptr 0
		.amdhsa_user_sgpr_queue_ptr 0
		.amdhsa_user_sgpr_kernarg_segment_ptr 1
		.amdhsa_user_sgpr_dispatch_id 0
		.amdhsa_user_sgpr_flat_scratch_init 0
		.amdhsa_user_sgpr_private_segment_size 0
		.amdhsa_uses_dynamic_stack 0
		.amdhsa_system_sgpr_private_segment_wavefront_offset 0
		.amdhsa_system_sgpr_workgroup_id_x 1
		.amdhsa_system_sgpr_workgroup_id_y 0
		.amdhsa_system_sgpr_workgroup_id_z 0
		.amdhsa_system_sgpr_workgroup_info 0
		.amdhsa_system_vgpr_workitem_id 2
		.amdhsa_next_free_vgpr 43
		.amdhsa_next_free_sgpr 45
		.amdhsa_reserve_vcc 1
		.amdhsa_reserve_flat_scratch 0
		.amdhsa_float_round_mode_32 0
		.amdhsa_float_round_mode_16_64 0
		.amdhsa_float_denorm_mode_32 3
		.amdhsa_float_denorm_mode_16_64 3
		.amdhsa_dx10_clamp 1
		.amdhsa_ieee_mode 1
		.amdhsa_fp16_overflow 0
		.amdhsa_exception_fp_ieee_invalid_op 0
		.amdhsa_exception_fp_denorm_src 0
		.amdhsa_exception_fp_ieee_div_zero 0
		.amdhsa_exception_fp_ieee_overflow 0
		.amdhsa_exception_fp_ieee_underflow 0
		.amdhsa_exception_fp_ieee_inexact 0
		.amdhsa_exception_int_div_zero 0
	.end_amdhsa_kernel
	.section	.text._Z17sort_pairs_kernelI22helper_blocked_blockedN15benchmark_utils11custom_typeIiiEELj256ELj3ELj10EEvPKT0_PS4_,"axG",@progbits,_Z17sort_pairs_kernelI22helper_blocked_blockedN15benchmark_utils11custom_typeIiiEELj256ELj3ELj10EEvPKT0_PS4_,comdat
.Lfunc_end171:
	.size	_Z17sort_pairs_kernelI22helper_blocked_blockedN15benchmark_utils11custom_typeIiiEELj256ELj3ELj10EEvPKT0_PS4_, .Lfunc_end171-_Z17sort_pairs_kernelI22helper_blocked_blockedN15benchmark_utils11custom_typeIiiEELj256ELj3ELj10EEvPKT0_PS4_
                                        ; -- End function
	.set _Z17sort_pairs_kernelI22helper_blocked_blockedN15benchmark_utils11custom_typeIiiEELj256ELj3ELj10EEvPKT0_PS4_.num_vgpr, 43
	.set _Z17sort_pairs_kernelI22helper_blocked_blockedN15benchmark_utils11custom_typeIiiEELj256ELj3ELj10EEvPKT0_PS4_.num_agpr, 0
	.set _Z17sort_pairs_kernelI22helper_blocked_blockedN15benchmark_utils11custom_typeIiiEELj256ELj3ELj10EEvPKT0_PS4_.numbered_sgpr, 45
	.set _Z17sort_pairs_kernelI22helper_blocked_blockedN15benchmark_utils11custom_typeIiiEELj256ELj3ELj10EEvPKT0_PS4_.num_named_barrier, 0
	.set _Z17sort_pairs_kernelI22helper_blocked_blockedN15benchmark_utils11custom_typeIiiEELj256ELj3ELj10EEvPKT0_PS4_.private_seg_size, 0
	.set _Z17sort_pairs_kernelI22helper_blocked_blockedN15benchmark_utils11custom_typeIiiEELj256ELj3ELj10EEvPKT0_PS4_.uses_vcc, 1
	.set _Z17sort_pairs_kernelI22helper_blocked_blockedN15benchmark_utils11custom_typeIiiEELj256ELj3ELj10EEvPKT0_PS4_.uses_flat_scratch, 0
	.set _Z17sort_pairs_kernelI22helper_blocked_blockedN15benchmark_utils11custom_typeIiiEELj256ELj3ELj10EEvPKT0_PS4_.has_dyn_sized_stack, 0
	.set _Z17sort_pairs_kernelI22helper_blocked_blockedN15benchmark_utils11custom_typeIiiEELj256ELj3ELj10EEvPKT0_PS4_.has_recursion, 0
	.set _Z17sort_pairs_kernelI22helper_blocked_blockedN15benchmark_utils11custom_typeIiiEELj256ELj3ELj10EEvPKT0_PS4_.has_indirect_call, 0
	.section	.AMDGPU.csdata,"",@progbits
; Kernel info:
; codeLenInByte = 2828
; TotalNumSgprs: 49
; NumVgprs: 43
; ScratchSize: 0
; MemoryBound: 0
; FloatMode: 240
; IeeeMode: 1
; LDSByteSize: 6144 bytes/workgroup (compile time only)
; SGPRBlocks: 6
; VGPRBlocks: 10
; NumSGPRsForWavesPerEU: 49
; NumVGPRsForWavesPerEU: 43
; Occupancy: 5
; WaveLimiterHint : 1
; COMPUTE_PGM_RSRC2:SCRATCH_EN: 0
; COMPUTE_PGM_RSRC2:USER_SGPR: 6
; COMPUTE_PGM_RSRC2:TRAP_HANDLER: 0
; COMPUTE_PGM_RSRC2:TGID_X_EN: 1
; COMPUTE_PGM_RSRC2:TGID_Y_EN: 0
; COMPUTE_PGM_RSRC2:TGID_Z_EN: 0
; COMPUTE_PGM_RSRC2:TIDIG_COMP_CNT: 2
	.section	.text._Z16sort_keys_kernelI22helper_blocked_blockedN15benchmark_utils11custom_typeIiiEELj256ELj4ELj10EEvPKT0_PS4_,"axG",@progbits,_Z16sort_keys_kernelI22helper_blocked_blockedN15benchmark_utils11custom_typeIiiEELj256ELj4ELj10EEvPKT0_PS4_,comdat
	.protected	_Z16sort_keys_kernelI22helper_blocked_blockedN15benchmark_utils11custom_typeIiiEELj256ELj4ELj10EEvPKT0_PS4_ ; -- Begin function _Z16sort_keys_kernelI22helper_blocked_blockedN15benchmark_utils11custom_typeIiiEELj256ELj4ELj10EEvPKT0_PS4_
	.globl	_Z16sort_keys_kernelI22helper_blocked_blockedN15benchmark_utils11custom_typeIiiEELj256ELj4ELj10EEvPKT0_PS4_
	.p2align	8
	.type	_Z16sort_keys_kernelI22helper_blocked_blockedN15benchmark_utils11custom_typeIiiEELj256ELj4ELj10EEvPKT0_PS4_,@function
_Z16sort_keys_kernelI22helper_blocked_blockedN15benchmark_utils11custom_typeIiiEELj256ELj4ELj10EEvPKT0_PS4_: ; @_Z16sort_keys_kernelI22helper_blocked_blockedN15benchmark_utils11custom_typeIiiEELj256ELj4ELj10EEvPKT0_PS4_
; %bb.0:
	s_load_dwordx4 s[40:43], s[4:5], 0x0
	s_load_dword s8, s[4:5], 0x1c
	s_lshl_b32 s44, s6, 10
	s_mov_b32 s45, 0
	s_lshl_b64 s[46:47], s[44:45], 3
	s_waitcnt lgkmcnt(0)
	s_add_u32 s0, s40, s46
	s_addc_u32 s1, s41, s47
	v_lshlrev_b32_e32 v11, 3, v0
	v_mov_b32_e32 v3, s1
	v_add_co_u32_e32 v4, vcc, s0, v11
	v_addc_co_u32_e32 v3, vcc, 0, v3, vcc
	s_movk_i32 s2, 0x1000
	v_add_co_u32_e32 v9, vcc, s2, v4
	v_addc_co_u32_e32 v10, vcc, 0, v3, vcc
	global_load_dwordx2 v[7:8], v11, s[0:1]
	global_load_dwordx2 v[15:16], v11, s[0:1] offset:2048
	global_load_dwordx2 v[3:4], v[9:10], off
	global_load_dwordx2 v[5:6], v[9:10], off offset:2048
	s_lshr_b32 s9, s8, 16
	v_mbcnt_lo_u32_b32 v10, -1, 0
	s_and_b32 s8, s8, 0xffff
	v_mad_u32_u24 v1, v2, s9, v1
	v_mbcnt_hi_u32_b32 v10, -1, v10
	v_mad_u64_u32 v[1:2], s[8:9], v1, s8, v[0:1]
	v_and_b32_e32 v2, 15, v10
	v_cmp_eq_u32_e64 s[8:9], 0, v2
	v_cmp_lt_u32_e64 s[10:11], 1, v2
	v_cmp_lt_u32_e64 s[12:13], 3, v2
	;; [unrolled: 1-line block ×3, first 2 shown]
	v_and_b32_e32 v2, 16, v10
	v_cmp_eq_u32_e64 s[16:17], 0, v2
	v_or_b32_e32 v2, 63, v0
	v_and_b32_e32 v13, 64, v10
	v_cmp_eq_u32_e64 s[20:21], v0, v2
	v_subrev_co_u32_e64 v2, s[26:27], 1, v10
	v_cmp_lt_i32_e32 vcc, v2, v13
	v_lshrrev_b32_e32 v11, 2, v10
	v_cndmask_b32_e32 v2, v2, v10, vcc
	v_or_b32_e32 v14, v11, v13
	v_add_u32_e32 v11, 48, v11
	v_lshlrev_b32_e32 v28, 2, v2
	v_lshrrev_b32_e32 v2, 4, v0
	v_and_b32_e32 v12, 3, v10
	v_and_or_b32 v11, v11, 63, v13
	v_lshlrev_b32_e32 v27, 4, v0
	v_and_b32_e32 v29, 12, v2
	v_lshlrev_b32_e32 v2, 5, v0
	v_lshrrev_b32_e32 v1, 4, v1
	s_mov_b32 s44, s45
	s_mov_b32 s34, s45
	v_lshlrev_b32_e32 v23, 2, v14
	v_cmp_eq_u32_e64 s[0:1], 0, v12
	v_cmp_eq_u32_e64 s[2:3], 1, v12
	;; [unrolled: 1-line block ×4, first 2 shown]
	v_lshlrev_b32_e32 v26, 2, v11
	v_mad_i32_i24 v30, v0, -12, v27
	v_cmp_lt_u32_e64 s[30:31], 1, v12
	v_and_b32_e32 v2, 0x1800, v2
	v_and_b32_e32 v33, 0xffffffc, v1
	v_mul_u32_u24_e32 v1, 28, v0
	s_mov_b32 s35, s45
	v_mov_b32_e32 v11, s44
	v_mov_b32_e32 v13, s34
	;; [unrolled: 1-line block ×3, first 2 shown]
	v_add_u32_e32 v24, 64, v23
	v_or_b32_e32 v25, 0x80, v23
	v_cmp_lt_u32_e64 s[18:19], 31, v10
	v_cmp_gt_u32_e64 s[22:23], 4, v0
	v_cmp_lt_u32_e64 s[24:25], 63, v0
	v_cmp_eq_u32_e64 s[28:29], 0, v0
	v_add_u32_e32 v31, -4, v29
	v_lshl_or_b32 v32, v10, 3, v2
	v_mov_b32_e32 v12, s45
	v_mov_b32_e32 v14, s35
	v_add_u32_e32 v34, v30, v1
	s_branch .LBB172_2
.LBB172_1:                              ;   in Loop: Header=BB172_2 Depth=1
	s_barrier
	ds_write_b64 v37, v[21:22]
	ds_write_b64 v35, v[19:20]
	ds_write_b64 v36, v[17:18]
	ds_write_b64 v10, v[15:16]
	s_waitcnt lgkmcnt(0)
	s_barrier
	ds_read2_b64 v[1:4], v34 offset1:1
	ds_read2_b64 v[17:20], v34 offset0:2 offset1:3
	s_add_i32 s45, s45, 1
	s_cmp_eq_u32 s45, 10
	s_waitcnt lgkmcnt(1)
	v_xor_b32_e32 v7, 0x80000000, v1
	v_xor_b32_e32 v8, 0x80000000, v2
	;; [unrolled: 1-line block ×4, first 2 shown]
	s_waitcnt lgkmcnt(0)
	v_xor_b32_e32 v3, 0x80000000, v17
	v_xor_b32_e32 v4, 0x80000000, v18
	;; [unrolled: 1-line block ×4, first 2 shown]
	s_cbranch_scc1 .LBB172_20
.LBB172_2:                              ; =>This Loop Header: Depth=1
                                        ;     Child Loop BB172_4 Depth 2
	s_waitcnt vmcnt(3)
	v_xor_b32_e32 v8, 0x80000000, v8
	s_waitcnt vmcnt(2)
	v_xor_b32_e32 v10, 0x80000000, v15
	v_xor_b32_e32 v15, 0x80000000, v16
	ds_bpermute_b32 v1, v23, v8
	s_waitcnt vmcnt(1)
	v_xor_b32_e32 v16, 0x80000000, v3
	v_xor_b32_e32 v17, 0x80000000, v4
	ds_bpermute_b32 v3, v23, v15
	s_waitcnt vmcnt(0)
	v_xor_b32_e32 v18, 0x80000000, v5
	ds_bpermute_b32 v5, v23, v17
	v_xor_b32_e32 v7, 0x80000000, v7
	ds_bpermute_b32 v2, v23, v7
	s_waitcnt lgkmcnt(3)
	v_cndmask_b32_e64 v1, 0, v1, s[0:1]
	ds_bpermute_b32 v4, v23, v10
	v_xor_b32_e32 v19, 0x80000000, v6
	ds_bpermute_b32 v6, v23, v16
	s_waitcnt lgkmcnt(4)
	v_cndmask_b32_e64 v1, v1, v3, s[2:3]
	ds_bpermute_b32 v3, v23, v19
	s_waitcnt lgkmcnt(4)
	v_cndmask_b32_e64 v1, v1, v5, s[4:5]
	;; [unrolled: 3-line block ×3, first 2 shown]
	s_waitcnt lgkmcnt(3)
	v_cndmask_b32_e64 v2, v2, v4, s[2:3]
	s_waitcnt lgkmcnt(2)
	v_cndmask_b32_e64 v4, v2, v6, s[4:5]
	ds_bpermute_b32 v6, v24, v7
	s_waitcnt lgkmcnt(2)
	v_cndmask_b32_e64 v2, v1, v3, s[6:7]
	ds_bpermute_b32 v3, v24, v8
	;; [unrolled: 3-line block ×3, first 2 shown]
	ds_bpermute_b32 v20, v24, v15
	s_waitcnt lgkmcnt(3)
	v_cndmask_b32_e64 v5, 0, v6, s[0:1]
	s_waitcnt lgkmcnt(2)
	v_cndmask_b32_e64 v3, 0, v3, s[0:1]
	ds_bpermute_b32 v6, v24, v17
	s_waitcnt lgkmcnt(2)
	v_cndmask_b32_e64 v4, v5, v4, s[2:3]
	ds_bpermute_b32 v5, v24, v16
	;; [unrolled: 3-line block ×3, first 2 shown]
	ds_bpermute_b32 v21, v24, v18
	s_waitcnt lgkmcnt(3)
	v_cndmask_b32_e64 v3, v3, v6, s[4:5]
	ds_bpermute_b32 v6, v25, v8
	s_waitcnt lgkmcnt(3)
	v_cndmask_b32_e64 v5, v4, v5, s[4:5]
	;; [unrolled: 3-line block ×3, first 2 shown]
	s_waitcnt lgkmcnt(2)
	v_cndmask_b32_e64 v3, v5, v21, s[6:7]
	ds_bpermute_b32 v5, v25, v7
	ds_bpermute_b32 v20, v25, v15
	;; [unrolled: 1-line block ×5, first 2 shown]
	s_waitcnt lgkmcnt(5)
	v_cndmask_b32_e64 v8, 0, v8, s[0:1]
	ds_bpermute_b32 v10, v26, v10
	v_cndmask_b32_e64 v6, 0, v6, s[0:1]
	ds_bpermute_b32 v22, v25, v17
	s_waitcnt lgkmcnt(6)
	v_cndmask_b32_e64 v5, 0, v5, s[0:1]
	ds_bpermute_b32 v35, v25, v16
	s_waitcnt lgkmcnt(5)
	v_cndmask_b32_e64 v8, v8, v15, s[2:3]
	ds_bpermute_b32 v15, v26, v17
	ds_bpermute_b32 v16, v26, v16
	v_cndmask_b32_e64 v6, v6, v20, s[2:3]
	s_waitcnt lgkmcnt(6)
	v_cndmask_b32_e64 v5, v5, v21, s[2:3]
	ds_bpermute_b32 v20, v25, v19
	ds_bpermute_b32 v21, v25, v18
	;; [unrolled: 1-line block ×4, first 2 shown]
	s_waitcnt lgkmcnt(9)
	v_cndmask_b32_e64 v7, 0, v7, s[0:1]
	s_waitcnt lgkmcnt(8)
	v_cndmask_b32_e64 v7, v7, v10, s[2:3]
	s_waitcnt lgkmcnt(7)
	v_cndmask_b32_e64 v6, v6, v22, s[4:5]
	s_waitcnt lgkmcnt(6)
	v_cndmask_b32_e64 v5, v5, v35, s[4:5]
	s_waitcnt lgkmcnt(5)
	v_cndmask_b32_e64 v8, v8, v15, s[4:5]
	s_waitcnt lgkmcnt(4)
	v_cndmask_b32_e64 v7, v7, v16, s[4:5]
	s_waitcnt lgkmcnt(3)
	v_cndmask_b32_e64 v6, v6, v20, s[6:7]
	s_waitcnt lgkmcnt(2)
	v_cndmask_b32_e64 v5, v5, v21, s[6:7]
	s_waitcnt lgkmcnt(1)
	v_cndmask_b32_e64 v8, v8, v17, s[6:7]
	s_waitcnt lgkmcnt(0)
	v_cndmask_b32_e64 v7, v7, v18, s[6:7]
	s_mov_b32 s33, 8
	s_mov_b32 s40, 32
	;; [unrolled: 1-line block ×3, first 2 shown]
	s_barrier
	s_branch .LBB172_4
.LBB172_3:                              ;   in Loop: Header=BB172_4 Depth=2
	s_andn2_b64 vcc, exec, s[34:35]
	s_cbranch_vccz .LBB172_1
.LBB172_4:                              ;   Parent Loop BB172_2 Depth=1
                                        ; =>  This Inner Loop Header: Depth=2
	s_min_i32 s36, s33, 32
	s_cmp_lt_u32 s41, 32
	s_cselect_b64 s[34:35], -1, 0
	s_cmp_gt_u32 s41, 31
	s_cselect_b64 vcc, -1, 0
	s_sub_i32 s36, s36, 32
	s_add_i32 s37, s36, s40
	s_lshl_b32 s37, -1, s37
	s_not_b32 s37, s37
	s_cmp_lg_u32 s36, s41
	s_cselect_b32 s48, s37, -1
	s_max_i32 s44, s40, 0
	s_max_i32 s36, s41, 32
	s_sub_i32 s49, s36, 32
	s_sub_i32 s36, s36, s44
	;; [unrolled: 1-line block ×3, first 2 shown]
	s_min_i32 s36, s36, 32
	s_sub_i32 s36, s36, s49
	s_lshl_b32 s37, -1, s36
	v_mov_b32_e32 v22, v2
	s_not_b32 s37, s37
	v_mov_b32_e32 v21, v1
	s_cmp_lg_u32 s36, 32
	s_cselect_b32 s50, s37, -1
	v_lshrrev_b32_e32 v2, s49, v21
	v_lshrrev_b32_e32 v1, s41, v22
	v_and_b32_e32 v2, s50, v2
	v_and_b32_e32 v1, s48, v1
	v_lshlrev_b32_e32 v2, s44, v2
	v_cndmask_b32_e64 v1, 0, v1, s[34:35]
	v_cndmask_b32_e32 v2, 0, v2, vcc
	v_or_b32_e32 v1, v1, v2
	v_mov_b32_e32 v20, v4
	v_and_b32_e32 v2, 1, v1
	v_mov_b32_e32 v19, v3
	v_mov_b32_e32 v18, v6
	v_add_co_u32_e64 v4, s[36:37], -1, v2
	v_mov_b32_e32 v17, v5
	v_addc_co_u32_e64 v5, s[36:37], 0, -1, s[36:37]
	v_cmp_ne_u32_e64 s[36:37], 0, v2
	v_lshlrev_b32_e32 v10, 30, v1
	v_xor_b32_e32 v2, s37, v5
	v_xor_b32_e32 v4, s36, v4
	v_cmp_gt_i64_e64 s[36:37], 0, v[9:10]
	v_not_b32_e32 v5, v10
	v_ashrrev_i32_e32 v5, 31, v5
	v_and_b32_e32 v4, exec_lo, v4
	v_xor_b32_e32 v6, s37, v5
	v_xor_b32_e32 v5, s36, v5
	v_lshlrev_b32_e32 v10, 29, v1
	v_and_b32_e32 v4, v4, v5
	v_cmp_gt_i64_e64 s[36:37], 0, v[9:10]
	v_not_b32_e32 v5, v10
	v_and_b32_e32 v2, exec_hi, v2
	v_ashrrev_i32_e32 v5, 31, v5
	v_and_b32_e32 v2, v2, v6
	v_xor_b32_e32 v6, s37, v5
	v_xor_b32_e32 v5, s36, v5
	v_lshlrev_b32_e32 v10, 28, v1
	v_and_b32_e32 v4, v4, v5
	v_cmp_gt_i64_e64 s[36:37], 0, v[9:10]
	v_not_b32_e32 v5, v10
	v_ashrrev_i32_e32 v5, 31, v5
	v_and_b32_e32 v2, v2, v6
	v_xor_b32_e32 v6, s37, v5
	v_xor_b32_e32 v5, s36, v5
	v_lshlrev_b32_e32 v10, 27, v1
	v_and_b32_e32 v4, v4, v5
	v_cmp_gt_i64_e64 s[36:37], 0, v[9:10]
	v_not_b32_e32 v5, v10
	;; [unrolled: 8-line block ×4, first 2 shown]
	v_ashrrev_i32_e32 v5, 31, v5
	v_lshlrev_b32_e32 v10, 24, v1
	v_lshlrev_b32_e32 v3, 4, v1
	v_and_b32_e32 v2, v2, v6
	v_xor_b32_e32 v6, s37, v5
	v_xor_b32_e32 v5, s36, v5
	v_cmp_gt_i64_e64 s[36:37], 0, v[9:10]
	v_not_b32_e32 v1, v10
	v_ashrrev_i32_e32 v1, 31, v1
	v_and_b32_e32 v4, v4, v5
	v_xor_b32_e32 v5, s37, v1
	v_xor_b32_e32 v1, s36, v1
	v_and_b32_e32 v2, v2, v6
	v_and_b32_e32 v1, v4, v1
	;; [unrolled: 1-line block ×3, first 2 shown]
	v_mbcnt_lo_u32_b32 v4, v1, 0
	v_mbcnt_hi_u32_b32 v5, v2, v4
	v_cmp_ne_u64_e64 s[36:37], 0, v[1:2]
	v_mov_b32_e32 v16, v8
	v_cmp_eq_u32_e64 s[38:39], 0, v5
	v_mov_b32_e32 v15, v7
	s_and_b64 s[38:39], s[38:39], s[36:37]
	v_add_u32_e32 v6, v33, v3
	ds_write2_b64 v27, v[11:12], v[13:14] offset0:2 offset1:3
	s_waitcnt lgkmcnt(0)
	s_barrier
	; wave barrier
	s_and_saveexec_b64 s[36:37], s[38:39]
; %bb.5:                                ;   in Loop: Header=BB172_4 Depth=2
	v_bcnt_u32_b32 v1, v1, 0
	v_bcnt_u32_b32 v1, v2, v1
	ds_write_b32 v6, v1 offset:16
; %bb.6:                                ;   in Loop: Header=BB172_4 Depth=2
	s_or_b64 exec, exec, s[36:37]
	v_lshrrev_b32_e32 v2, s49, v19
	v_lshrrev_b32_e32 v1, s41, v20
	v_and_b32_e32 v2, s50, v2
	v_and_b32_e32 v1, s48, v1
	v_lshlrev_b32_e32 v2, s44, v2
	v_cndmask_b32_e64 v1, 0, v1, s[34:35]
	v_cndmask_b32_e32 v2, 0, v2, vcc
	v_or_b32_e32 v1, v1, v2
	v_lshlrev_b32_e32 v2, 4, v1
	v_add_u32_e32 v8, v33, v2
	v_and_b32_e32 v2, 1, v1
	v_add_co_u32_e64 v3, s[36:37], -1, v2
	v_addc_co_u32_e64 v4, s[36:37], 0, -1, s[36:37]
	v_cmp_ne_u32_e64 s[36:37], 0, v2
	v_lshlrev_b32_e32 v10, 30, v1
	v_xor_b32_e32 v2, s37, v4
	v_xor_b32_e32 v3, s36, v3
	v_cmp_gt_i64_e64 s[36:37], 0, v[9:10]
	v_not_b32_e32 v4, v10
	v_ashrrev_i32_e32 v4, 31, v4
	v_and_b32_e32 v2, exec_hi, v2
	v_xor_b32_e32 v10, s37, v4
	v_and_b32_e32 v3, exec_lo, v3
	v_xor_b32_e32 v4, s36, v4
	v_and_b32_e32 v2, v2, v10
	v_lshlrev_b32_e32 v10, 29, v1
	v_and_b32_e32 v3, v3, v4
	v_cmp_gt_i64_e64 s[36:37], 0, v[9:10]
	v_not_b32_e32 v4, v10
	v_ashrrev_i32_e32 v4, 31, v4
	v_xor_b32_e32 v10, s37, v4
	v_xor_b32_e32 v4, s36, v4
	v_and_b32_e32 v2, v2, v10
	v_lshlrev_b32_e32 v10, 28, v1
	v_and_b32_e32 v3, v3, v4
	v_cmp_gt_i64_e64 s[36:37], 0, v[9:10]
	v_not_b32_e32 v4, v10
	v_ashrrev_i32_e32 v4, 31, v4
	v_xor_b32_e32 v10, s37, v4
	;; [unrolled: 8-line block ×5, first 2 shown]
	v_and_b32_e32 v2, v2, v10
	v_lshlrev_b32_e32 v10, 24, v1
	v_xor_b32_e32 v4, s36, v4
	v_cmp_gt_i64_e64 s[36:37], 0, v[9:10]
	v_not_b32_e32 v1, v10
	v_ashrrev_i32_e32 v1, 31, v1
	v_and_b32_e32 v3, v3, v4
	v_xor_b32_e32 v4, s37, v1
	v_xor_b32_e32 v1, s36, v1
	; wave barrier
	ds_read_b32 v7, v8 offset:16
	v_and_b32_e32 v1, v3, v1
	v_and_b32_e32 v2, v2, v4
	v_mbcnt_lo_u32_b32 v3, v1, 0
	v_mbcnt_hi_u32_b32 v35, v2, v3
	v_cmp_ne_u64_e64 s[36:37], 0, v[1:2]
	v_cmp_eq_u32_e64 s[38:39], 0, v35
	s_and_b64 s[38:39], s[38:39], s[36:37]
	; wave barrier
	s_and_saveexec_b64 s[36:37], s[38:39]
	s_cbranch_execz .LBB172_8
; %bb.7:                                ;   in Loop: Header=BB172_4 Depth=2
	v_bcnt_u32_b32 v1, v1, 0
	v_bcnt_u32_b32 v1, v2, v1
	s_waitcnt lgkmcnt(0)
	v_add_u32_e32 v1, v7, v1
	ds_write_b32 v8, v1 offset:16
.LBB172_8:                              ;   in Loop: Header=BB172_4 Depth=2
	s_or_b64 exec, exec, s[36:37]
	v_lshrrev_b32_e32 v2, s49, v17
	v_lshrrev_b32_e32 v1, s41, v18
	v_and_b32_e32 v2, s50, v2
	v_and_b32_e32 v1, s48, v1
	v_lshlrev_b32_e32 v2, s44, v2
	v_cndmask_b32_e64 v1, 0, v1, s[34:35]
	v_cndmask_b32_e32 v2, 0, v2, vcc
	v_or_b32_e32 v1, v1, v2
	v_lshlrev_b32_e32 v2, 4, v1
	v_add_u32_e32 v37, v33, v2
	v_and_b32_e32 v2, 1, v1
	v_add_co_u32_e64 v3, s[36:37], -1, v2
	v_addc_co_u32_e64 v4, s[36:37], 0, -1, s[36:37]
	v_cmp_ne_u32_e64 s[36:37], 0, v2
	v_lshlrev_b32_e32 v10, 30, v1
	v_xor_b32_e32 v2, s37, v4
	v_xor_b32_e32 v3, s36, v3
	v_cmp_gt_i64_e64 s[36:37], 0, v[9:10]
	v_not_b32_e32 v4, v10
	v_ashrrev_i32_e32 v4, 31, v4
	v_and_b32_e32 v2, exec_hi, v2
	v_xor_b32_e32 v10, s37, v4
	v_and_b32_e32 v3, exec_lo, v3
	v_xor_b32_e32 v4, s36, v4
	v_and_b32_e32 v2, v2, v10
	v_lshlrev_b32_e32 v10, 29, v1
	v_and_b32_e32 v3, v3, v4
	v_cmp_gt_i64_e64 s[36:37], 0, v[9:10]
	v_not_b32_e32 v4, v10
	v_ashrrev_i32_e32 v4, 31, v4
	v_xor_b32_e32 v10, s37, v4
	v_xor_b32_e32 v4, s36, v4
	v_and_b32_e32 v2, v2, v10
	v_lshlrev_b32_e32 v10, 28, v1
	v_and_b32_e32 v3, v3, v4
	v_cmp_gt_i64_e64 s[36:37], 0, v[9:10]
	v_not_b32_e32 v4, v10
	v_ashrrev_i32_e32 v4, 31, v4
	v_xor_b32_e32 v10, s37, v4
	v_xor_b32_e32 v4, s36, v4
	v_and_b32_e32 v2, v2, v10
	v_lshlrev_b32_e32 v10, 27, v1
	v_and_b32_e32 v3, v3, v4
	v_cmp_gt_i64_e64 s[36:37], 0, v[9:10]
	v_not_b32_e32 v4, v10
	v_ashrrev_i32_e32 v4, 31, v4
	v_xor_b32_e32 v10, s37, v4
	v_xor_b32_e32 v4, s36, v4
	v_and_b32_e32 v2, v2, v10
	v_lshlrev_b32_e32 v10, 26, v1
	v_and_b32_e32 v3, v3, v4
	v_cmp_gt_i64_e64 s[36:37], 0, v[9:10]
	v_not_b32_e32 v4, v10
	v_ashrrev_i32_e32 v4, 31, v4
	v_xor_b32_e32 v10, s37, v4
	v_xor_b32_e32 v4, s36, v4
	v_and_b32_e32 v2, v2, v10
	v_lshlrev_b32_e32 v10, 25, v1
	v_and_b32_e32 v3, v3, v4
	v_cmp_gt_i64_e64 s[36:37], 0, v[9:10]
	v_not_b32_e32 v4, v10
	v_ashrrev_i32_e32 v4, 31, v4
	v_xor_b32_e32 v10, s37, v4
	v_and_b32_e32 v2, v2, v10
	v_lshlrev_b32_e32 v10, 24, v1
	v_xor_b32_e32 v4, s36, v4
	v_cmp_gt_i64_e64 s[36:37], 0, v[9:10]
	v_not_b32_e32 v1, v10
	v_ashrrev_i32_e32 v1, 31, v1
	v_and_b32_e32 v3, v3, v4
	v_xor_b32_e32 v4, s37, v1
	v_xor_b32_e32 v1, s36, v1
	; wave barrier
	ds_read_b32 v36, v37 offset:16
	v_and_b32_e32 v1, v3, v1
	v_and_b32_e32 v2, v2, v4
	v_mbcnt_lo_u32_b32 v3, v1, 0
	v_mbcnt_hi_u32_b32 v38, v2, v3
	v_cmp_ne_u64_e64 s[36:37], 0, v[1:2]
	v_cmp_eq_u32_e64 s[38:39], 0, v38
	s_and_b64 s[38:39], s[38:39], s[36:37]
	; wave barrier
	s_and_saveexec_b64 s[36:37], s[38:39]
	s_cbranch_execz .LBB172_10
; %bb.9:                                ;   in Loop: Header=BB172_4 Depth=2
	v_bcnt_u32_b32 v1, v1, 0
	v_bcnt_u32_b32 v1, v2, v1
	s_waitcnt lgkmcnt(0)
	v_add_u32_e32 v1, v36, v1
	ds_write_b32 v37, v1 offset:16
.LBB172_10:                             ;   in Loop: Header=BB172_4 Depth=2
	s_or_b64 exec, exec, s[36:37]
	v_lshrrev_b32_e32 v2, s49, v15
	v_lshrrev_b32_e32 v1, s41, v16
	v_and_b32_e32 v2, s50, v2
	v_and_b32_e32 v1, s48, v1
	v_lshlrev_b32_e32 v2, s44, v2
	v_cndmask_b32_e64 v1, 0, v1, s[34:35]
	v_cndmask_b32_e32 v2, 0, v2, vcc
	v_or_b32_e32 v1, v1, v2
	v_lshlrev_b32_e32 v2, 4, v1
	v_add_u32_e32 v40, v33, v2
	v_and_b32_e32 v2, 1, v1
	v_add_co_u32_e32 v3, vcc, -1, v2
	v_addc_co_u32_e64 v4, s[34:35], 0, -1, vcc
	v_cmp_ne_u32_e32 vcc, 0, v2
	v_lshlrev_b32_e32 v10, 30, v1
	v_xor_b32_e32 v2, vcc_hi, v4
	v_xor_b32_e32 v3, vcc_lo, v3
	v_cmp_gt_i64_e32 vcc, 0, v[9:10]
	v_not_b32_e32 v4, v10
	v_ashrrev_i32_e32 v4, 31, v4
	v_and_b32_e32 v2, exec_hi, v2
	v_xor_b32_e32 v10, vcc_hi, v4
	v_and_b32_e32 v3, exec_lo, v3
	v_xor_b32_e32 v4, vcc_lo, v4
	v_and_b32_e32 v2, v2, v10
	v_lshlrev_b32_e32 v10, 29, v1
	v_and_b32_e32 v3, v3, v4
	v_cmp_gt_i64_e32 vcc, 0, v[9:10]
	v_not_b32_e32 v4, v10
	v_ashrrev_i32_e32 v4, 31, v4
	v_xor_b32_e32 v10, vcc_hi, v4
	v_xor_b32_e32 v4, vcc_lo, v4
	v_and_b32_e32 v2, v2, v10
	v_lshlrev_b32_e32 v10, 28, v1
	v_and_b32_e32 v3, v3, v4
	v_cmp_gt_i64_e32 vcc, 0, v[9:10]
	v_not_b32_e32 v4, v10
	v_ashrrev_i32_e32 v4, 31, v4
	v_xor_b32_e32 v10, vcc_hi, v4
	;; [unrolled: 8-line block ×5, first 2 shown]
	v_and_b32_e32 v2, v2, v10
	v_lshlrev_b32_e32 v10, 24, v1
	v_xor_b32_e32 v4, vcc_lo, v4
	v_cmp_gt_i64_e32 vcc, 0, v[9:10]
	v_not_b32_e32 v1, v10
	v_ashrrev_i32_e32 v1, 31, v1
	v_and_b32_e32 v3, v3, v4
	v_xor_b32_e32 v4, vcc_hi, v1
	v_xor_b32_e32 v1, vcc_lo, v1
	; wave barrier
	ds_read_b32 v39, v40 offset:16
	v_and_b32_e32 v1, v3, v1
	v_and_b32_e32 v2, v2, v4
	v_mbcnt_lo_u32_b32 v3, v1, 0
	v_mbcnt_hi_u32_b32 v10, v2, v3
	v_cmp_ne_u64_e32 vcc, 0, v[1:2]
	v_cmp_eq_u32_e64 s[34:35], 0, v10
	s_and_b64 s[36:37], s[34:35], vcc
	; wave barrier
	s_and_saveexec_b64 s[34:35], s[36:37]
	s_cbranch_execz .LBB172_12
; %bb.11:                               ;   in Loop: Header=BB172_4 Depth=2
	v_bcnt_u32_b32 v1, v1, 0
	v_bcnt_u32_b32 v1, v2, v1
	s_waitcnt lgkmcnt(0)
	v_add_u32_e32 v1, v39, v1
	ds_write_b32 v40, v1 offset:16
.LBB172_12:                             ;   in Loop: Header=BB172_4 Depth=2
	s_or_b64 exec, exec, s[34:35]
	; wave barrier
	s_waitcnt lgkmcnt(0)
	s_barrier
	ds_read2_b64 v[1:4], v27 offset0:2 offset1:3
	s_waitcnt lgkmcnt(0)
	v_add_u32_e32 v41, v2, v1
	v_add3_u32 v4, v41, v3, v4
	s_nop 1
	v_mov_b32_dpp v41, v4 row_shr:1 row_mask:0xf bank_mask:0xf
	v_cndmask_b32_e64 v41, v41, 0, s[8:9]
	v_add_u32_e32 v4, v41, v4
	s_nop 1
	v_mov_b32_dpp v41, v4 row_shr:2 row_mask:0xf bank_mask:0xf
	v_cndmask_b32_e64 v41, 0, v41, s[10:11]
	v_add_u32_e32 v4, v4, v41
	;; [unrolled: 4-line block ×4, first 2 shown]
	s_nop 1
	v_mov_b32_dpp v41, v4 row_bcast:15 row_mask:0xf bank_mask:0xf
	v_cndmask_b32_e64 v41, v41, 0, s[16:17]
	v_add_u32_e32 v4, v4, v41
	s_nop 1
	v_mov_b32_dpp v41, v4 row_bcast:31 row_mask:0xf bank_mask:0xf
	v_cndmask_b32_e64 v41, 0, v41, s[18:19]
	v_add_u32_e32 v4, v4, v41
	s_and_saveexec_b64 s[34:35], s[20:21]
; %bb.13:                               ;   in Loop: Header=BB172_4 Depth=2
	ds_write_b32 v29, v4
; %bb.14:                               ;   in Loop: Header=BB172_4 Depth=2
	s_or_b64 exec, exec, s[34:35]
	s_waitcnt lgkmcnt(0)
	s_barrier
	s_and_saveexec_b64 s[34:35], s[22:23]
	s_cbranch_execz .LBB172_16
; %bb.15:                               ;   in Loop: Header=BB172_4 Depth=2
	ds_read_b32 v41, v30
	s_waitcnt lgkmcnt(0)
	s_nop 0
	v_mov_b32_dpp v42, v41 row_shr:1 row_mask:0xf bank_mask:0xf
	v_cndmask_b32_e64 v42, v42, 0, s[0:1]
	v_add_u32_e32 v41, v42, v41
	s_nop 1
	v_mov_b32_dpp v42, v41 row_shr:2 row_mask:0xf bank_mask:0xf
	v_cndmask_b32_e64 v42, 0, v42, s[30:31]
	v_add_u32_e32 v41, v41, v42
	ds_write_b32 v30, v41
.LBB172_16:                             ;   in Loop: Header=BB172_4 Depth=2
	s_or_b64 exec, exec, s[34:35]
	v_mov_b32_e32 v41, 0
	s_waitcnt lgkmcnt(0)
	s_barrier
	s_and_saveexec_b64 s[34:35], s[24:25]
; %bb.17:                               ;   in Loop: Header=BB172_4 Depth=2
	ds_read_b32 v41, v31
; %bb.18:                               ;   in Loop: Header=BB172_4 Depth=2
	s_or_b64 exec, exec, s[34:35]
	s_waitcnt lgkmcnt(0)
	v_add_u32_e32 v4, v41, v4
	ds_bpermute_b32 v4, v28, v4
	v_lshlrev_b32_e32 v5, 3, v5
	s_cmp_gt_u32 s41, 55
	s_mov_b64 s[34:35], -1
	s_waitcnt lgkmcnt(0)
	v_cndmask_b32_e64 v4, v4, v41, s[26:27]
	v_cndmask_b32_e64 v41, v4, 0, s[28:29]
	v_add_u32_e32 v42, v41, v1
	v_add_u32_e32 v1, v42, v2
	;; [unrolled: 1-line block ×3, first 2 shown]
	ds_write2_b64 v27, v[41:42], v[1:2] offset0:2 offset1:3
	s_waitcnt lgkmcnt(0)
	s_barrier
	ds_read_b32 v1, v6 offset:16
	ds_read_b32 v2, v8 offset:16
	;; [unrolled: 1-line block ×4, first 2 shown]
	s_waitcnt lgkmcnt(0)
	v_lshl_add_u32 v37, v1, 3, v5
	v_lshlrev_b32_e32 v1, 3, v35
	v_lshlrev_b32_e32 v5, 3, v7
	v_lshlrev_b32_e32 v2, 3, v2
	v_add3_u32 v35, v1, v5, v2
	v_lshlrev_b32_e32 v1, 3, v38
	v_lshlrev_b32_e32 v2, 3, v36
	v_lshlrev_b32_e32 v3, 3, v3
	v_add3_u32 v36, v1, v2, v3
	;; [unrolled: 4-line block ×3, first 2 shown]
                                        ; implicit-def: $vgpr1_vgpr2
                                        ; implicit-def: $vgpr5_vgpr6
	s_cbranch_scc1 .LBB172_3
; %bb.19:                               ;   in Loop: Header=BB172_4 Depth=2
	s_barrier
	ds_write_b64 v37, v[21:22]
	ds_write_b64 v35, v[19:20]
	;; [unrolled: 1-line block ×4, first 2 shown]
	s_waitcnt lgkmcnt(0)
	s_barrier
	ds_read2st64_b64 v[1:4], v32 offset1:1
	ds_read2st64_b64 v[5:8], v32 offset0:2 offset1:3
	s_add_i32 s40, s40, -8
	s_add_i32 s33, s33, 8
	s_add_i32 s41, s41, 8
	s_mov_b64 s[34:35], 0
	s_waitcnt lgkmcnt(0)
	s_barrier
	s_branch .LBB172_3
.LBB172_20:
	s_add_u32 s0, s42, s46
	s_addc_u32 s1, s43, s47
	v_lshlrev_b32_e32 v0, 3, v0
	v_mov_b32_e32 v1, s1
	v_add_co_u32_e32 v2, vcc, s0, v0
	v_addc_co_u32_e32 v1, vcc, 0, v1, vcc
	global_store_dwordx2 v0, v[7:8], s[0:1]
	global_store_dwordx2 v0, v[15:16], s[0:1] offset:2048
	v_add_co_u32_e32 v0, vcc, 0x1000, v2
	v_addc_co_u32_e32 v1, vcc, 0, v1, vcc
	global_store_dwordx2 v[0:1], v[3:4], off
	global_store_dwordx2 v[0:1], v[5:6], off offset:2048
	s_endpgm
	.section	.rodata,"a",@progbits
	.p2align	6, 0x0
	.amdhsa_kernel _Z16sort_keys_kernelI22helper_blocked_blockedN15benchmark_utils11custom_typeIiiEELj256ELj4ELj10EEvPKT0_PS4_
		.amdhsa_group_segment_fixed_size 8192
		.amdhsa_private_segment_fixed_size 0
		.amdhsa_kernarg_size 272
		.amdhsa_user_sgpr_count 6
		.amdhsa_user_sgpr_private_segment_buffer 1
		.amdhsa_user_sgpr_dispatch_ptr 0
		.amdhsa_user_sgpr_queue_ptr 0
		.amdhsa_user_sgpr_kernarg_segment_ptr 1
		.amdhsa_user_sgpr_dispatch_id 0
		.amdhsa_user_sgpr_flat_scratch_init 0
		.amdhsa_user_sgpr_private_segment_size 0
		.amdhsa_uses_dynamic_stack 0
		.amdhsa_system_sgpr_private_segment_wavefront_offset 0
		.amdhsa_system_sgpr_workgroup_id_x 1
		.amdhsa_system_sgpr_workgroup_id_y 0
		.amdhsa_system_sgpr_workgroup_id_z 0
		.amdhsa_system_sgpr_workgroup_info 0
		.amdhsa_system_vgpr_workitem_id 2
		.amdhsa_next_free_vgpr 43
		.amdhsa_next_free_sgpr 61
		.amdhsa_reserve_vcc 1
		.amdhsa_reserve_flat_scratch 0
		.amdhsa_float_round_mode_32 0
		.amdhsa_float_round_mode_16_64 0
		.amdhsa_float_denorm_mode_32 3
		.amdhsa_float_denorm_mode_16_64 3
		.amdhsa_dx10_clamp 1
		.amdhsa_ieee_mode 1
		.amdhsa_fp16_overflow 0
		.amdhsa_exception_fp_ieee_invalid_op 0
		.amdhsa_exception_fp_denorm_src 0
		.amdhsa_exception_fp_ieee_div_zero 0
		.amdhsa_exception_fp_ieee_overflow 0
		.amdhsa_exception_fp_ieee_underflow 0
		.amdhsa_exception_fp_ieee_inexact 0
		.amdhsa_exception_int_div_zero 0
	.end_amdhsa_kernel
	.section	.text._Z16sort_keys_kernelI22helper_blocked_blockedN15benchmark_utils11custom_typeIiiEELj256ELj4ELj10EEvPKT0_PS4_,"axG",@progbits,_Z16sort_keys_kernelI22helper_blocked_blockedN15benchmark_utils11custom_typeIiiEELj256ELj4ELj10EEvPKT0_PS4_,comdat
.Lfunc_end172:
	.size	_Z16sort_keys_kernelI22helper_blocked_blockedN15benchmark_utils11custom_typeIiiEELj256ELj4ELj10EEvPKT0_PS4_, .Lfunc_end172-_Z16sort_keys_kernelI22helper_blocked_blockedN15benchmark_utils11custom_typeIiiEELj256ELj4ELj10EEvPKT0_PS4_
                                        ; -- End function
	.set _Z16sort_keys_kernelI22helper_blocked_blockedN15benchmark_utils11custom_typeIiiEELj256ELj4ELj10EEvPKT0_PS4_.num_vgpr, 43
	.set _Z16sort_keys_kernelI22helper_blocked_blockedN15benchmark_utils11custom_typeIiiEELj256ELj4ELj10EEvPKT0_PS4_.num_agpr, 0
	.set _Z16sort_keys_kernelI22helper_blocked_blockedN15benchmark_utils11custom_typeIiiEELj256ELj4ELj10EEvPKT0_PS4_.numbered_sgpr, 51
	.set _Z16sort_keys_kernelI22helper_blocked_blockedN15benchmark_utils11custom_typeIiiEELj256ELj4ELj10EEvPKT0_PS4_.num_named_barrier, 0
	.set _Z16sort_keys_kernelI22helper_blocked_blockedN15benchmark_utils11custom_typeIiiEELj256ELj4ELj10EEvPKT0_PS4_.private_seg_size, 0
	.set _Z16sort_keys_kernelI22helper_blocked_blockedN15benchmark_utils11custom_typeIiiEELj256ELj4ELj10EEvPKT0_PS4_.uses_vcc, 1
	.set _Z16sort_keys_kernelI22helper_blocked_blockedN15benchmark_utils11custom_typeIiiEELj256ELj4ELj10EEvPKT0_PS4_.uses_flat_scratch, 0
	.set _Z16sort_keys_kernelI22helper_blocked_blockedN15benchmark_utils11custom_typeIiiEELj256ELj4ELj10EEvPKT0_PS4_.has_dyn_sized_stack, 0
	.set _Z16sort_keys_kernelI22helper_blocked_blockedN15benchmark_utils11custom_typeIiiEELj256ELj4ELj10EEvPKT0_PS4_.has_recursion, 0
	.set _Z16sort_keys_kernelI22helper_blocked_blockedN15benchmark_utils11custom_typeIiiEELj256ELj4ELj10EEvPKT0_PS4_.has_indirect_call, 0
	.section	.AMDGPU.csdata,"",@progbits
; Kernel info:
; codeLenInByte = 3768
; TotalNumSgprs: 55
; NumVgprs: 43
; ScratchSize: 0
; MemoryBound: 0
; FloatMode: 240
; IeeeMode: 1
; LDSByteSize: 8192 bytes/workgroup (compile time only)
; SGPRBlocks: 8
; VGPRBlocks: 10
; NumSGPRsForWavesPerEU: 65
; NumVGPRsForWavesPerEU: 43
; Occupancy: 5
; WaveLimiterHint : 1
; COMPUTE_PGM_RSRC2:SCRATCH_EN: 0
; COMPUTE_PGM_RSRC2:USER_SGPR: 6
; COMPUTE_PGM_RSRC2:TRAP_HANDLER: 0
; COMPUTE_PGM_RSRC2:TGID_X_EN: 1
; COMPUTE_PGM_RSRC2:TGID_Y_EN: 0
; COMPUTE_PGM_RSRC2:TGID_Z_EN: 0
; COMPUTE_PGM_RSRC2:TIDIG_COMP_CNT: 2
	.section	.text._Z17sort_pairs_kernelI22helper_blocked_blockedN15benchmark_utils11custom_typeIiiEELj256ELj4ELj10EEvPKT0_PS4_,"axG",@progbits,_Z17sort_pairs_kernelI22helper_blocked_blockedN15benchmark_utils11custom_typeIiiEELj256ELj4ELj10EEvPKT0_PS4_,comdat
	.protected	_Z17sort_pairs_kernelI22helper_blocked_blockedN15benchmark_utils11custom_typeIiiEELj256ELj4ELj10EEvPKT0_PS4_ ; -- Begin function _Z17sort_pairs_kernelI22helper_blocked_blockedN15benchmark_utils11custom_typeIiiEELj256ELj4ELj10EEvPKT0_PS4_
	.globl	_Z17sort_pairs_kernelI22helper_blocked_blockedN15benchmark_utils11custom_typeIiiEELj256ELj4ELj10EEvPKT0_PS4_
	.p2align	8
	.type	_Z17sort_pairs_kernelI22helper_blocked_blockedN15benchmark_utils11custom_typeIiiEELj256ELj4ELj10EEvPKT0_PS4_,@function
_Z17sort_pairs_kernelI22helper_blocked_blockedN15benchmark_utils11custom_typeIiiEELj256ELj4ELj10EEvPKT0_PS4_: ; @_Z17sort_pairs_kernelI22helper_blocked_blockedN15benchmark_utils11custom_typeIiiEELj256ELj4ELj10EEvPKT0_PS4_
; %bb.0:
	s_load_dwordx4 s[40:43], s[4:5], 0x0
	s_load_dword s33, s[4:5], 0x1c
	s_lshl_b32 s46, s6, 10
	s_mov_b32 s47, 0
	s_lshl_b64 s[44:45], s[46:47], 3
	s_waitcnt lgkmcnt(0)
	s_add_u32 s0, s40, s44
	s_addc_u32 s1, s41, s45
	v_lshlrev_b32_e32 v5, 3, v0
	v_mov_b32_e32 v3, s1
	v_add_co_u32_e32 v6, vcc, s0, v5
	v_addc_co_u32_e32 v7, vcc, 0, v3, vcc
	global_load_dwordx2 v[3:4], v5, s[0:1]
	global_load_dwordx2 v[13:14], v5, s[0:1] offset:2048
	s_movk_i32 s0, 0x1000
	v_add_co_u32_e32 v5, vcc, s0, v6
	v_addc_co_u32_e32 v6, vcc, 0, v7, vcc
	global_load_dwordx2 v[17:18], v[5:6], off
	global_load_dwordx2 v[15:16], v[5:6], off offset:2048
	s_lshr_b32 s36, s33, 16
	s_and_b32 s33, s33, 0xffff
	v_mad_u32_u24 v1, v2, s36, v1
	v_mbcnt_lo_u32_b32 v5, -1, 0
	v_mad_u64_u32 v[1:2], s[36:37], v1, s33, v[0:1]
	v_mbcnt_hi_u32_b32 v5, -1, v5
	v_or_b32_e32 v6, 63, v0
	v_lshrrev_b32_e32 v7, 4, v0
	v_lshlrev_b32_e32 v8, 5, v0
	v_lshrrev_b32_e32 v10, 2, v5
	v_and_b32_e32 v12, 64, v5
	v_cmp_eq_u32_e64 s[8:9], v0, v6
	v_subrev_co_u32_e64 v6, s[10:11], 1, v5
	v_lshlrev_b32_e32 v39, 4, v0
	s_mov_b32 s34, s47
	v_and_b32_e32 v40, 12, v7
	v_and_b32_e32 v7, 0x1800, v8
	s_mov_b32 s46, s47
	v_or_b32_e32 v8, v10, v12
	v_add_u32_e32 v10, 48, v10
	v_cmp_lt_i32_e32 vcc, v6, v12
	v_mul_u32_u24_e32 v9, 28, v0
	s_mov_b32 s35, s47
	v_and_b32_e32 v11, 3, v5
	v_and_b32_e32 v19, 15, v5
	;; [unrolled: 1-line block ×3, first 2 shown]
	v_cmp_lt_u32_e64 s[6:7], 31, v5
	v_mad_i32_i24 v41, v0, -12, v39
	v_cndmask_b32_e32 v6, v6, v5, vcc
	v_lshl_or_b32 v43, v5, 3, v7
	v_mov_b32_e32 v23, s46
	v_lshlrev_b32_e32 v45, 2, v8
	v_and_or_b32 v5, v10, 63, v12
	v_lshrrev_b32_e32 v1, 4, v1
	v_mov_b32_e32 v25, s34
	v_mov_b32_e32 v21, 0
	v_cmp_gt_u32_e64 s[0:1], 4, v0
	v_cmp_lt_u32_e64 s[2:3], 63, v0
	v_cmp_eq_u32_e64 s[4:5], 0, v0
	v_cmp_eq_u32_e64 s[12:13], 0, v11
	;; [unrolled: 1-line block ×6, first 2 shown]
	v_cmp_lt_u32_e64 s[22:23], 1, v19
	v_cmp_lt_u32_e64 s[24:25], 3, v19
	;; [unrolled: 1-line block ×3, first 2 shown]
	v_cmp_eq_u32_e64 s[28:29], 0, v20
	v_cmp_lt_u32_e64 s[30:31], 1, v11
	v_add_u32_e32 v42, -4, v40
	v_add_u32_e32 v44, v41, v9
	v_mov_b32_e32 v24, s47
	v_lshlrev_b32_e32 v46, 2, v6
	v_lshlrev_b32_e32 v47, 2, v5
	v_add_u32_e32 v48, 64, v45
	v_or_b32_e32 v49, 0x80, v45
	v_and_b32_e32 v50, 0xffffffc, v1
	v_mov_b32_e32 v26, s35
	s_waitcnt vmcnt(3)
	v_add_u32_e32 v10, 1, v4
	v_add_u32_e32 v9, 1, v3
	s_waitcnt vmcnt(2)
	v_add_u32_e32 v12, 1, v14
	v_add_u32_e32 v11, 1, v13
	;; [unrolled: 3-line block ×4, first 2 shown]
	s_branch .LBB173_2
.LBB173_1:                              ;   in Loop: Header=BB173_2 Depth=1
	s_barrier
	ds_write_b64 v22, v[37:38]
	ds_write_b64 v51, v[35:36]
	;; [unrolled: 1-line block ×4, first 2 shown]
	s_waitcnt lgkmcnt(0)
	s_barrier
	ds_read2_b64 v[13:16], v44 offset1:1
	ds_read2_b64 v[17:20], v44 offset0:2 offset1:3
	s_waitcnt lgkmcnt(0)
	s_barrier
	ds_write_b64 v22, v[29:30]
	ds_write_b64 v51, v[27:28]
	;; [unrolled: 1-line block ×4, first 2 shown]
	s_waitcnt lgkmcnt(0)
	s_barrier
	ds_read2_b64 v[9:12], v44 offset1:1
	ds_read2_b64 v[5:8], v44 offset0:2 offset1:3
	s_add_i32 s47, s47, 1
	v_xor_b32_e32 v3, 0x80000000, v13
	v_xor_b32_e32 v4, 0x80000000, v14
	;; [unrolled: 1-line block ×7, first 2 shown]
	s_cmp_lg_u32 s47, 10
	v_xor_b32_e32 v16, 0x80000000, v20
	s_cbranch_scc0 .LBB173_20
.LBB173_2:                              ; =>This Loop Header: Depth=1
                                        ;     Child Loop BB173_4 Depth 2
	v_xor_b32_e32 v20, 0x80000000, v4
	v_xor_b32_e32 v19, 0x80000000, v3
	;; [unrolled: 1-line block ×3, first 2 shown]
	ds_bpermute_b32 v1, v45, v20
	v_xor_b32_e32 v22, 0x80000000, v13
	v_xor_b32_e32 v18, 0x80000000, v18
	ds_bpermute_b32 v2, v45, v19
	ds_bpermute_b32 v3, v45, v27
	;; [unrolled: 1-line block ×4, first 2 shown]
	v_xor_b32_e32 v17, 0x80000000, v17
	s_waitcnt lgkmcnt(4)
	v_cndmask_b32_e64 v1, 0, v1, s[12:13]
	v_xor_b32_e32 v15, 0x80000000, v15
	v_xor_b32_e32 v16, 0x80000000, v16
	s_waitcnt lgkmcnt(3)
	v_cndmask_b32_e64 v2, 0, v2, s[12:13]
	s_waitcnt lgkmcnt(2)
	v_cndmask_b32_e64 v1, v1, v3, s[14:15]
	ds_bpermute_b32 v3, v45, v17
	s_waitcnt lgkmcnt(2)
	v_cndmask_b32_e64 v2, v2, v4, s[14:15]
	s_waitcnt lgkmcnt(1)
	v_cndmask_b32_e64 v1, v1, v13, s[16:17]
	ds_bpermute_b32 v4, v45, v16
	ds_bpermute_b32 v13, v45, v15
	;; [unrolled: 1-line block ×3, first 2 shown]
	s_waitcnt lgkmcnt(3)
	v_cndmask_b32_e64 v3, v2, v3, s[16:17]
	ds_bpermute_b32 v28, v48, v19
	s_waitcnt lgkmcnt(3)
	v_cndmask_b32_e64 v2, v1, v4, s[18:19]
	s_waitcnt lgkmcnt(2)
	v_cndmask_b32_e64 v1, v3, v13, s[18:19]
	ds_bpermute_b32 v3, v48, v27
	s_waitcnt lgkmcnt(2)
	v_cndmask_b32_e64 v4, 0, v14, s[12:13]
	ds_bpermute_b32 v14, v48, v22
	;; [unrolled: 3-line block ×4, first 2 shown]
	ds_bpermute_b32 v29, v48, v16
	s_waitcnt lgkmcnt(3)
	v_cndmask_b32_e64 v13, v13, v14, s[14:15]
	ds_bpermute_b32 v14, v48, v15
	s_waitcnt lgkmcnt(3)
	v_cndmask_b32_e64 v3, v3, v28, s[16:17]
	s_waitcnt lgkmcnt(2)
	v_cndmask_b32_e64 v13, v13, v4, s[16:17]
	ds_bpermute_b32 v28, v49, v20
	s_waitcnt lgkmcnt(2)
	v_cndmask_b32_e64 v4, v3, v29, s[18:19]
	s_waitcnt lgkmcnt(1)
	v_cndmask_b32_e64 v3, v13, v14, s[18:19]
	ds_bpermute_b32 v13, v49, v27
	ds_bpermute_b32 v29, v49, v19
	ds_bpermute_b32 v19, v47, v19
	ds_bpermute_b32 v14, v49, v22
	s_waitcnt lgkmcnt(4)
	v_cndmask_b32_e64 v28, 0, v28, s[12:13]
	ds_bpermute_b32 v22, v47, v22
	ds_bpermute_b32 v30, v49, v18
	s_waitcnt lgkmcnt(5)
	v_cndmask_b32_e64 v13, v28, v13, s[14:15]
	ds_bpermute_b32 v28, v49, v17
	ds_bpermute_b32 v17, v47, v17
	ds_bpermute_b32 v20, v47, v20
	ds_bpermute_b32 v27, v47, v27
	s_waitcnt lgkmcnt(8)
	v_cndmask_b32_e64 v29, 0, v29, s[12:13]
	s_waitcnt lgkmcnt(7)
	v_cndmask_b32_e64 v19, 0, v19, s[12:13]
	ds_bpermute_b32 v18, v47, v18
	s_waitcnt lgkmcnt(7)
	v_cndmask_b32_e64 v14, v29, v14, s[14:15]
	ds_bpermute_b32 v29, v49, v16
	s_waitcnt lgkmcnt(7)
	v_cndmask_b32_e64 v19, v19, v22, s[14:15]
	ds_bpermute_b32 v16, v47, v16
	s_waitcnt lgkmcnt(7)
	v_cndmask_b32_e64 v13, v13, v30, s[16:17]
	ds_bpermute_b32 v30, v49, v15
	s_waitcnt lgkmcnt(6)
	v_cndmask_b32_e64 v17, v19, v17, s[16:17]
	ds_bpermute_b32 v15, v47, v15
	ds_bpermute_b32 v19, v45, v10
	s_waitcnt lgkmcnt(7)
	v_cndmask_b32_e64 v20, 0, v20, s[12:13]
	s_waitcnt lgkmcnt(6)
	v_cndmask_b32_e64 v20, v20, v27, s[14:15]
	;; [unrolled: 2-line block ×4, first 2 shown]
	ds_bpermute_b32 v18, v45, v9
	ds_bpermute_b32 v20, v45, v12
	s_waitcnt lgkmcnt(3)
	v_cndmask_b32_e64 v15, v17, v15, s[18:19]
	s_waitcnt lgkmcnt(2)
	v_cndmask_b32_e64 v17, 0, v19, s[12:13]
	ds_bpermute_b32 v19, v45, v11
	s_waitcnt lgkmcnt(2)
	v_cndmask_b32_e64 v18, 0, v18, s[12:13]
	s_waitcnt lgkmcnt(1)
	v_cndmask_b32_e64 v17, v17, v20, s[14:15]
	ds_bpermute_b32 v20, v45, v6
	ds_bpermute_b32 v22, v45, v5
	s_waitcnt lgkmcnt(2)
	v_cndmask_b32_e64 v18, v18, v19, s[14:15]
	ds_bpermute_b32 v19, v45, v8
	ds_bpermute_b32 v27, v45, v7
	s_waitcnt lgkmcnt(3)
	v_cndmask_b32_e64 v17, v17, v20, s[16:17]
	s_waitcnt lgkmcnt(2)
	v_cndmask_b32_e64 v20, v18, v22, s[16:17]
	ds_bpermute_b32 v22, v48, v10
	s_waitcnt lgkmcnt(2)
	v_cndmask_b32_e64 v18, v17, v19, s[18:19]
	s_waitcnt lgkmcnt(1)
	v_cndmask_b32_e64 v17, v20, v27, s[18:19]
	ds_bpermute_b32 v19, v48, v9
	ds_bpermute_b32 v20, v48, v12
	;; [unrolled: 1-line block ×3, first 2 shown]
	v_cndmask_b32_e64 v28, v14, v28, s[16:17]
	s_waitcnt lgkmcnt(3)
	v_cndmask_b32_e64 v22, 0, v22, s[12:13]
	v_cndmask_b32_e64 v14, v13, v29, s[18:19]
	;; [unrolled: 1-line block ×3, first 2 shown]
	ds_bpermute_b32 v28, v48, v6
	s_waitcnt lgkmcnt(3)
	v_cndmask_b32_e64 v19, 0, v19, s[12:13]
	s_waitcnt lgkmcnt(2)
	v_cndmask_b32_e64 v20, v22, v20, s[14:15]
	ds_bpermute_b32 v22, v48, v5
	s_waitcnt lgkmcnt(2)
	v_cndmask_b32_e64 v19, v19, v27, s[14:15]
	ds_bpermute_b32 v27, v48, v8
	;; [unrolled: 3-line block ×4, first 2 shown]
	ds_bpermute_b32 v29, v49, v9
	s_waitcnt lgkmcnt(3)
	v_cndmask_b32_e64 v20, v20, v27, s[18:19]
	ds_bpermute_b32 v27, v49, v12
	s_waitcnt lgkmcnt(3)
	v_cndmask_b32_e64 v19, v19, v28, s[18:19]
	s_waitcnt lgkmcnt(2)
	v_cndmask_b32_e64 v22, 0, v22, s[12:13]
	;; [unrolled: 2-line block ×3, first 2 shown]
	ds_bpermute_b32 v29, v49, v11
	ds_bpermute_b32 v30, v49, v6
	s_waitcnt lgkmcnt(2)
	v_cndmask_b32_e64 v22, v22, v27, s[14:15]
	ds_bpermute_b32 v27, v49, v5
	ds_bpermute_b32 v31, v49, v8
	s_waitcnt lgkmcnt(3)
	v_cndmask_b32_e64 v28, v28, v29, s[14:15]
	s_waitcnt lgkmcnt(2)
	v_cndmask_b32_e64 v22, v22, v30, s[16:17]
	ds_bpermute_b32 v29, v49, v7
	s_waitcnt lgkmcnt(2)
	v_cndmask_b32_e64 v27, v28, v27, s[16:17]
	ds_bpermute_b32 v28, v47, v10
	ds_bpermute_b32 v30, v47, v9
	;; [unrolled: 1-line block ×8, first 2 shown]
	s_waitcnt lgkmcnt(9)
	v_cndmask_b32_e64 v10, v22, v31, s[18:19]
	s_waitcnt lgkmcnt(8)
	v_cndmask_b32_e64 v9, v27, v29, s[18:19]
	;; [unrolled: 2-line block ×10, first 2 shown]
	s_mov_b32 s33, 8
	s_mov_b32 s40, 32
	;; [unrolled: 1-line block ×3, first 2 shown]
	s_barrier
	s_branch .LBB173_4
.LBB173_3:                              ;   in Loop: Header=BB173_4 Depth=2
	s_andn2_b64 vcc, exec, s[34:35]
	s_cbranch_vccz .LBB173_1
.LBB173_4:                              ;   Parent Loop BB173_2 Depth=1
                                        ; =>  This Inner Loop Header: Depth=2
	s_min_i32 s36, s33, 32
	s_cmp_lt_u32 s41, 32
	s_cselect_b64 s[34:35], -1, 0
	s_cmp_gt_u32 s41, 31
	s_cselect_b64 vcc, -1, 0
	s_sub_i32 s36, s36, 32
	s_add_i32 s37, s36, s40
	s_lshl_b32 s37, -1, s37
	s_not_b32 s37, s37
	s_cmp_lg_u32 s36, s41
	s_cselect_b32 s48, s37, -1
	s_max_i32 s46, s40, 0
	s_max_i32 s36, s41, 32
	s_sub_i32 s49, s36, 32
	s_sub_i32 s36, s36, s46
	;; [unrolled: 1-line block ×3, first 2 shown]
	s_min_i32 s36, s36, 32
	s_sub_i32 s36, s36, s49
	s_lshl_b32 s37, -1, s36
	v_mov_b32_e32 v38, v2
	s_not_b32 s37, s37
	v_mov_b32_e32 v37, v1
	s_cmp_lg_u32 s36, 32
	s_cselect_b32 s50, s37, -1
	v_lshrrev_b32_e32 v2, s49, v37
	v_lshrrev_b32_e32 v1, s41, v38
	v_and_b32_e32 v2, s50, v2
	v_and_b32_e32 v1, s48, v1
	v_lshlrev_b32_e32 v2, s46, v2
	v_cndmask_b32_e64 v1, 0, v1, s[34:35]
	v_cndmask_b32_e32 v2, 0, v2, vcc
	v_or_b32_e32 v1, v1, v2
	v_mov_b32_e32 v36, v4
	v_and_b32_e32 v2, 1, v1
	v_mov_b32_e32 v7, v9
	v_mov_b32_e32 v35, v3
	v_add_co_u32_e64 v4, s[36:37], -1, v2
	v_mov_b32_e32 v8, v10
	v_addc_co_u32_e64 v9, s[36:37], 0, -1, s[36:37]
	v_cmp_ne_u32_e64 s[36:37], 0, v2
	v_lshlrev_b32_e32 v22, 30, v1
	v_xor_b32_e32 v2, s37, v9
	v_xor_b32_e32 v4, s36, v4
	v_cmp_gt_i64_e64 s[36:37], 0, v[21:22]
	v_not_b32_e32 v9, v22
	v_ashrrev_i32_e32 v9, 31, v9
	v_and_b32_e32 v4, exec_lo, v4
	v_xor_b32_e32 v10, s37, v9
	v_xor_b32_e32 v9, s36, v9
	v_lshlrev_b32_e32 v22, 29, v1
	v_and_b32_e32 v4, v4, v9
	v_cmp_gt_i64_e64 s[36:37], 0, v[21:22]
	v_not_b32_e32 v9, v22
	v_and_b32_e32 v2, exec_hi, v2
	v_ashrrev_i32_e32 v9, 31, v9
	v_and_b32_e32 v2, v2, v10
	v_xor_b32_e32 v10, s37, v9
	v_xor_b32_e32 v9, s36, v9
	v_lshlrev_b32_e32 v22, 28, v1
	v_and_b32_e32 v4, v4, v9
	v_cmp_gt_i64_e64 s[36:37], 0, v[21:22]
	v_not_b32_e32 v9, v22
	v_ashrrev_i32_e32 v9, 31, v9
	v_and_b32_e32 v2, v2, v10
	v_xor_b32_e32 v10, s37, v9
	v_xor_b32_e32 v9, s36, v9
	v_lshlrev_b32_e32 v22, 27, v1
	v_and_b32_e32 v4, v4, v9
	v_cmp_gt_i64_e64 s[36:37], 0, v[21:22]
	v_not_b32_e32 v9, v22
	;; [unrolled: 8-line block ×4, first 2 shown]
	v_ashrrev_i32_e32 v9, 31, v9
	v_lshlrev_b32_e32 v22, 24, v1
	v_lshlrev_b32_e32 v3, 4, v1
	v_and_b32_e32 v2, v2, v10
	v_xor_b32_e32 v10, s37, v9
	v_xor_b32_e32 v9, s36, v9
	v_cmp_gt_i64_e64 s[36:37], 0, v[21:22]
	v_not_b32_e32 v1, v22
	v_ashrrev_i32_e32 v1, 31, v1
	v_and_b32_e32 v4, v4, v9
	v_xor_b32_e32 v9, s37, v1
	v_xor_b32_e32 v1, s36, v1
	v_and_b32_e32 v2, v2, v10
	v_and_b32_e32 v1, v4, v1
	;; [unrolled: 1-line block ×3, first 2 shown]
	v_mbcnt_lo_u32_b32 v4, v1, 0
	v_mbcnt_hi_u32_b32 v9, v2, v4
	v_cmp_ne_u64_e64 s[36:37], 0, v[1:2]
	v_mov_b32_e32 v30, v18
	v_mov_b32_e32 v28, v20
	;; [unrolled: 1-line block ×5, first 2 shown]
	v_cmp_eq_u32_e64 s[38:39], 0, v9
	v_mov_b32_e32 v29, v17
	v_mov_b32_e32 v27, v19
	;; [unrolled: 1-line block ×5, first 2 shown]
	s_and_b64 s[38:39], s[38:39], s[36:37]
	v_add_u32_e32 v10, v50, v3
	ds_write2_b64 v39, v[23:24], v[25:26] offset0:2 offset1:3
	s_waitcnt lgkmcnt(0)
	s_barrier
	; wave barrier
	s_and_saveexec_b64 s[36:37], s[38:39]
; %bb.5:                                ;   in Loop: Header=BB173_4 Depth=2
	v_bcnt_u32_b32 v1, v1, 0
	v_bcnt_u32_b32 v1, v2, v1
	ds_write_b32 v10, v1 offset:16
; %bb.6:                                ;   in Loop: Header=BB173_4 Depth=2
	s_or_b64 exec, exec, s[36:37]
	v_lshrrev_b32_e32 v2, s49, v35
	v_lshrrev_b32_e32 v1, s41, v36
	v_and_b32_e32 v2, s50, v2
	v_and_b32_e32 v1, s48, v1
	v_lshlrev_b32_e32 v2, s46, v2
	v_cndmask_b32_e64 v1, 0, v1, s[34:35]
	v_cndmask_b32_e32 v2, 0, v2, vcc
	v_or_b32_e32 v1, v1, v2
	v_lshlrev_b32_e32 v2, 4, v1
	v_add_u32_e32 v12, v50, v2
	v_and_b32_e32 v2, 1, v1
	v_add_co_u32_e64 v3, s[36:37], -1, v2
	v_addc_co_u32_e64 v4, s[36:37], 0, -1, s[36:37]
	v_cmp_ne_u32_e64 s[36:37], 0, v2
	v_lshlrev_b32_e32 v22, 30, v1
	v_xor_b32_e32 v2, s37, v4
	v_xor_b32_e32 v3, s36, v3
	v_cmp_gt_i64_e64 s[36:37], 0, v[21:22]
	v_not_b32_e32 v4, v22
	v_ashrrev_i32_e32 v4, 31, v4
	v_and_b32_e32 v3, exec_lo, v3
	v_xor_b32_e32 v13, s37, v4
	v_xor_b32_e32 v4, s36, v4
	v_lshlrev_b32_e32 v22, 29, v1
	v_and_b32_e32 v3, v3, v4
	v_cmp_gt_i64_e64 s[36:37], 0, v[21:22]
	v_not_b32_e32 v4, v22
	v_and_b32_e32 v2, exec_hi, v2
	v_ashrrev_i32_e32 v4, 31, v4
	v_and_b32_e32 v2, v2, v13
	v_xor_b32_e32 v13, s37, v4
	v_xor_b32_e32 v4, s36, v4
	v_lshlrev_b32_e32 v22, 28, v1
	v_and_b32_e32 v3, v3, v4
	v_cmp_gt_i64_e64 s[36:37], 0, v[21:22]
	v_not_b32_e32 v4, v22
	v_ashrrev_i32_e32 v4, 31, v4
	v_and_b32_e32 v2, v2, v13
	v_xor_b32_e32 v13, s37, v4
	v_xor_b32_e32 v4, s36, v4
	v_lshlrev_b32_e32 v22, 27, v1
	v_and_b32_e32 v3, v3, v4
	v_cmp_gt_i64_e64 s[36:37], 0, v[21:22]
	v_not_b32_e32 v4, v22
	;; [unrolled: 8-line block ×4, first 2 shown]
	v_ashrrev_i32_e32 v4, 31, v4
	v_lshlrev_b32_e32 v22, 24, v1
	v_and_b32_e32 v2, v2, v13
	v_xor_b32_e32 v13, s37, v4
	v_xor_b32_e32 v4, s36, v4
	v_cmp_gt_i64_e64 s[36:37], 0, v[21:22]
	v_not_b32_e32 v1, v22
	v_ashrrev_i32_e32 v1, 31, v1
	v_and_b32_e32 v3, v3, v4
	v_xor_b32_e32 v4, s37, v1
	v_xor_b32_e32 v1, s36, v1
	; wave barrier
	ds_read_b32 v11, v12 offset:16
	v_and_b32_e32 v2, v2, v13
	v_and_b32_e32 v1, v3, v1
	;; [unrolled: 1-line block ×3, first 2 shown]
	v_mbcnt_lo_u32_b32 v3, v1, 0
	v_mbcnt_hi_u32_b32 v13, v2, v3
	v_cmp_ne_u64_e64 s[36:37], 0, v[1:2]
	v_cmp_eq_u32_e64 s[38:39], 0, v13
	s_and_b64 s[38:39], s[38:39], s[36:37]
	; wave barrier
	s_and_saveexec_b64 s[36:37], s[38:39]
	s_cbranch_execz .LBB173_8
; %bb.7:                                ;   in Loop: Header=BB173_4 Depth=2
	v_bcnt_u32_b32 v1, v1, 0
	v_bcnt_u32_b32 v1, v2, v1
	s_waitcnt lgkmcnt(0)
	v_add_u32_e32 v1, v11, v1
	ds_write_b32 v12, v1 offset:16
.LBB173_8:                              ;   in Loop: Header=BB173_4 Depth=2
	s_or_b64 exec, exec, s[36:37]
	v_lshrrev_b32_e32 v2, s49, v33
	v_lshrrev_b32_e32 v1, s41, v34
	v_and_b32_e32 v2, s50, v2
	v_and_b32_e32 v1, s48, v1
	v_lshlrev_b32_e32 v2, s46, v2
	v_cndmask_b32_e64 v1, 0, v1, s[34:35]
	v_cndmask_b32_e32 v2, 0, v2, vcc
	v_or_b32_e32 v1, v1, v2
	v_lshlrev_b32_e32 v2, 4, v1
	v_add_u32_e32 v15, v50, v2
	v_and_b32_e32 v2, 1, v1
	v_add_co_u32_e64 v3, s[36:37], -1, v2
	v_addc_co_u32_e64 v4, s[36:37], 0, -1, s[36:37]
	v_cmp_ne_u32_e64 s[36:37], 0, v2
	v_lshlrev_b32_e32 v22, 30, v1
	v_xor_b32_e32 v2, s37, v4
	v_xor_b32_e32 v3, s36, v3
	v_cmp_gt_i64_e64 s[36:37], 0, v[21:22]
	v_not_b32_e32 v4, v22
	v_ashrrev_i32_e32 v4, 31, v4
	v_and_b32_e32 v3, exec_lo, v3
	v_xor_b32_e32 v16, s37, v4
	v_xor_b32_e32 v4, s36, v4
	v_lshlrev_b32_e32 v22, 29, v1
	v_and_b32_e32 v3, v3, v4
	v_cmp_gt_i64_e64 s[36:37], 0, v[21:22]
	v_not_b32_e32 v4, v22
	v_and_b32_e32 v2, exec_hi, v2
	v_ashrrev_i32_e32 v4, 31, v4
	v_and_b32_e32 v2, v2, v16
	v_xor_b32_e32 v16, s37, v4
	v_xor_b32_e32 v4, s36, v4
	v_lshlrev_b32_e32 v22, 28, v1
	v_and_b32_e32 v3, v3, v4
	v_cmp_gt_i64_e64 s[36:37], 0, v[21:22]
	v_not_b32_e32 v4, v22
	v_ashrrev_i32_e32 v4, 31, v4
	v_and_b32_e32 v2, v2, v16
	v_xor_b32_e32 v16, s37, v4
	v_xor_b32_e32 v4, s36, v4
	v_lshlrev_b32_e32 v22, 27, v1
	v_and_b32_e32 v3, v3, v4
	v_cmp_gt_i64_e64 s[36:37], 0, v[21:22]
	v_not_b32_e32 v4, v22
	;; [unrolled: 8-line block ×4, first 2 shown]
	v_ashrrev_i32_e32 v4, 31, v4
	v_lshlrev_b32_e32 v22, 24, v1
	v_and_b32_e32 v2, v2, v16
	v_xor_b32_e32 v16, s37, v4
	v_xor_b32_e32 v4, s36, v4
	v_cmp_gt_i64_e64 s[36:37], 0, v[21:22]
	v_not_b32_e32 v1, v22
	v_ashrrev_i32_e32 v1, 31, v1
	v_and_b32_e32 v3, v3, v4
	v_xor_b32_e32 v4, s37, v1
	v_xor_b32_e32 v1, s36, v1
	; wave barrier
	ds_read_b32 v14, v15 offset:16
	v_and_b32_e32 v2, v2, v16
	v_and_b32_e32 v1, v3, v1
	;; [unrolled: 1-line block ×3, first 2 shown]
	v_mbcnt_lo_u32_b32 v3, v1, 0
	v_mbcnt_hi_u32_b32 v16, v2, v3
	v_cmp_ne_u64_e64 s[36:37], 0, v[1:2]
	v_cmp_eq_u32_e64 s[38:39], 0, v16
	s_and_b64 s[38:39], s[38:39], s[36:37]
	; wave barrier
	s_and_saveexec_b64 s[36:37], s[38:39]
	s_cbranch_execz .LBB173_10
; %bb.9:                                ;   in Loop: Header=BB173_4 Depth=2
	v_bcnt_u32_b32 v1, v1, 0
	v_bcnt_u32_b32 v1, v2, v1
	s_waitcnt lgkmcnt(0)
	v_add_u32_e32 v1, v14, v1
	ds_write_b32 v15, v1 offset:16
.LBB173_10:                             ;   in Loop: Header=BB173_4 Depth=2
	s_or_b64 exec, exec, s[36:37]
	v_lshrrev_b32_e32 v2, s49, v31
	v_lshrrev_b32_e32 v1, s41, v32
	v_and_b32_e32 v2, s50, v2
	v_and_b32_e32 v1, s48, v1
	v_lshlrev_b32_e32 v2, s46, v2
	v_cndmask_b32_e64 v1, 0, v1, s[34:35]
	v_cndmask_b32_e32 v2, 0, v2, vcc
	v_or_b32_e32 v1, v1, v2
	v_lshlrev_b32_e32 v2, 4, v1
	v_add_u32_e32 v18, v50, v2
	v_and_b32_e32 v2, 1, v1
	v_add_co_u32_e32 v3, vcc, -1, v2
	v_addc_co_u32_e64 v4, s[34:35], 0, -1, vcc
	v_cmp_ne_u32_e32 vcc, 0, v2
	v_lshlrev_b32_e32 v22, 30, v1
	v_xor_b32_e32 v2, vcc_hi, v4
	v_xor_b32_e32 v3, vcc_lo, v3
	v_cmp_gt_i64_e32 vcc, 0, v[21:22]
	v_not_b32_e32 v4, v22
	v_ashrrev_i32_e32 v4, 31, v4
	v_and_b32_e32 v3, exec_lo, v3
	v_xor_b32_e32 v19, vcc_hi, v4
	v_xor_b32_e32 v4, vcc_lo, v4
	v_lshlrev_b32_e32 v22, 29, v1
	v_and_b32_e32 v3, v3, v4
	v_cmp_gt_i64_e32 vcc, 0, v[21:22]
	v_not_b32_e32 v4, v22
	v_and_b32_e32 v2, exec_hi, v2
	v_ashrrev_i32_e32 v4, 31, v4
	v_and_b32_e32 v2, v2, v19
	v_xor_b32_e32 v19, vcc_hi, v4
	v_xor_b32_e32 v4, vcc_lo, v4
	v_lshlrev_b32_e32 v22, 28, v1
	v_and_b32_e32 v3, v3, v4
	v_cmp_gt_i64_e32 vcc, 0, v[21:22]
	v_not_b32_e32 v4, v22
	v_ashrrev_i32_e32 v4, 31, v4
	v_and_b32_e32 v2, v2, v19
	v_xor_b32_e32 v19, vcc_hi, v4
	v_xor_b32_e32 v4, vcc_lo, v4
	v_lshlrev_b32_e32 v22, 27, v1
	v_and_b32_e32 v3, v3, v4
	v_cmp_gt_i64_e32 vcc, 0, v[21:22]
	v_not_b32_e32 v4, v22
	;; [unrolled: 8-line block ×4, first 2 shown]
	v_ashrrev_i32_e32 v4, 31, v4
	v_lshlrev_b32_e32 v22, 24, v1
	v_and_b32_e32 v2, v2, v19
	v_xor_b32_e32 v19, vcc_hi, v4
	v_xor_b32_e32 v4, vcc_lo, v4
	v_cmp_gt_i64_e32 vcc, 0, v[21:22]
	v_not_b32_e32 v1, v22
	v_ashrrev_i32_e32 v1, 31, v1
	v_and_b32_e32 v3, v3, v4
	v_xor_b32_e32 v4, vcc_hi, v1
	v_xor_b32_e32 v1, vcc_lo, v1
	; wave barrier
	ds_read_b32 v17, v18 offset:16
	v_and_b32_e32 v2, v2, v19
	v_and_b32_e32 v1, v3, v1
	v_and_b32_e32 v2, v2, v4
	v_mbcnt_lo_u32_b32 v3, v1, 0
	v_mbcnt_hi_u32_b32 v19, v2, v3
	v_cmp_ne_u64_e32 vcc, 0, v[1:2]
	v_cmp_eq_u32_e64 s[34:35], 0, v19
	s_and_b64 s[36:37], s[34:35], vcc
	; wave barrier
	s_and_saveexec_b64 s[34:35], s[36:37]
	s_cbranch_execz .LBB173_12
; %bb.11:                               ;   in Loop: Header=BB173_4 Depth=2
	v_bcnt_u32_b32 v1, v1, 0
	v_bcnt_u32_b32 v1, v2, v1
	s_waitcnt lgkmcnt(0)
	v_add_u32_e32 v1, v17, v1
	ds_write_b32 v18, v1 offset:16
.LBB173_12:                             ;   in Loop: Header=BB173_4 Depth=2
	s_or_b64 exec, exec, s[34:35]
	; wave barrier
	s_waitcnt lgkmcnt(0)
	s_barrier
	ds_read2_b64 v[1:4], v39 offset0:2 offset1:3
	s_waitcnt lgkmcnt(0)
	v_add_u32_e32 v20, v2, v1
	v_add3_u32 v4, v20, v3, v4
	s_nop 1
	v_mov_b32_dpp v20, v4 row_shr:1 row_mask:0xf bank_mask:0xf
	v_cndmask_b32_e64 v20, v20, 0, s[20:21]
	v_add_u32_e32 v4, v20, v4
	s_nop 1
	v_mov_b32_dpp v20, v4 row_shr:2 row_mask:0xf bank_mask:0xf
	v_cndmask_b32_e64 v20, 0, v20, s[22:23]
	v_add_u32_e32 v4, v4, v20
	;; [unrolled: 4-line block ×4, first 2 shown]
	s_nop 1
	v_mov_b32_dpp v20, v4 row_bcast:15 row_mask:0xf bank_mask:0xf
	v_cndmask_b32_e64 v20, v20, 0, s[28:29]
	v_add_u32_e32 v4, v4, v20
	s_nop 1
	v_mov_b32_dpp v20, v4 row_bcast:31 row_mask:0xf bank_mask:0xf
	v_cndmask_b32_e64 v20, 0, v20, s[6:7]
	v_add_u32_e32 v4, v4, v20
	s_and_saveexec_b64 s[34:35], s[8:9]
; %bb.13:                               ;   in Loop: Header=BB173_4 Depth=2
	ds_write_b32 v40, v4
; %bb.14:                               ;   in Loop: Header=BB173_4 Depth=2
	s_or_b64 exec, exec, s[34:35]
	s_waitcnt lgkmcnt(0)
	s_barrier
	s_and_saveexec_b64 s[34:35], s[0:1]
	s_cbranch_execz .LBB173_16
; %bb.15:                               ;   in Loop: Header=BB173_4 Depth=2
	ds_read_b32 v20, v41
	s_waitcnt lgkmcnt(0)
	s_nop 0
	v_mov_b32_dpp v22, v20 row_shr:1 row_mask:0xf bank_mask:0xf
	v_cndmask_b32_e64 v22, v22, 0, s[12:13]
	v_add_u32_e32 v20, v22, v20
	s_nop 1
	v_mov_b32_dpp v22, v20 row_shr:2 row_mask:0xf bank_mask:0xf
	v_cndmask_b32_e64 v22, 0, v22, s[30:31]
	v_add_u32_e32 v20, v20, v22
	ds_write_b32 v41, v20
.LBB173_16:                             ;   in Loop: Header=BB173_4 Depth=2
	s_or_b64 exec, exec, s[34:35]
	v_mov_b32_e32 v20, 0
	s_waitcnt lgkmcnt(0)
	s_barrier
	s_and_saveexec_b64 s[34:35], s[2:3]
; %bb.17:                               ;   in Loop: Header=BB173_4 Depth=2
	ds_read_b32 v20, v42
; %bb.18:                               ;   in Loop: Header=BB173_4 Depth=2
	s_or_b64 exec, exec, s[34:35]
	s_waitcnt lgkmcnt(0)
	v_add_u32_e32 v4, v20, v4
	ds_bpermute_b32 v4, v46, v4
	v_lshlrev_b32_e32 v9, 3, v9
	s_cmp_gt_u32 s41, 55
	s_mov_b64 s[34:35], -1
	s_waitcnt lgkmcnt(0)
	v_cndmask_b32_e64 v4, v4, v20, s[10:11]
	v_cndmask_b32_e64 v51, v4, 0, s[4:5]
	v_add_u32_e32 v52, v51, v1
	v_add_u32_e32 v1, v52, v2
	;; [unrolled: 1-line block ×3, first 2 shown]
	ds_write2_b64 v39, v[51:52], v[1:2] offset0:2 offset1:3
	s_waitcnt lgkmcnt(0)
	s_barrier
	ds_read_b32 v1, v10 offset:16
	ds_read_b32 v2, v12 offset:16
	;; [unrolled: 1-line block ×4, first 2 shown]
	s_waitcnt lgkmcnt(0)
	v_lshl_add_u32 v22, v1, 3, v9
	v_lshlrev_b32_e32 v1, 3, v13
	v_lshlrev_b32_e32 v9, 3, v11
	v_lshlrev_b32_e32 v2, 3, v2
	v_add3_u32 v51, v1, v9, v2
	v_lshlrev_b32_e32 v1, 3, v16
	v_lshlrev_b32_e32 v2, 3, v14
	v_lshlrev_b32_e32 v3, 3, v3
	v_add3_u32 v52, v1, v2, v3
	;; [unrolled: 4-line block ×3, first 2 shown]
                                        ; implicit-def: $vgpr17_vgpr18
                                        ; implicit-def: $vgpr9_vgpr10
                                        ; implicit-def: $vgpr1_vgpr2
                                        ; implicit-def: $vgpr13_vgpr14
	s_cbranch_scc1 .LBB173_3
; %bb.19:                               ;   in Loop: Header=BB173_4 Depth=2
	s_barrier
	ds_write_b64 v22, v[37:38]
	ds_write_b64 v51, v[35:36]
	;; [unrolled: 1-line block ×4, first 2 shown]
	s_waitcnt lgkmcnt(0)
	s_barrier
	ds_read2st64_b64 v[1:4], v43 offset1:1
	ds_read2st64_b64 v[13:16], v43 offset0:2 offset1:3
	s_waitcnt lgkmcnt(0)
	s_barrier
	ds_write_b64 v22, v[29:30]
	ds_write_b64 v51, v[27:28]
	;; [unrolled: 1-line block ×4, first 2 shown]
	s_waitcnt lgkmcnt(0)
	s_barrier
	ds_read2st64_b64 v[17:20], v43 offset1:1
	ds_read2st64_b64 v[9:12], v43 offset0:2 offset1:3
	s_add_i32 s40, s40, -8
	s_add_i32 s33, s33, 8
	s_add_i32 s41, s41, 8
	s_mov_b64 s[34:35], 0
	s_waitcnt lgkmcnt(0)
	s_barrier
	s_branch .LBB173_3
.LBB173_20:
	s_add_u32 s0, s42, s44
	s_addc_u32 s1, s43, s45
	v_lshlrev_b32_e32 v0, 3, v0
	s_waitcnt lgkmcnt(1)
	v_add_u32_e32 v1, v3, v9
	v_add_u32_e32 v2, v4, v10
	v_mov_b32_e32 v9, s1
	v_add_co_u32_e32 v10, vcc, s0, v0
	v_addc_co_u32_e32 v9, vcc, 0, v9, vcc
	v_add_u32_e32 v3, v13, v11
	v_add_u32_e32 v4, v14, v12
	global_store_dwordx2 v0, v[1:2], s[0:1]
	global_store_dwordx2 v0, v[3:4], s[0:1] offset:2048
	v_add_co_u32_e32 v0, vcc, 0x1000, v10
	s_waitcnt lgkmcnt(0)
	v_add_u32_e32 v5, v17, v5
	v_add_u32_e32 v6, v18, v6
	v_addc_co_u32_e32 v1, vcc, 0, v9, vcc
	v_add_u32_e32 v7, v15, v7
	v_add_u32_e32 v8, v16, v8
	global_store_dwordx2 v[0:1], v[5:6], off
	global_store_dwordx2 v[0:1], v[7:8], off offset:2048
	s_endpgm
	.section	.rodata,"a",@progbits
	.p2align	6, 0x0
	.amdhsa_kernel _Z17sort_pairs_kernelI22helper_blocked_blockedN15benchmark_utils11custom_typeIiiEELj256ELj4ELj10EEvPKT0_PS4_
		.amdhsa_group_segment_fixed_size 8192
		.amdhsa_private_segment_fixed_size 0
		.amdhsa_kernarg_size 272
		.amdhsa_user_sgpr_count 6
		.amdhsa_user_sgpr_private_segment_buffer 1
		.amdhsa_user_sgpr_dispatch_ptr 0
		.amdhsa_user_sgpr_queue_ptr 0
		.amdhsa_user_sgpr_kernarg_segment_ptr 1
		.amdhsa_user_sgpr_dispatch_id 0
		.amdhsa_user_sgpr_flat_scratch_init 0
		.amdhsa_user_sgpr_private_segment_size 0
		.amdhsa_uses_dynamic_stack 0
		.amdhsa_system_sgpr_private_segment_wavefront_offset 0
		.amdhsa_system_sgpr_workgroup_id_x 1
		.amdhsa_system_sgpr_workgroup_id_y 0
		.amdhsa_system_sgpr_workgroup_id_z 0
		.amdhsa_system_sgpr_workgroup_info 0
		.amdhsa_system_vgpr_workitem_id 2
		.amdhsa_next_free_vgpr 54
		.amdhsa_next_free_sgpr 61
		.amdhsa_reserve_vcc 1
		.amdhsa_reserve_flat_scratch 0
		.amdhsa_float_round_mode_32 0
		.amdhsa_float_round_mode_16_64 0
		.amdhsa_float_denorm_mode_32 3
		.amdhsa_float_denorm_mode_16_64 3
		.amdhsa_dx10_clamp 1
		.amdhsa_ieee_mode 1
		.amdhsa_fp16_overflow 0
		.amdhsa_exception_fp_ieee_invalid_op 0
		.amdhsa_exception_fp_denorm_src 0
		.amdhsa_exception_fp_ieee_div_zero 0
		.amdhsa_exception_fp_ieee_overflow 0
		.amdhsa_exception_fp_ieee_underflow 0
		.amdhsa_exception_fp_ieee_inexact 0
		.amdhsa_exception_int_div_zero 0
	.end_amdhsa_kernel
	.section	.text._Z17sort_pairs_kernelI22helper_blocked_blockedN15benchmark_utils11custom_typeIiiEELj256ELj4ELj10EEvPKT0_PS4_,"axG",@progbits,_Z17sort_pairs_kernelI22helper_blocked_blockedN15benchmark_utils11custom_typeIiiEELj256ELj4ELj10EEvPKT0_PS4_,comdat
.Lfunc_end173:
	.size	_Z17sort_pairs_kernelI22helper_blocked_blockedN15benchmark_utils11custom_typeIiiEELj256ELj4ELj10EEvPKT0_PS4_, .Lfunc_end173-_Z17sort_pairs_kernelI22helper_blocked_blockedN15benchmark_utils11custom_typeIiiEELj256ELj4ELj10EEvPKT0_PS4_
                                        ; -- End function
	.set _Z17sort_pairs_kernelI22helper_blocked_blockedN15benchmark_utils11custom_typeIiiEELj256ELj4ELj10EEvPKT0_PS4_.num_vgpr, 54
	.set _Z17sort_pairs_kernelI22helper_blocked_blockedN15benchmark_utils11custom_typeIiiEELj256ELj4ELj10EEvPKT0_PS4_.num_agpr, 0
	.set _Z17sort_pairs_kernelI22helper_blocked_blockedN15benchmark_utils11custom_typeIiiEELj256ELj4ELj10EEvPKT0_PS4_.numbered_sgpr, 51
	.set _Z17sort_pairs_kernelI22helper_blocked_blockedN15benchmark_utils11custom_typeIiiEELj256ELj4ELj10EEvPKT0_PS4_.num_named_barrier, 0
	.set _Z17sort_pairs_kernelI22helper_blocked_blockedN15benchmark_utils11custom_typeIiiEELj256ELj4ELj10EEvPKT0_PS4_.private_seg_size, 0
	.set _Z17sort_pairs_kernelI22helper_blocked_blockedN15benchmark_utils11custom_typeIiiEELj256ELj4ELj10EEvPKT0_PS4_.uses_vcc, 1
	.set _Z17sort_pairs_kernelI22helper_blocked_blockedN15benchmark_utils11custom_typeIiiEELj256ELj4ELj10EEvPKT0_PS4_.uses_flat_scratch, 0
	.set _Z17sort_pairs_kernelI22helper_blocked_blockedN15benchmark_utils11custom_typeIiiEELj256ELj4ELj10EEvPKT0_PS4_.has_dyn_sized_stack, 0
	.set _Z17sort_pairs_kernelI22helper_blocked_blockedN15benchmark_utils11custom_typeIiiEELj256ELj4ELj10EEvPKT0_PS4_.has_recursion, 0
	.set _Z17sort_pairs_kernelI22helper_blocked_blockedN15benchmark_utils11custom_typeIiiEELj256ELj4ELj10EEvPKT0_PS4_.has_indirect_call, 0
	.section	.AMDGPU.csdata,"",@progbits
; Kernel info:
; codeLenInByte = 4628
; TotalNumSgprs: 55
; NumVgprs: 54
; ScratchSize: 0
; MemoryBound: 0
; FloatMode: 240
; IeeeMode: 1
; LDSByteSize: 8192 bytes/workgroup (compile time only)
; SGPRBlocks: 8
; VGPRBlocks: 13
; NumSGPRsForWavesPerEU: 65
; NumVGPRsForWavesPerEU: 54
; Occupancy: 4
; WaveLimiterHint : 1
; COMPUTE_PGM_RSRC2:SCRATCH_EN: 0
; COMPUTE_PGM_RSRC2:USER_SGPR: 6
; COMPUTE_PGM_RSRC2:TRAP_HANDLER: 0
; COMPUTE_PGM_RSRC2:TGID_X_EN: 1
; COMPUTE_PGM_RSRC2:TGID_Y_EN: 0
; COMPUTE_PGM_RSRC2:TGID_Z_EN: 0
; COMPUTE_PGM_RSRC2:TIDIG_COMP_CNT: 2
	.section	.text._Z16sort_keys_kernelI22helper_blocked_blockedN15benchmark_utils11custom_typeIiiEELj256ELj8ELj10EEvPKT0_PS4_,"axG",@progbits,_Z16sort_keys_kernelI22helper_blocked_blockedN15benchmark_utils11custom_typeIiiEELj256ELj8ELj10EEvPKT0_PS4_,comdat
	.protected	_Z16sort_keys_kernelI22helper_blocked_blockedN15benchmark_utils11custom_typeIiiEELj256ELj8ELj10EEvPKT0_PS4_ ; -- Begin function _Z16sort_keys_kernelI22helper_blocked_blockedN15benchmark_utils11custom_typeIiiEELj256ELj8ELj10EEvPKT0_PS4_
	.globl	_Z16sort_keys_kernelI22helper_blocked_blockedN15benchmark_utils11custom_typeIiiEELj256ELj8ELj10EEvPKT0_PS4_
	.p2align	8
	.type	_Z16sort_keys_kernelI22helper_blocked_blockedN15benchmark_utils11custom_typeIiiEELj256ELj8ELj10EEvPKT0_PS4_,@function
_Z16sort_keys_kernelI22helper_blocked_blockedN15benchmark_utils11custom_typeIiiEELj256ELj8ELj10EEvPKT0_PS4_: ; @_Z16sort_keys_kernelI22helper_blocked_blockedN15benchmark_utils11custom_typeIiiEELj256ELj8ELj10EEvPKT0_PS4_
; %bb.0:
	s_load_dwordx4 s[36:39], s[4:5], 0x0
	s_load_dword s2, s[4:5], 0x1c
	s_lshl_b32 s34, s6, 11
	s_mov_b32 s35, 0
	s_lshl_b64 s[40:41], s[34:35], 3
	s_waitcnt lgkmcnt(0)
	s_add_u32 s0, s36, s40
	s_addc_u32 s1, s37, s41
	v_lshlrev_b32_e32 v25, 3, v0
	v_mov_b32_e32 v3, s1
	v_add_co_u32_e32 v4, vcc, s0, v25
	v_addc_co_u32_e32 v3, vcc, 0, v3, vcc
	s_movk_i32 s3, 0x1000
	v_add_co_u32_e32 v17, vcc, s3, v4
	v_addc_co_u32_e32 v18, vcc, 0, v3, vcc
	s_movk_i32 s3, 0x2000
	;; [unrolled: 3-line block ×3, first 2 shown]
	v_add_co_u32_e32 v21, vcc, s3, v4
	v_addc_co_u32_e32 v22, vcc, 0, v3, vcc
	global_load_dwordx2 v[3:4], v25, s[0:1]
	global_load_dwordx2 v[9:10], v25, s[0:1] offset:2048
	global_load_dwordx2 v[7:8], v[17:18], off offset:2048
	global_load_dwordx2 v[5:6], v[21:22], off
	global_load_dwordx2 v[13:14], v[19:20], off offset:-4096
	global_load_dwordx2 v[11:12], v[19:20], off
	global_load_dwordx2 v[23:24], v[19:20], off offset:2048
	global_load_dwordx2 v[15:16], v[21:22], off offset:2048
	s_lshr_b32 s0, s2, 16
	v_mbcnt_lo_u32_b32 v18, -1, 0
	s_and_b32 s1, s2, 0xffff
	v_mad_u32_u24 v1, v2, s0, v1
	v_mbcnt_hi_u32_b32 v18, -1, v18
	v_mad_u64_u32 v[1:2], s[0:1], v1, s1, v[0:1]
	v_and_b32_e32 v2, 15, v18
	v_and_b32_e32 v19, 0xc0, v0
	v_cmp_eq_u32_e64 s[0:1], 0, v2
	v_cmp_lt_u32_e64 s[2:3], 1, v2
	v_cmp_lt_u32_e64 s[4:5], 3, v2
	;; [unrolled: 1-line block ×3, first 2 shown]
	v_and_b32_e32 v2, 16, v18
	v_cmp_eq_u32_e64 s[8:9], 0, v2
	v_or_b32_e32 v2, 63, v19
	v_add_lshl_u32 v39, v18, v19, 6
	v_cmp_eq_u32_e64 s[12:13], v0, v2
	v_subrev_co_u32_e64 v2, s[18:19], 1, v18
	v_and_b32_e32 v19, 64, v18
	v_cmp_lt_i32_e32 vcc, v2, v19
	v_lshlrev_b32_e32 v20, 6, v0
	v_cndmask_b32_e32 v2, v2, v18, vcc
	v_and_b32_e32 v20, 0x3000, v20
	v_lshlrev_b32_e32 v41, 4, v0
	v_lshlrev_b32_e32 v42, 2, v2
	v_lshrrev_b32_e32 v2, 4, v0
	v_lshrrev_b32_e32 v1, 4, v1
	s_mov_b32 s34, s35
	s_mov_b32 s26, s35
	v_lshl_or_b32 v40, v18, 3, v20
	v_and_b32_e32 v43, 12, v2
	v_mad_i32_i24 v44, v0, -12, v41
	v_and_b32_e32 v2, 3, v18
	v_and_b32_e32 v46, 0xffffffc, v1
	v_mul_u32_u24_e32 v1, 60, v0
	s_mov_b32 s27, s35
	v_mov_b32_e32 v19, s34
	v_mov_b32_e32 v21, s26
	v_mov_b32_e32 v17, 0
	v_cmp_lt_u32_e64 s[10:11], 31, v18
	v_cmp_gt_u32_e64 s[14:15], 4, v0
	v_cmp_lt_u32_e64 s[16:17], 63, v0
	v_cmp_eq_u32_e64 s[20:21], 0, v0
	v_cmp_eq_u32_e64 s[22:23], 0, v2
	v_cmp_lt_u32_e64 s[24:25], 1, v2
	v_add_u32_e32 v45, -4, v43
	v_mov_b32_e32 v20, s35
	v_mov_b32_e32 v22, s27
	v_add_u32_e32 v47, v44, v1
	s_branch .LBB174_2
.LBB174_1:                              ;   in Loop: Header=BB174_2 Depth=1
	s_barrier
	ds_write_b64 v48, v[37:38]
	ds_write_b64 v51, v[35:36]
	;; [unrolled: 1-line block ×8, first 2 shown]
	s_waitcnt lgkmcnt(0)
	s_barrier
	ds_read2_b64 v[3:6], v47 offset1:1
	ds_read2_b64 v[13:16], v47 offset0:2 offset1:3
	ds_read2_b64 v[23:26], v47 offset0:4 offset1:5
	;; [unrolled: 1-line block ×3, first 2 shown]
	s_add_i32 s35, s35, 1
	s_waitcnt lgkmcnt(3)
	v_xor_b32_e32 v3, 0x80000000, v3
	v_xor_b32_e32 v4, 0x80000000, v4
	v_xor_b32_e32 v9, 0x80000000, v5
	v_xor_b32_e32 v10, 0x80000000, v6
	s_waitcnt lgkmcnt(2)
	v_xor_b32_e32 v13, 0x80000000, v13
	v_xor_b32_e32 v14, 0x80000000, v14
	v_xor_b32_e32 v7, 0x80000000, v15
	v_xor_b32_e32 v8, 0x80000000, v16
	;; [unrolled: 5-line block ×3, first 2 shown]
	s_waitcnt lgkmcnt(0)
	v_xor_b32_e32 v5, 0x80000000, v27
	v_xor_b32_e32 v6, 0x80000000, v28
	;; [unrolled: 1-line block ×3, first 2 shown]
	s_cmp_eq_u32 s35, 10
	v_xor_b32_e32 v16, 0x80000000, v30
	s_cbranch_scc1 .LBB174_28
.LBB174_2:                              ; =>This Loop Header: Depth=1
                                        ;     Child Loop BB174_4 Depth 2
	s_waitcnt vmcnt(7)
	v_xor_b32_e32 v2, 0x80000000, v4
	v_xor_b32_e32 v1, 0x80000000, v3
	s_waitcnt vmcnt(6)
	v_xor_b32_e32 v4, 0x80000000, v10
	v_xor_b32_e32 v3, 0x80000000, v9
	;; [unrolled: 3-line block ×3, first 2 shown]
	v_xor_b32_e32 v8, 0x80000000, v8
	v_xor_b32_e32 v7, 0x80000000, v7
	s_waitcnt vmcnt(2)
	v_xor_b32_e32 v12, 0x80000000, v12
	v_xor_b32_e32 v11, 0x80000000, v11
	s_waitcnt vmcnt(1)
	v_xor_b32_e32 v14, 0x80000000, v24
	v_xor_b32_e32 v13, 0x80000000, v23
	;; [unrolled: 1-line block ×4, first 2 shown]
	s_waitcnt vmcnt(0)
	v_xor_b32_e32 v16, 0x80000000, v16
	v_xor_b32_e32 v15, 0x80000000, v15
	ds_write2_b64 v39, v[1:2], v[3:4] offset1:1
	ds_write2_b64 v39, v[9:10], v[7:8] offset0:2 offset1:3
	ds_write2_b64 v39, v[11:12], v[13:14] offset0:4 offset1:5
	ds_write2_b64 v39, v[5:6], v[15:16] offset0:6 offset1:7
	; wave barrier
	ds_read2st64_b64 v[1:4], v40 offset1:1
	ds_read2st64_b64 v[5:8], v40 offset0:2 offset1:3
	ds_read2st64_b64 v[9:12], v40 offset0:4 offset1:5
	;; [unrolled: 1-line block ×3, first 2 shown]
	s_mov_b32 s33, 8
	s_mov_b32 s34, 32
	s_mov_b32 s36, 0
	s_waitcnt lgkmcnt(0)
	s_barrier
	; wave barrier
	s_barrier
	s_branch .LBB174_4
.LBB174_3:                              ;   in Loop: Header=BB174_4 Depth=2
	s_andn2_b64 vcc, exec, s[26:27]
	s_cbranch_vccz .LBB174_1
.LBB174_4:                              ;   Parent Loop BB174_2 Depth=1
                                        ; =>  This Inner Loop Header: Depth=2
	s_min_i32 s28, s33, 32
	s_cmp_lt_u32 s36, 32
	s_cselect_b64 s[26:27], -1, 0
	s_cmp_gt_u32 s36, 31
	s_cselect_b64 vcc, -1, 0
	s_sub_i32 s28, s28, 32
	s_add_i32 s29, s28, s34
	s_lshl_b32 s29, -1, s29
	s_not_b32 s29, s29
	s_cmp_lg_u32 s28, s36
	s_cselect_b32 s42, s29, -1
	s_max_i32 s37, s34, 0
	s_max_i32 s28, s36, 32
	s_sub_i32 s43, s28, 32
	s_sub_i32 s28, s28, s37
	;; [unrolled: 1-line block ×3, first 2 shown]
	s_min_i32 s28, s28, 32
	s_sub_i32 s28, s28, s43
	s_lshl_b32 s29, -1, s28
	v_mov_b32_e32 v38, v2
	s_not_b32 s29, s29
	v_mov_b32_e32 v37, v1
	s_cmp_lg_u32 s28, 32
	s_cselect_b32 s44, s29, -1
	v_lshrrev_b32_e32 v2, s43, v37
	v_lshrrev_b32_e32 v1, s36, v38
	v_and_b32_e32 v2, s44, v2
	v_and_b32_e32 v1, s42, v1
	v_lshlrev_b32_e32 v2, s37, v2
	v_cndmask_b32_e64 v1, 0, v1, s[26:27]
	v_cndmask_b32_e32 v2, 0, v2, vcc
	v_or_b32_e32 v1, v1, v2
	v_mov_b32_e32 v36, v4
	v_and_b32_e32 v2, 1, v1
	v_mov_b32_e32 v35, v3
	v_mov_b32_e32 v34, v6
	v_add_co_u32_e64 v4, s[28:29], -1, v2
	v_mov_b32_e32 v33, v5
	v_addc_co_u32_e64 v5, s[28:29], 0, -1, s[28:29]
	v_cmp_ne_u32_e64 s[28:29], 0, v2
	v_lshlrev_b32_e32 v18, 30, v1
	v_xor_b32_e32 v2, s29, v5
	v_xor_b32_e32 v4, s28, v4
	v_cmp_gt_i64_e64 s[28:29], 0, v[17:18]
	v_not_b32_e32 v5, v18
	v_ashrrev_i32_e32 v5, 31, v5
	v_and_b32_e32 v4, exec_lo, v4
	v_xor_b32_e32 v6, s29, v5
	v_xor_b32_e32 v5, s28, v5
	v_lshlrev_b32_e32 v18, 29, v1
	v_and_b32_e32 v4, v4, v5
	v_cmp_gt_i64_e64 s[28:29], 0, v[17:18]
	v_not_b32_e32 v5, v18
	v_and_b32_e32 v2, exec_hi, v2
	v_ashrrev_i32_e32 v5, 31, v5
	v_and_b32_e32 v2, v2, v6
	v_xor_b32_e32 v6, s29, v5
	v_xor_b32_e32 v5, s28, v5
	v_lshlrev_b32_e32 v18, 28, v1
	v_and_b32_e32 v4, v4, v5
	v_cmp_gt_i64_e64 s[28:29], 0, v[17:18]
	v_not_b32_e32 v5, v18
	v_ashrrev_i32_e32 v5, 31, v5
	v_and_b32_e32 v2, v2, v6
	v_xor_b32_e32 v6, s29, v5
	v_xor_b32_e32 v5, s28, v5
	v_lshlrev_b32_e32 v18, 27, v1
	v_and_b32_e32 v4, v4, v5
	v_cmp_gt_i64_e64 s[28:29], 0, v[17:18]
	v_not_b32_e32 v5, v18
	;; [unrolled: 8-line block ×4, first 2 shown]
	v_ashrrev_i32_e32 v5, 31, v5
	v_lshlrev_b32_e32 v18, 24, v1
	v_lshlrev_b32_e32 v3, 4, v1
	v_and_b32_e32 v2, v2, v6
	v_xor_b32_e32 v6, s29, v5
	v_xor_b32_e32 v5, s28, v5
	v_cmp_gt_i64_e64 s[28:29], 0, v[17:18]
	v_not_b32_e32 v1, v18
	v_ashrrev_i32_e32 v1, 31, v1
	v_and_b32_e32 v4, v4, v5
	v_xor_b32_e32 v5, s29, v1
	v_xor_b32_e32 v1, s28, v1
	v_and_b32_e32 v2, v2, v6
	v_and_b32_e32 v1, v4, v1
	;; [unrolled: 1-line block ×3, first 2 shown]
	v_mbcnt_lo_u32_b32 v4, v1, 0
	v_mbcnt_hi_u32_b32 v5, v2, v4
	v_cmp_ne_u64_e64 s[28:29], 0, v[1:2]
	v_mov_b32_e32 v32, v8
	v_mov_b32_e32 v30, v10
	v_mov_b32_e32 v28, v12
	v_mov_b32_e32 v26, v14
	v_mov_b32_e32 v24, v16
	v_cmp_eq_u32_e64 s[30:31], 0, v5
	v_mov_b32_e32 v31, v7
	v_mov_b32_e32 v29, v9
	;; [unrolled: 1-line block ×5, first 2 shown]
	s_and_b64 s[30:31], s[30:31], s[28:29]
	v_add_u32_e32 v6, v46, v3
	ds_write2_b64 v41, v[19:20], v[21:22] offset0:2 offset1:3
	s_waitcnt lgkmcnt(0)
	s_barrier
	; wave barrier
	s_and_saveexec_b64 s[28:29], s[30:31]
; %bb.5:                                ;   in Loop: Header=BB174_4 Depth=2
	v_bcnt_u32_b32 v1, v1, 0
	v_bcnt_u32_b32 v1, v2, v1
	ds_write_b32 v6, v1 offset:16
; %bb.6:                                ;   in Loop: Header=BB174_4 Depth=2
	s_or_b64 exec, exec, s[28:29]
	v_lshrrev_b32_e32 v2, s43, v35
	v_lshrrev_b32_e32 v1, s36, v36
	v_and_b32_e32 v2, s44, v2
	v_and_b32_e32 v1, s42, v1
	v_lshlrev_b32_e32 v2, s37, v2
	v_cndmask_b32_e64 v1, 0, v1, s[26:27]
	v_cndmask_b32_e32 v2, 0, v2, vcc
	v_or_b32_e32 v1, v1, v2
	v_lshlrev_b32_e32 v2, 4, v1
	v_add_u32_e32 v8, v46, v2
	v_and_b32_e32 v2, 1, v1
	v_add_co_u32_e64 v3, s[28:29], -1, v2
	v_addc_co_u32_e64 v4, s[28:29], 0, -1, s[28:29]
	v_cmp_ne_u32_e64 s[28:29], 0, v2
	v_lshlrev_b32_e32 v18, 30, v1
	v_xor_b32_e32 v2, s29, v4
	v_xor_b32_e32 v3, s28, v3
	v_cmp_gt_i64_e64 s[28:29], 0, v[17:18]
	v_not_b32_e32 v4, v18
	v_ashrrev_i32_e32 v4, 31, v4
	v_and_b32_e32 v3, exec_lo, v3
	v_xor_b32_e32 v9, s29, v4
	v_xor_b32_e32 v4, s28, v4
	v_lshlrev_b32_e32 v18, 29, v1
	v_and_b32_e32 v3, v3, v4
	v_cmp_gt_i64_e64 s[28:29], 0, v[17:18]
	v_not_b32_e32 v4, v18
	v_and_b32_e32 v2, exec_hi, v2
	v_ashrrev_i32_e32 v4, 31, v4
	v_and_b32_e32 v2, v2, v9
	v_xor_b32_e32 v9, s29, v4
	v_xor_b32_e32 v4, s28, v4
	v_lshlrev_b32_e32 v18, 28, v1
	v_and_b32_e32 v3, v3, v4
	v_cmp_gt_i64_e64 s[28:29], 0, v[17:18]
	v_not_b32_e32 v4, v18
	v_ashrrev_i32_e32 v4, 31, v4
	v_and_b32_e32 v2, v2, v9
	v_xor_b32_e32 v9, s29, v4
	v_xor_b32_e32 v4, s28, v4
	v_lshlrev_b32_e32 v18, 27, v1
	v_and_b32_e32 v3, v3, v4
	v_cmp_gt_i64_e64 s[28:29], 0, v[17:18]
	v_not_b32_e32 v4, v18
	;; [unrolled: 8-line block ×4, first 2 shown]
	v_ashrrev_i32_e32 v4, 31, v4
	v_lshlrev_b32_e32 v18, 24, v1
	v_and_b32_e32 v2, v2, v9
	v_xor_b32_e32 v9, s29, v4
	v_xor_b32_e32 v4, s28, v4
	v_cmp_gt_i64_e64 s[28:29], 0, v[17:18]
	v_not_b32_e32 v1, v18
	v_ashrrev_i32_e32 v1, 31, v1
	v_and_b32_e32 v3, v3, v4
	v_xor_b32_e32 v4, s29, v1
	v_xor_b32_e32 v1, s28, v1
	; wave barrier
	ds_read_b32 v7, v8 offset:16
	v_and_b32_e32 v2, v2, v9
	v_and_b32_e32 v1, v3, v1
	v_and_b32_e32 v2, v2, v4
	v_mbcnt_lo_u32_b32 v3, v1, 0
	v_mbcnt_hi_u32_b32 v9, v2, v3
	v_cmp_ne_u64_e64 s[28:29], 0, v[1:2]
	v_cmp_eq_u32_e64 s[30:31], 0, v9
	s_and_b64 s[30:31], s[30:31], s[28:29]
	; wave barrier
	s_and_saveexec_b64 s[28:29], s[30:31]
	s_cbranch_execz .LBB174_8
; %bb.7:                                ;   in Loop: Header=BB174_4 Depth=2
	v_bcnt_u32_b32 v1, v1, 0
	v_bcnt_u32_b32 v1, v2, v1
	s_waitcnt lgkmcnt(0)
	v_add_u32_e32 v1, v7, v1
	ds_write_b32 v8, v1 offset:16
.LBB174_8:                              ;   in Loop: Header=BB174_4 Depth=2
	s_or_b64 exec, exec, s[28:29]
	v_lshrrev_b32_e32 v2, s43, v33
	v_lshrrev_b32_e32 v1, s36, v34
	v_and_b32_e32 v2, s44, v2
	v_and_b32_e32 v1, s42, v1
	v_lshlrev_b32_e32 v2, s37, v2
	v_cndmask_b32_e64 v1, 0, v1, s[26:27]
	v_cndmask_b32_e32 v2, 0, v2, vcc
	v_or_b32_e32 v1, v1, v2
	v_lshlrev_b32_e32 v2, 4, v1
	v_add_u32_e32 v11, v46, v2
	v_and_b32_e32 v2, 1, v1
	v_add_co_u32_e64 v3, s[28:29], -1, v2
	v_addc_co_u32_e64 v4, s[28:29], 0, -1, s[28:29]
	v_cmp_ne_u32_e64 s[28:29], 0, v2
	v_lshlrev_b32_e32 v18, 30, v1
	v_xor_b32_e32 v2, s29, v4
	v_xor_b32_e32 v3, s28, v3
	v_cmp_gt_i64_e64 s[28:29], 0, v[17:18]
	v_not_b32_e32 v4, v18
	v_ashrrev_i32_e32 v4, 31, v4
	v_and_b32_e32 v3, exec_lo, v3
	v_xor_b32_e32 v12, s29, v4
	v_xor_b32_e32 v4, s28, v4
	v_lshlrev_b32_e32 v18, 29, v1
	v_and_b32_e32 v3, v3, v4
	v_cmp_gt_i64_e64 s[28:29], 0, v[17:18]
	v_not_b32_e32 v4, v18
	v_and_b32_e32 v2, exec_hi, v2
	v_ashrrev_i32_e32 v4, 31, v4
	v_and_b32_e32 v2, v2, v12
	v_xor_b32_e32 v12, s29, v4
	v_xor_b32_e32 v4, s28, v4
	v_lshlrev_b32_e32 v18, 28, v1
	v_and_b32_e32 v3, v3, v4
	v_cmp_gt_i64_e64 s[28:29], 0, v[17:18]
	v_not_b32_e32 v4, v18
	v_ashrrev_i32_e32 v4, 31, v4
	v_and_b32_e32 v2, v2, v12
	v_xor_b32_e32 v12, s29, v4
	v_xor_b32_e32 v4, s28, v4
	v_lshlrev_b32_e32 v18, 27, v1
	v_and_b32_e32 v3, v3, v4
	v_cmp_gt_i64_e64 s[28:29], 0, v[17:18]
	v_not_b32_e32 v4, v18
	;; [unrolled: 8-line block ×4, first 2 shown]
	v_ashrrev_i32_e32 v4, 31, v4
	v_lshlrev_b32_e32 v18, 24, v1
	v_and_b32_e32 v2, v2, v12
	v_xor_b32_e32 v12, s29, v4
	v_xor_b32_e32 v4, s28, v4
	v_cmp_gt_i64_e64 s[28:29], 0, v[17:18]
	v_not_b32_e32 v1, v18
	v_ashrrev_i32_e32 v1, 31, v1
	v_and_b32_e32 v3, v3, v4
	v_xor_b32_e32 v4, s29, v1
	v_xor_b32_e32 v1, s28, v1
	; wave barrier
	ds_read_b32 v10, v11 offset:16
	v_and_b32_e32 v2, v2, v12
	v_and_b32_e32 v1, v3, v1
	;; [unrolled: 1-line block ×3, first 2 shown]
	v_mbcnt_lo_u32_b32 v3, v1, 0
	v_mbcnt_hi_u32_b32 v12, v2, v3
	v_cmp_ne_u64_e64 s[28:29], 0, v[1:2]
	v_cmp_eq_u32_e64 s[30:31], 0, v12
	s_and_b64 s[30:31], s[30:31], s[28:29]
	; wave barrier
	s_and_saveexec_b64 s[28:29], s[30:31]
	s_cbranch_execz .LBB174_10
; %bb.9:                                ;   in Loop: Header=BB174_4 Depth=2
	v_bcnt_u32_b32 v1, v1, 0
	v_bcnt_u32_b32 v1, v2, v1
	s_waitcnt lgkmcnt(0)
	v_add_u32_e32 v1, v10, v1
	ds_write_b32 v11, v1 offset:16
.LBB174_10:                             ;   in Loop: Header=BB174_4 Depth=2
	s_or_b64 exec, exec, s[28:29]
	v_lshrrev_b32_e32 v2, s43, v31
	v_lshrrev_b32_e32 v1, s36, v32
	v_and_b32_e32 v2, s44, v2
	v_and_b32_e32 v1, s42, v1
	v_lshlrev_b32_e32 v2, s37, v2
	v_cndmask_b32_e64 v1, 0, v1, s[26:27]
	v_cndmask_b32_e32 v2, 0, v2, vcc
	v_or_b32_e32 v1, v1, v2
	v_lshlrev_b32_e32 v2, 4, v1
	v_add_u32_e32 v14, v46, v2
	v_and_b32_e32 v2, 1, v1
	v_add_co_u32_e64 v3, s[28:29], -1, v2
	v_addc_co_u32_e64 v4, s[28:29], 0, -1, s[28:29]
	v_cmp_ne_u32_e64 s[28:29], 0, v2
	v_lshlrev_b32_e32 v18, 30, v1
	v_xor_b32_e32 v2, s29, v4
	v_xor_b32_e32 v3, s28, v3
	v_cmp_gt_i64_e64 s[28:29], 0, v[17:18]
	v_not_b32_e32 v4, v18
	v_ashrrev_i32_e32 v4, 31, v4
	v_and_b32_e32 v3, exec_lo, v3
	v_xor_b32_e32 v15, s29, v4
	v_xor_b32_e32 v4, s28, v4
	v_lshlrev_b32_e32 v18, 29, v1
	v_and_b32_e32 v3, v3, v4
	v_cmp_gt_i64_e64 s[28:29], 0, v[17:18]
	v_not_b32_e32 v4, v18
	v_and_b32_e32 v2, exec_hi, v2
	v_ashrrev_i32_e32 v4, 31, v4
	v_and_b32_e32 v2, v2, v15
	v_xor_b32_e32 v15, s29, v4
	v_xor_b32_e32 v4, s28, v4
	v_lshlrev_b32_e32 v18, 28, v1
	v_and_b32_e32 v3, v3, v4
	v_cmp_gt_i64_e64 s[28:29], 0, v[17:18]
	v_not_b32_e32 v4, v18
	v_ashrrev_i32_e32 v4, 31, v4
	v_and_b32_e32 v2, v2, v15
	v_xor_b32_e32 v15, s29, v4
	v_xor_b32_e32 v4, s28, v4
	v_lshlrev_b32_e32 v18, 27, v1
	v_and_b32_e32 v3, v3, v4
	v_cmp_gt_i64_e64 s[28:29], 0, v[17:18]
	v_not_b32_e32 v4, v18
	;; [unrolled: 8-line block ×4, first 2 shown]
	v_ashrrev_i32_e32 v4, 31, v4
	v_lshlrev_b32_e32 v18, 24, v1
	v_and_b32_e32 v2, v2, v15
	v_xor_b32_e32 v15, s29, v4
	v_xor_b32_e32 v4, s28, v4
	v_cmp_gt_i64_e64 s[28:29], 0, v[17:18]
	v_not_b32_e32 v1, v18
	v_ashrrev_i32_e32 v1, 31, v1
	v_and_b32_e32 v3, v3, v4
	v_xor_b32_e32 v4, s29, v1
	v_xor_b32_e32 v1, s28, v1
	; wave barrier
	ds_read_b32 v13, v14 offset:16
	v_and_b32_e32 v2, v2, v15
	v_and_b32_e32 v1, v3, v1
	;; [unrolled: 1-line block ×3, first 2 shown]
	v_mbcnt_lo_u32_b32 v3, v1, 0
	v_mbcnt_hi_u32_b32 v15, v2, v3
	v_cmp_ne_u64_e64 s[28:29], 0, v[1:2]
	v_cmp_eq_u32_e64 s[30:31], 0, v15
	s_and_b64 s[30:31], s[30:31], s[28:29]
	; wave barrier
	s_and_saveexec_b64 s[28:29], s[30:31]
	s_cbranch_execz .LBB174_12
; %bb.11:                               ;   in Loop: Header=BB174_4 Depth=2
	v_bcnt_u32_b32 v1, v1, 0
	v_bcnt_u32_b32 v1, v2, v1
	s_waitcnt lgkmcnt(0)
	v_add_u32_e32 v1, v13, v1
	ds_write_b32 v14, v1 offset:16
.LBB174_12:                             ;   in Loop: Header=BB174_4 Depth=2
	s_or_b64 exec, exec, s[28:29]
	v_lshrrev_b32_e32 v2, s43, v29
	v_lshrrev_b32_e32 v1, s36, v30
	v_and_b32_e32 v2, s44, v2
	v_and_b32_e32 v1, s42, v1
	v_lshlrev_b32_e32 v2, s37, v2
	v_cndmask_b32_e64 v1, 0, v1, s[26:27]
	v_cndmask_b32_e32 v2, 0, v2, vcc
	v_or_b32_e32 v1, v1, v2
	v_lshlrev_b32_e32 v2, 4, v1
	v_add_u32_e32 v48, v46, v2
	v_and_b32_e32 v2, 1, v1
	v_add_co_u32_e64 v3, s[28:29], -1, v2
	v_addc_co_u32_e64 v4, s[28:29], 0, -1, s[28:29]
	v_cmp_ne_u32_e64 s[28:29], 0, v2
	v_lshlrev_b32_e32 v18, 30, v1
	v_xor_b32_e32 v2, s29, v4
	v_xor_b32_e32 v3, s28, v3
	v_cmp_gt_i64_e64 s[28:29], 0, v[17:18]
	v_not_b32_e32 v4, v18
	v_ashrrev_i32_e32 v4, 31, v4
	v_and_b32_e32 v2, exec_hi, v2
	v_xor_b32_e32 v18, s29, v4
	v_and_b32_e32 v3, exec_lo, v3
	v_xor_b32_e32 v4, s28, v4
	v_and_b32_e32 v2, v2, v18
	v_lshlrev_b32_e32 v18, 29, v1
	v_and_b32_e32 v3, v3, v4
	v_cmp_gt_i64_e64 s[28:29], 0, v[17:18]
	v_not_b32_e32 v4, v18
	v_ashrrev_i32_e32 v4, 31, v4
	v_xor_b32_e32 v18, s29, v4
	v_xor_b32_e32 v4, s28, v4
	v_and_b32_e32 v2, v2, v18
	v_lshlrev_b32_e32 v18, 28, v1
	v_and_b32_e32 v3, v3, v4
	v_cmp_gt_i64_e64 s[28:29], 0, v[17:18]
	v_not_b32_e32 v4, v18
	v_ashrrev_i32_e32 v4, 31, v4
	v_xor_b32_e32 v18, s29, v4
	;; [unrolled: 8-line block ×5, first 2 shown]
	v_and_b32_e32 v2, v2, v18
	v_lshlrev_b32_e32 v18, 24, v1
	v_xor_b32_e32 v4, s28, v4
	v_cmp_gt_i64_e64 s[28:29], 0, v[17:18]
	v_not_b32_e32 v1, v18
	v_ashrrev_i32_e32 v1, 31, v1
	v_and_b32_e32 v3, v3, v4
	v_xor_b32_e32 v4, s29, v1
	v_xor_b32_e32 v1, s28, v1
	; wave barrier
	ds_read_b32 v16, v48 offset:16
	v_and_b32_e32 v1, v3, v1
	v_and_b32_e32 v2, v2, v4
	v_mbcnt_lo_u32_b32 v3, v1, 0
	v_mbcnt_hi_u32_b32 v49, v2, v3
	v_cmp_ne_u64_e64 s[28:29], 0, v[1:2]
	v_cmp_eq_u32_e64 s[30:31], 0, v49
	s_and_b64 s[30:31], s[30:31], s[28:29]
	; wave barrier
	s_and_saveexec_b64 s[28:29], s[30:31]
	s_cbranch_execz .LBB174_14
; %bb.13:                               ;   in Loop: Header=BB174_4 Depth=2
	v_bcnt_u32_b32 v1, v1, 0
	v_bcnt_u32_b32 v1, v2, v1
	s_waitcnt lgkmcnt(0)
	v_add_u32_e32 v1, v16, v1
	ds_write_b32 v48, v1 offset:16
.LBB174_14:                             ;   in Loop: Header=BB174_4 Depth=2
	s_or_b64 exec, exec, s[28:29]
	v_lshrrev_b32_e32 v2, s43, v27
	v_lshrrev_b32_e32 v1, s36, v28
	v_and_b32_e32 v2, s44, v2
	v_and_b32_e32 v1, s42, v1
	v_lshlrev_b32_e32 v2, s37, v2
	v_cndmask_b32_e64 v1, 0, v1, s[26:27]
	v_cndmask_b32_e32 v2, 0, v2, vcc
	v_or_b32_e32 v1, v1, v2
	v_lshlrev_b32_e32 v2, 4, v1
	v_add_u32_e32 v51, v46, v2
	v_and_b32_e32 v2, 1, v1
	v_add_co_u32_e64 v3, s[28:29], -1, v2
	v_addc_co_u32_e64 v4, s[28:29], 0, -1, s[28:29]
	v_cmp_ne_u32_e64 s[28:29], 0, v2
	v_lshlrev_b32_e32 v18, 30, v1
	v_xor_b32_e32 v2, s29, v4
	v_xor_b32_e32 v3, s28, v3
	v_cmp_gt_i64_e64 s[28:29], 0, v[17:18]
	v_not_b32_e32 v4, v18
	v_ashrrev_i32_e32 v4, 31, v4
	v_and_b32_e32 v2, exec_hi, v2
	v_xor_b32_e32 v18, s29, v4
	v_and_b32_e32 v3, exec_lo, v3
	v_xor_b32_e32 v4, s28, v4
	v_and_b32_e32 v2, v2, v18
	v_lshlrev_b32_e32 v18, 29, v1
	v_and_b32_e32 v3, v3, v4
	v_cmp_gt_i64_e64 s[28:29], 0, v[17:18]
	v_not_b32_e32 v4, v18
	v_ashrrev_i32_e32 v4, 31, v4
	v_xor_b32_e32 v18, s29, v4
	v_xor_b32_e32 v4, s28, v4
	v_and_b32_e32 v2, v2, v18
	v_lshlrev_b32_e32 v18, 28, v1
	v_and_b32_e32 v3, v3, v4
	v_cmp_gt_i64_e64 s[28:29], 0, v[17:18]
	v_not_b32_e32 v4, v18
	v_ashrrev_i32_e32 v4, 31, v4
	v_xor_b32_e32 v18, s29, v4
	;; [unrolled: 8-line block ×5, first 2 shown]
	v_and_b32_e32 v2, v2, v18
	v_lshlrev_b32_e32 v18, 24, v1
	v_xor_b32_e32 v4, s28, v4
	v_cmp_gt_i64_e64 s[28:29], 0, v[17:18]
	v_not_b32_e32 v1, v18
	v_ashrrev_i32_e32 v1, 31, v1
	v_and_b32_e32 v3, v3, v4
	v_xor_b32_e32 v4, s29, v1
	v_xor_b32_e32 v1, s28, v1
	; wave barrier
	ds_read_b32 v50, v51 offset:16
	v_and_b32_e32 v1, v3, v1
	v_and_b32_e32 v2, v2, v4
	v_mbcnt_lo_u32_b32 v3, v1, 0
	v_mbcnt_hi_u32_b32 v52, v2, v3
	v_cmp_ne_u64_e64 s[28:29], 0, v[1:2]
	v_cmp_eq_u32_e64 s[30:31], 0, v52
	s_and_b64 s[30:31], s[30:31], s[28:29]
	; wave barrier
	s_and_saveexec_b64 s[28:29], s[30:31]
	s_cbranch_execz .LBB174_16
; %bb.15:                               ;   in Loop: Header=BB174_4 Depth=2
	v_bcnt_u32_b32 v1, v1, 0
	v_bcnt_u32_b32 v1, v2, v1
	s_waitcnt lgkmcnt(0)
	v_add_u32_e32 v1, v50, v1
	ds_write_b32 v51, v1 offset:16
.LBB174_16:                             ;   in Loop: Header=BB174_4 Depth=2
	s_or_b64 exec, exec, s[28:29]
	v_lshrrev_b32_e32 v2, s43, v25
	v_lshrrev_b32_e32 v1, s36, v26
	v_and_b32_e32 v2, s44, v2
	v_and_b32_e32 v1, s42, v1
	v_lshlrev_b32_e32 v2, s37, v2
	v_cndmask_b32_e64 v1, 0, v1, s[26:27]
	v_cndmask_b32_e32 v2, 0, v2, vcc
	v_or_b32_e32 v1, v1, v2
	v_lshlrev_b32_e32 v2, 4, v1
	v_add_u32_e32 v54, v46, v2
	v_and_b32_e32 v2, 1, v1
	v_add_co_u32_e64 v3, s[28:29], -1, v2
	v_addc_co_u32_e64 v4, s[28:29], 0, -1, s[28:29]
	v_cmp_ne_u32_e64 s[28:29], 0, v2
	v_lshlrev_b32_e32 v18, 30, v1
	v_xor_b32_e32 v2, s29, v4
	v_xor_b32_e32 v3, s28, v3
	v_cmp_gt_i64_e64 s[28:29], 0, v[17:18]
	v_not_b32_e32 v4, v18
	v_ashrrev_i32_e32 v4, 31, v4
	v_and_b32_e32 v2, exec_hi, v2
	v_xor_b32_e32 v18, s29, v4
	v_and_b32_e32 v3, exec_lo, v3
	v_xor_b32_e32 v4, s28, v4
	v_and_b32_e32 v2, v2, v18
	v_lshlrev_b32_e32 v18, 29, v1
	v_and_b32_e32 v3, v3, v4
	v_cmp_gt_i64_e64 s[28:29], 0, v[17:18]
	v_not_b32_e32 v4, v18
	v_ashrrev_i32_e32 v4, 31, v4
	v_xor_b32_e32 v18, s29, v4
	v_xor_b32_e32 v4, s28, v4
	v_and_b32_e32 v2, v2, v18
	v_lshlrev_b32_e32 v18, 28, v1
	v_and_b32_e32 v3, v3, v4
	v_cmp_gt_i64_e64 s[28:29], 0, v[17:18]
	v_not_b32_e32 v4, v18
	v_ashrrev_i32_e32 v4, 31, v4
	v_xor_b32_e32 v18, s29, v4
	;; [unrolled: 8-line block ×5, first 2 shown]
	v_and_b32_e32 v2, v2, v18
	v_lshlrev_b32_e32 v18, 24, v1
	v_xor_b32_e32 v4, s28, v4
	v_cmp_gt_i64_e64 s[28:29], 0, v[17:18]
	v_not_b32_e32 v1, v18
	v_ashrrev_i32_e32 v1, 31, v1
	v_and_b32_e32 v3, v3, v4
	v_xor_b32_e32 v4, s29, v1
	v_xor_b32_e32 v1, s28, v1
	; wave barrier
	ds_read_b32 v53, v54 offset:16
	v_and_b32_e32 v1, v3, v1
	v_and_b32_e32 v2, v2, v4
	v_mbcnt_lo_u32_b32 v3, v1, 0
	v_mbcnt_hi_u32_b32 v55, v2, v3
	v_cmp_ne_u64_e64 s[28:29], 0, v[1:2]
	v_cmp_eq_u32_e64 s[30:31], 0, v55
	s_and_b64 s[30:31], s[30:31], s[28:29]
	; wave barrier
	s_and_saveexec_b64 s[28:29], s[30:31]
	s_cbranch_execz .LBB174_18
; %bb.17:                               ;   in Loop: Header=BB174_4 Depth=2
	v_bcnt_u32_b32 v1, v1, 0
	v_bcnt_u32_b32 v1, v2, v1
	s_waitcnt lgkmcnt(0)
	v_add_u32_e32 v1, v53, v1
	ds_write_b32 v54, v1 offset:16
.LBB174_18:                             ;   in Loop: Header=BB174_4 Depth=2
	s_or_b64 exec, exec, s[28:29]
	v_lshrrev_b32_e32 v2, s43, v23
	v_lshrrev_b32_e32 v1, s36, v24
	v_and_b32_e32 v2, s44, v2
	v_and_b32_e32 v1, s42, v1
	v_lshlrev_b32_e32 v2, s37, v2
	v_cndmask_b32_e64 v1, 0, v1, s[26:27]
	v_cndmask_b32_e32 v2, 0, v2, vcc
	v_or_b32_e32 v1, v1, v2
	v_lshlrev_b32_e32 v2, 4, v1
	v_add_u32_e32 v57, v46, v2
	v_and_b32_e32 v2, 1, v1
	v_add_co_u32_e32 v3, vcc, -1, v2
	v_addc_co_u32_e64 v4, s[26:27], 0, -1, vcc
	v_cmp_ne_u32_e32 vcc, 0, v2
	v_lshlrev_b32_e32 v18, 30, v1
	v_xor_b32_e32 v2, vcc_hi, v4
	v_xor_b32_e32 v3, vcc_lo, v3
	v_cmp_gt_i64_e32 vcc, 0, v[17:18]
	v_not_b32_e32 v4, v18
	v_ashrrev_i32_e32 v4, 31, v4
	v_and_b32_e32 v2, exec_hi, v2
	v_xor_b32_e32 v18, vcc_hi, v4
	v_and_b32_e32 v3, exec_lo, v3
	v_xor_b32_e32 v4, vcc_lo, v4
	v_and_b32_e32 v2, v2, v18
	v_lshlrev_b32_e32 v18, 29, v1
	v_and_b32_e32 v3, v3, v4
	v_cmp_gt_i64_e32 vcc, 0, v[17:18]
	v_not_b32_e32 v4, v18
	v_ashrrev_i32_e32 v4, 31, v4
	v_xor_b32_e32 v18, vcc_hi, v4
	v_xor_b32_e32 v4, vcc_lo, v4
	v_and_b32_e32 v2, v2, v18
	v_lshlrev_b32_e32 v18, 28, v1
	v_and_b32_e32 v3, v3, v4
	v_cmp_gt_i64_e32 vcc, 0, v[17:18]
	v_not_b32_e32 v4, v18
	v_ashrrev_i32_e32 v4, 31, v4
	v_xor_b32_e32 v18, vcc_hi, v4
	;; [unrolled: 8-line block ×5, first 2 shown]
	v_and_b32_e32 v2, v2, v18
	v_lshlrev_b32_e32 v18, 24, v1
	v_xor_b32_e32 v4, vcc_lo, v4
	v_cmp_gt_i64_e32 vcc, 0, v[17:18]
	v_not_b32_e32 v1, v18
	v_ashrrev_i32_e32 v1, 31, v1
	v_and_b32_e32 v3, v3, v4
	v_xor_b32_e32 v4, vcc_hi, v1
	v_xor_b32_e32 v1, vcc_lo, v1
	; wave barrier
	ds_read_b32 v56, v57 offset:16
	v_and_b32_e32 v1, v3, v1
	v_and_b32_e32 v2, v2, v4
	v_mbcnt_lo_u32_b32 v3, v1, 0
	v_mbcnt_hi_u32_b32 v18, v2, v3
	v_cmp_ne_u64_e32 vcc, 0, v[1:2]
	v_cmp_eq_u32_e64 s[26:27], 0, v18
	s_and_b64 s[28:29], s[26:27], vcc
	; wave barrier
	s_and_saveexec_b64 s[26:27], s[28:29]
	s_cbranch_execz .LBB174_20
; %bb.19:                               ;   in Loop: Header=BB174_4 Depth=2
	v_bcnt_u32_b32 v1, v1, 0
	v_bcnt_u32_b32 v1, v2, v1
	s_waitcnt lgkmcnt(0)
	v_add_u32_e32 v1, v56, v1
	ds_write_b32 v57, v1 offset:16
.LBB174_20:                             ;   in Loop: Header=BB174_4 Depth=2
	s_or_b64 exec, exec, s[26:27]
	; wave barrier
	s_waitcnt lgkmcnt(0)
	s_barrier
	ds_read2_b64 v[1:4], v41 offset0:2 offset1:3
	s_waitcnt lgkmcnt(0)
	v_add_u32_e32 v58, v2, v1
	v_add3_u32 v4, v58, v3, v4
	s_nop 1
	v_mov_b32_dpp v58, v4 row_shr:1 row_mask:0xf bank_mask:0xf
	v_cndmask_b32_e64 v58, v58, 0, s[0:1]
	v_add_u32_e32 v4, v58, v4
	s_nop 1
	v_mov_b32_dpp v58, v4 row_shr:2 row_mask:0xf bank_mask:0xf
	v_cndmask_b32_e64 v58, 0, v58, s[2:3]
	v_add_u32_e32 v4, v4, v58
	;; [unrolled: 4-line block ×4, first 2 shown]
	s_nop 1
	v_mov_b32_dpp v58, v4 row_bcast:15 row_mask:0xf bank_mask:0xf
	v_cndmask_b32_e64 v58, v58, 0, s[8:9]
	v_add_u32_e32 v4, v4, v58
	s_nop 1
	v_mov_b32_dpp v58, v4 row_bcast:31 row_mask:0xf bank_mask:0xf
	v_cndmask_b32_e64 v58, 0, v58, s[10:11]
	v_add_u32_e32 v4, v4, v58
	s_and_saveexec_b64 s[26:27], s[12:13]
; %bb.21:                               ;   in Loop: Header=BB174_4 Depth=2
	ds_write_b32 v43, v4
; %bb.22:                               ;   in Loop: Header=BB174_4 Depth=2
	s_or_b64 exec, exec, s[26:27]
	s_waitcnt lgkmcnt(0)
	s_barrier
	s_and_saveexec_b64 s[26:27], s[14:15]
	s_cbranch_execz .LBB174_24
; %bb.23:                               ;   in Loop: Header=BB174_4 Depth=2
	ds_read_b32 v58, v44
	s_waitcnt lgkmcnt(0)
	s_nop 0
	v_mov_b32_dpp v59, v58 row_shr:1 row_mask:0xf bank_mask:0xf
	v_cndmask_b32_e64 v59, v59, 0, s[22:23]
	v_add_u32_e32 v58, v59, v58
	s_nop 1
	v_mov_b32_dpp v59, v58 row_shr:2 row_mask:0xf bank_mask:0xf
	v_cndmask_b32_e64 v59, 0, v59, s[24:25]
	v_add_u32_e32 v58, v58, v59
	ds_write_b32 v44, v58
.LBB174_24:                             ;   in Loop: Header=BB174_4 Depth=2
	s_or_b64 exec, exec, s[26:27]
	v_mov_b32_e32 v58, 0
	s_waitcnt lgkmcnt(0)
	s_barrier
	s_and_saveexec_b64 s[26:27], s[16:17]
; %bb.25:                               ;   in Loop: Header=BB174_4 Depth=2
	ds_read_b32 v58, v45
; %bb.26:                               ;   in Loop: Header=BB174_4 Depth=2
	s_or_b64 exec, exec, s[26:27]
	s_waitcnt lgkmcnt(0)
	v_add_u32_e32 v4, v58, v4
	ds_bpermute_b32 v4, v42, v4
	v_lshlrev_b32_e32 v5, 3, v5
	s_cmp_gt_u32 s36, 55
	s_mov_b64 s[26:27], -1
	s_waitcnt lgkmcnt(0)
	v_cndmask_b32_e64 v4, v4, v58, s[18:19]
	v_cndmask_b32_e64 v58, v4, 0, s[20:21]
	v_add_u32_e32 v59, v58, v1
	v_add_u32_e32 v1, v59, v2
	v_add_u32_e32 v2, v1, v3
	ds_write2_b64 v41, v[58:59], v[1:2] offset0:2 offset1:3
	s_waitcnt lgkmcnt(0)
	s_barrier
	ds_read_b32 v1, v6 offset:16
	ds_read_b32 v2, v8 offset:16
	;; [unrolled: 1-line block ×8, first 2 shown]
	s_waitcnt lgkmcnt(7)
	v_lshl_add_u32 v48, v1, 3, v5
	v_lshlrev_b32_e32 v1, 3, v9
	v_lshlrev_b32_e32 v5, 3, v7
	s_waitcnt lgkmcnt(6)
	v_lshlrev_b32_e32 v2, 3, v2
	v_add3_u32 v51, v1, v5, v2
	v_lshlrev_b32_e32 v1, 3, v12
	v_lshlrev_b32_e32 v2, 3, v10
	s_waitcnt lgkmcnt(5)
	v_lshlrev_b32_e32 v3, 3, v3
	v_add3_u32 v54, v1, v2, v3
	v_lshlrev_b32_e32 v1, 3, v15
	v_lshlrev_b32_e32 v2, 3, v13
	s_waitcnt lgkmcnt(4)
	v_lshlrev_b32_e32 v3, 3, v4
	v_add3_u32 v57, v1, v2, v3
	v_lshlrev_b32_e32 v1, 3, v49
	v_lshlrev_b32_e32 v2, 3, v16
	s_waitcnt lgkmcnt(3)
	v_lshlrev_b32_e32 v3, 3, v6
	v_add3_u32 v49, v1, v2, v3
	v_lshlrev_b32_e32 v1, 3, v52
	v_lshlrev_b32_e32 v2, 3, v50
	s_waitcnt lgkmcnt(2)
	v_lshlrev_b32_e32 v3, 3, v8
	v_add3_u32 v50, v1, v2, v3
	v_lshlrev_b32_e32 v1, 3, v55
	v_lshlrev_b32_e32 v2, 3, v53
	s_waitcnt lgkmcnt(1)
	v_lshlrev_b32_e32 v3, 3, v11
	v_add3_u32 v52, v1, v2, v3
	v_lshlrev_b32_e32 v1, 3, v18
	v_lshlrev_b32_e32 v2, 3, v56
	s_waitcnt lgkmcnt(0)
	v_lshlrev_b32_e32 v3, 3, v14
	v_add3_u32 v18, v1, v2, v3
                                        ; implicit-def: $vgpr1_vgpr2
                                        ; implicit-def: $vgpr5_vgpr6
                                        ; implicit-def: $vgpr9_vgpr10
                                        ; implicit-def: $vgpr13_vgpr14
	s_cbranch_scc1 .LBB174_3
; %bb.27:                               ;   in Loop: Header=BB174_4 Depth=2
	s_barrier
	ds_write_b64 v48, v[37:38]
	ds_write_b64 v51, v[35:36]
	;; [unrolled: 1-line block ×8, first 2 shown]
	s_waitcnt lgkmcnt(0)
	s_barrier
	ds_read2st64_b64 v[1:4], v40 offset1:1
	ds_read2st64_b64 v[5:8], v40 offset0:2 offset1:3
	ds_read2st64_b64 v[9:12], v40 offset0:4 offset1:5
	;; [unrolled: 1-line block ×3, first 2 shown]
	s_add_i32 s34, s34, -8
	s_add_i32 s33, s33, 8
	s_add_i32 s36, s36, 8
	s_mov_b64 s[26:27], 0
	s_waitcnt lgkmcnt(0)
	s_barrier
	s_branch .LBB174_3
.LBB174_28:
	s_add_u32 s0, s38, s40
	s_addc_u32 s1, s39, s41
	v_lshlrev_b32_e32 v0, 3, v0
	v_mov_b32_e32 v1, s1
	v_add_co_u32_e32 v2, vcc, s0, v0
	v_addc_co_u32_e32 v17, vcc, 0, v1, vcc
	global_store_dwordx2 v0, v[3:4], s[0:1]
	global_store_dwordx2 v0, v[9:10], s[0:1] offset:2048
	v_add_co_u32_e32 v0, vcc, 0x1000, v2
	v_addc_co_u32_e32 v1, vcc, 0, v17, vcc
	global_store_dwordx2 v[0:1], v[13:14], off
	global_store_dwordx2 v[0:1], v[7:8], off offset:2048
	v_add_co_u32_e32 v0, vcc, 0x2000, v2
	v_addc_co_u32_e32 v1, vcc, 0, v17, vcc
	global_store_dwordx2 v[0:1], v[11:12], off
	global_store_dwordx2 v[0:1], v[23:24], off offset:2048
	;; [unrolled: 4-line block ×3, first 2 shown]
	s_endpgm
	.section	.rodata,"a",@progbits
	.p2align	6, 0x0
	.amdhsa_kernel _Z16sort_keys_kernelI22helper_blocked_blockedN15benchmark_utils11custom_typeIiiEELj256ELj8ELj10EEvPKT0_PS4_
		.amdhsa_group_segment_fixed_size 16384
		.amdhsa_private_segment_fixed_size 0
		.amdhsa_kernarg_size 272
		.amdhsa_user_sgpr_count 6
		.amdhsa_user_sgpr_private_segment_buffer 1
		.amdhsa_user_sgpr_dispatch_ptr 0
		.amdhsa_user_sgpr_queue_ptr 0
		.amdhsa_user_sgpr_kernarg_segment_ptr 1
		.amdhsa_user_sgpr_dispatch_id 0
		.amdhsa_user_sgpr_flat_scratch_init 0
		.amdhsa_user_sgpr_private_segment_size 0
		.amdhsa_uses_dynamic_stack 0
		.amdhsa_system_sgpr_private_segment_wavefront_offset 0
		.amdhsa_system_sgpr_workgroup_id_x 1
		.amdhsa_system_sgpr_workgroup_id_y 0
		.amdhsa_system_sgpr_workgroup_id_z 0
		.amdhsa_system_sgpr_workgroup_info 0
		.amdhsa_system_vgpr_workitem_id 2
		.amdhsa_next_free_vgpr 60
		.amdhsa_next_free_sgpr 98
		.amdhsa_reserve_vcc 1
		.amdhsa_reserve_flat_scratch 0
		.amdhsa_float_round_mode_32 0
		.amdhsa_float_round_mode_16_64 0
		.amdhsa_float_denorm_mode_32 3
		.amdhsa_float_denorm_mode_16_64 3
		.amdhsa_dx10_clamp 1
		.amdhsa_ieee_mode 1
		.amdhsa_fp16_overflow 0
		.amdhsa_exception_fp_ieee_invalid_op 0
		.amdhsa_exception_fp_denorm_src 0
		.amdhsa_exception_fp_ieee_div_zero 0
		.amdhsa_exception_fp_ieee_overflow 0
		.amdhsa_exception_fp_ieee_underflow 0
		.amdhsa_exception_fp_ieee_inexact 0
		.amdhsa_exception_int_div_zero 0
	.end_amdhsa_kernel
	.section	.text._Z16sort_keys_kernelI22helper_blocked_blockedN15benchmark_utils11custom_typeIiiEELj256ELj8ELj10EEvPKT0_PS4_,"axG",@progbits,_Z16sort_keys_kernelI22helper_blocked_blockedN15benchmark_utils11custom_typeIiiEELj256ELj8ELj10EEvPKT0_PS4_,comdat
.Lfunc_end174:
	.size	_Z16sort_keys_kernelI22helper_blocked_blockedN15benchmark_utils11custom_typeIiiEELj256ELj8ELj10EEvPKT0_PS4_, .Lfunc_end174-_Z16sort_keys_kernelI22helper_blocked_blockedN15benchmark_utils11custom_typeIiiEELj256ELj8ELj10EEvPKT0_PS4_
                                        ; -- End function
	.set _Z16sort_keys_kernelI22helper_blocked_blockedN15benchmark_utils11custom_typeIiiEELj256ELj8ELj10EEvPKT0_PS4_.num_vgpr, 60
	.set _Z16sort_keys_kernelI22helper_blocked_blockedN15benchmark_utils11custom_typeIiiEELj256ELj8ELj10EEvPKT0_PS4_.num_agpr, 0
	.set _Z16sort_keys_kernelI22helper_blocked_blockedN15benchmark_utils11custom_typeIiiEELj256ELj8ELj10EEvPKT0_PS4_.numbered_sgpr, 45
	.set _Z16sort_keys_kernelI22helper_blocked_blockedN15benchmark_utils11custom_typeIiiEELj256ELj8ELj10EEvPKT0_PS4_.num_named_barrier, 0
	.set _Z16sort_keys_kernelI22helper_blocked_blockedN15benchmark_utils11custom_typeIiiEELj256ELj8ELj10EEvPKT0_PS4_.private_seg_size, 0
	.set _Z16sort_keys_kernelI22helper_blocked_blockedN15benchmark_utils11custom_typeIiiEELj256ELj8ELj10EEvPKT0_PS4_.uses_vcc, 1
	.set _Z16sort_keys_kernelI22helper_blocked_blockedN15benchmark_utils11custom_typeIiiEELj256ELj8ELj10EEvPKT0_PS4_.uses_flat_scratch, 0
	.set _Z16sort_keys_kernelI22helper_blocked_blockedN15benchmark_utils11custom_typeIiiEELj256ELj8ELj10EEvPKT0_PS4_.has_dyn_sized_stack, 0
	.set _Z16sort_keys_kernelI22helper_blocked_blockedN15benchmark_utils11custom_typeIiiEELj256ELj8ELj10EEvPKT0_PS4_.has_recursion, 0
	.set _Z16sort_keys_kernelI22helper_blocked_blockedN15benchmark_utils11custom_typeIiiEELj256ELj8ELj10EEvPKT0_PS4_.has_indirect_call, 0
	.section	.AMDGPU.csdata,"",@progbits
; Kernel info:
; codeLenInByte = 5396
; TotalNumSgprs: 49
; NumVgprs: 60
; ScratchSize: 0
; MemoryBound: 0
; FloatMode: 240
; IeeeMode: 1
; LDSByteSize: 16384 bytes/workgroup (compile time only)
; SGPRBlocks: 12
; VGPRBlocks: 14
; NumSGPRsForWavesPerEU: 102
; NumVGPRsForWavesPerEU: 60
; Occupancy: 4
; WaveLimiterHint : 1
; COMPUTE_PGM_RSRC2:SCRATCH_EN: 0
; COMPUTE_PGM_RSRC2:USER_SGPR: 6
; COMPUTE_PGM_RSRC2:TRAP_HANDLER: 0
; COMPUTE_PGM_RSRC2:TGID_X_EN: 1
; COMPUTE_PGM_RSRC2:TGID_Y_EN: 0
; COMPUTE_PGM_RSRC2:TGID_Z_EN: 0
; COMPUTE_PGM_RSRC2:TIDIG_COMP_CNT: 2
	.section	.text._Z17sort_pairs_kernelI22helper_blocked_blockedN15benchmark_utils11custom_typeIiiEELj256ELj8ELj10EEvPKT0_PS4_,"axG",@progbits,_Z17sort_pairs_kernelI22helper_blocked_blockedN15benchmark_utils11custom_typeIiiEELj256ELj8ELj10EEvPKT0_PS4_,comdat
	.protected	_Z17sort_pairs_kernelI22helper_blocked_blockedN15benchmark_utils11custom_typeIiiEELj256ELj8ELj10EEvPKT0_PS4_ ; -- Begin function _Z17sort_pairs_kernelI22helper_blocked_blockedN15benchmark_utils11custom_typeIiiEELj256ELj8ELj10EEvPKT0_PS4_
	.globl	_Z17sort_pairs_kernelI22helper_blocked_blockedN15benchmark_utils11custom_typeIiiEELj256ELj8ELj10EEvPKT0_PS4_
	.p2align	8
	.type	_Z17sort_pairs_kernelI22helper_blocked_blockedN15benchmark_utils11custom_typeIiiEELj256ELj8ELj10EEvPKT0_PS4_,@function
_Z17sort_pairs_kernelI22helper_blocked_blockedN15benchmark_utils11custom_typeIiiEELj256ELj8ELj10EEvPKT0_PS4_: ; @_Z17sort_pairs_kernelI22helper_blocked_blockedN15benchmark_utils11custom_typeIiiEELj256ELj8ELj10EEvPKT0_PS4_
; %bb.0:
	s_load_dwordx4 s[36:39], s[4:5], 0x0
	s_load_dword s22, s[4:5], 0x1c
	s_lshl_b32 s40, s6, 11
	s_mov_b32 s41, 0
	s_lshl_b64 s[34:35], s[40:41], 3
	s_waitcnt lgkmcnt(0)
	s_add_u32 s0, s36, s34
	s_addc_u32 s1, s37, s35
	v_lshlrev_b32_e32 v7, 3, v0
	v_mov_b32_e32 v3, s1
	v_add_co_u32_e32 v8, vcc, s0, v7
	v_addc_co_u32_e32 v9, vcc, 0, v3, vcc
	s_movk_i32 s2, 0x1000
	v_add_co_u32_e32 v3, vcc, s2, v8
	v_addc_co_u32_e32 v4, vcc, 0, v9, vcc
	s_movk_i32 s2, 0x2000
	v_add_co_u32_e32 v5, vcc, s2, v8
	global_load_dwordx2 v[17:18], v7, s[0:1]
	v_addc_co_u32_e32 v6, vcc, 0, v9, vcc
	global_load_dwordx2 v[19:20], v7, s[0:1] offset:2048
	global_load_dwordx2 v[21:22], v[3:4], off offset:2048
	global_load_dwordx2 v[23:24], v[5:6], off offset:-4096
	global_load_dwordx2 v[25:26], v[5:6], off
	global_load_dwordx2 v[27:28], v[5:6], off offset:2048
	s_movk_i32 s0, 0x3000
	v_add_co_u32_e32 v3, vcc, s0, v8
	v_addc_co_u32_e32 v4, vcc, 0, v9, vcc
	global_load_dwordx2 v[29:30], v[3:4], off
	global_load_dwordx2 v[31:32], v[3:4], off offset:2048
	s_lshr_b32 s23, s22, 16
	s_and_b32 s22, s22, 0xffff
	v_mad_u32_u24 v1, v2, s23, v1
	v_mad_u64_u32 v[34:35], s[22:23], v1, s22, v[0:1]
	v_mbcnt_lo_u32_b32 v3, -1, 0
	v_mbcnt_hi_u32_b32 v36, -1, v3
	v_and_b32_e32 v3, 0xc0, v0
	v_lshlrev_b32_e32 v4, 6, v0
	v_subrev_co_u32_e64 v8, s[8:9], 1, v36
	v_and_b32_e32 v9, 64, v36
	v_lshlrev_b32_e32 v71, 4, v0
	v_lshrrev_b32_e32 v5, 4, v0
	v_add_lshl_u32 v72, v36, v3, 6
	v_and_b32_e32 v4, 0x3000, v4
	v_or_b32_e32 v3, 63, v3
	v_cmp_lt_i32_e32 vcc, v8, v9
	v_and_b32_e32 v35, 3, v36
	v_lshrrev_b32_e32 v34, 4, v34
	s_mov_b32 s40, s41
	s_mov_b32 s27, s41
	v_and_b32_e32 v6, 15, v36
	v_and_b32_e32 v7, 16, v36
	v_cmp_lt_u32_e64 s[6:7], 31, v36
	v_and_b32_e32 v73, 12, v5
	v_lshl_or_b32 v74, v36, 3, v4
	v_cmp_eq_u32_e64 s[20:21], v0, v3
	v_cndmask_b32_e32 v3, v8, v36, vcc
	v_mad_i32_i24 v76, v0, -12, v71
	v_cmp_eq_u32_e64 s[22:23], 0, v35
	v_cmp_lt_u32_e64 s[24:25], 1, v35
	v_and_b32_e32 v78, 0xffffffc, v34
	v_mul_u32_u24_e32 v34, 60, v0
	s_mov_b32 s26, s41
	v_mov_b32_e32 v35, s40
	v_mov_b32_e32 v38, s27
	;; [unrolled: 1-line block ×3, first 2 shown]
	v_cmp_gt_u32_e64 s[0:1], 4, v0
	v_cmp_lt_u32_e64 s[2:3], 63, v0
	v_cmp_eq_u32_e64 s[4:5], 0, v0
	v_cmp_eq_u32_e64 s[10:11], 0, v6
	v_cmp_lt_u32_e64 s[12:13], 1, v6
	v_cmp_lt_u32_e64 s[14:15], 3, v6
	;; [unrolled: 1-line block ×3, first 2 shown]
	v_cmp_eq_u32_e64 s[18:19], 0, v7
	v_lshlrev_b32_e32 v75, 2, v3
	v_add_u32_e32 v77, -4, v73
	v_mov_b32_e32 v36, s41
	v_add_u32_e32 v79, v76, v34
	v_mov_b32_e32 v37, s26
	s_waitcnt vmcnt(6)
	v_add_u32_e32 v16, 1, v20
	v_add_u32_e32 v14, 1, v18
	;; [unrolled: 1-line block ×4, first 2 shown]
	s_waitcnt vmcnt(4)
	v_add_u32_e32 v10, 1, v24
	v_add_u32_e32 v9, 1, v23
	;; [unrolled: 1-line block ×4, first 2 shown]
	s_waitcnt vmcnt(3)
	v_add_u32_e32 v6, 1, v26
	v_add_u32_e32 v5, 1, v25
	s_waitcnt vmcnt(2)
	v_add_u32_e32 v8, 1, v28
	v_add_u32_e32 v7, 1, v27
	;; [unrolled: 3-line block ×4, first 2 shown]
	s_branch .LBB175_2
.LBB175_1:                              ;   in Loop: Header=BB175_2 Depth=1
	s_barrier
	ds_write_b64 v34, v[69:70]
	ds_write_b64 v80, v[67:68]
	;; [unrolled: 1-line block ×8, first 2 shown]
	s_waitcnt lgkmcnt(0)
	s_barrier
	ds_read2_b64 v[17:20], v79 offset1:1
	ds_read2_b64 v[23:26], v79 offset0:2 offset1:3
	ds_read2_b64 v[27:30], v79 offset0:4 offset1:5
	;; [unrolled: 1-line block ×3, first 2 shown]
	s_waitcnt lgkmcnt(0)
	s_barrier
	ds_write_b64 v34, v[53:54]
	ds_write_b64 v80, v[51:52]
	;; [unrolled: 1-line block ×8, first 2 shown]
	s_waitcnt lgkmcnt(0)
	s_barrier
	ds_read2_b64 v[13:16], v79 offset1:1
	ds_read2_b64 v[9:12], v79 offset0:2 offset1:3
	ds_read2_b64 v[5:8], v79 offset0:4 offset1:5
	;; [unrolled: 1-line block ×3, first 2 shown]
	s_add_i32 s41, s41, 1
	v_xor_b32_e32 v17, 0x80000000, v17
	v_xor_b32_e32 v18, 0x80000000, v18
	v_xor_b32_e32 v19, 0x80000000, v19
	v_xor_b32_e32 v20, 0x80000000, v20
	v_xor_b32_e32 v23, 0x80000000, v23
	v_xor_b32_e32 v24, 0x80000000, v24
	v_xor_b32_e32 v21, 0x80000000, v25
	v_xor_b32_e32 v22, 0x80000000, v26
	v_xor_b32_e32 v25, 0x80000000, v27
	v_xor_b32_e32 v26, 0x80000000, v28
	v_xor_b32_e32 v27, 0x80000000, v29
	v_xor_b32_e32 v28, 0x80000000, v30
	v_xor_b32_e32 v29, 0x80000000, v55
	v_xor_b32_e32 v30, 0x80000000, v56
	v_xor_b32_e32 v31, 0x80000000, v57
	s_cmp_lg_u32 s41, 10
	v_xor_b32_e32 v32, 0x80000000, v58
	s_cbranch_scc0 .LBB175_28
.LBB175_2:                              ; =>This Loop Header: Depth=1
                                        ;     Child Loop BB175_4 Depth 2
	v_xor_b32_e32 v18, 0x80000000, v18
	v_xor_b32_e32 v17, 0x80000000, v17
	;; [unrolled: 1-line block ×16, first 2 shown]
	ds_write2_b64 v72, v[17:18], v[19:20] offset1:1
	ds_write2_b64 v72, v[23:24], v[21:22] offset0:2 offset1:3
	ds_write2_b64 v72, v[25:26], v[27:28] offset0:4 offset1:5
	;; [unrolled: 1-line block ×3, first 2 shown]
	; wave barrier
	ds_read2st64_b64 v[17:20], v74 offset1:1
	ds_read2st64_b64 v[21:24], v74 offset0:2 offset1:3
	ds_read2st64_b64 v[25:28], v74 offset0:4 offset1:5
	;; [unrolled: 1-line block ×3, first 2 shown]
	; wave barrier
	s_waitcnt lgkmcnt(11)
	ds_write2_b64 v72, v[13:14], v[15:16] offset1:1
	s_waitcnt lgkmcnt(11)
	ds_write2_b64 v72, v[9:10], v[11:12] offset0:2 offset1:3
	s_waitcnt lgkmcnt(11)
	ds_write2_b64 v72, v[5:6], v[7:8] offset0:4 offset1:5
	;; [unrolled: 2-line block ×3, first 2 shown]
	; wave barrier
	ds_read2st64_b64 v[1:4], v74 offset1:1
	ds_read2st64_b64 v[5:8], v74 offset0:2 offset1:3
	ds_read2st64_b64 v[9:12], v74 offset0:4 offset1:5
	;; [unrolled: 1-line block ×3, first 2 shown]
	s_mov_b32 s33, 8
	s_mov_b32 s36, 32
	;; [unrolled: 1-line block ×3, first 2 shown]
	s_waitcnt lgkmcnt(0)
	s_barrier
	s_branch .LBB175_4
.LBB175_3:                              ;   in Loop: Header=BB175_4 Depth=2
	s_andn2_b64 vcc, exec, s[26:27]
	s_cbranch_vccz .LBB175_1
.LBB175_4:                              ;   Parent Loop BB175_2 Depth=1
                                        ; =>  This Inner Loop Header: Depth=2
	s_min_i32 s28, s33, 32
	s_cmp_lt_u32 s37, 32
	s_cselect_b64 s[26:27], -1, 0
	s_cmp_gt_u32 s37, 31
	s_cselect_b64 vcc, -1, 0
	s_sub_i32 s28, s28, 32
	s_add_i32 s29, s28, s36
	s_lshl_b32 s29, -1, s29
	s_not_b32 s29, s29
	s_cmp_lg_u32 s28, s37
	s_cselect_b32 s42, s29, -1
	s_max_i32 s40, s36, 0
	s_max_i32 s28, s37, 32
	s_sub_i32 s43, s28, 32
	s_sub_i32 s28, s28, s40
	;; [unrolled: 1-line block ×3, first 2 shown]
	s_min_i32 s28, s28, 32
	s_sub_i32 s28, s28, s43
	s_lshl_b32 s29, -1, s28
	v_mov_b32_e32 v70, v18
	s_not_b32 s29, s29
	v_mov_b32_e32 v54, v2
	v_mov_b32_e32 v69, v17
	s_cmp_lg_u32 s28, 32
	v_mov_b32_e32 v53, v1
	s_cselect_b32 s44, s29, -1
	v_lshrrev_b32_e32 v2, s43, v69
	v_lshrrev_b32_e32 v1, s37, v70
	v_and_b32_e32 v2, s44, v2
	v_and_b32_e32 v1, s42, v1
	v_lshlrev_b32_e32 v2, s40, v2
	v_cndmask_b32_e64 v1, 0, v1, s[26:27]
	v_cndmask_b32_e32 v2, 0, v2, vcc
	v_or_b32_e32 v1, v1, v2
	v_mov_b32_e32 v52, v4
	v_and_b32_e32 v2, 1, v1
	v_mov_b32_e32 v51, v3
	v_mov_b32_e32 v50, v6
	v_add_co_u32_e64 v4, s[28:29], -1, v2
	v_mov_b32_e32 v49, v5
	v_addc_co_u32_e64 v5, s[28:29], 0, -1, s[28:29]
	v_cmp_ne_u32_e64 s[28:29], 0, v2
	v_lshlrev_b32_e32 v34, 30, v1
	v_xor_b32_e32 v2, s29, v5
	v_xor_b32_e32 v4, s28, v4
	v_cmp_gt_i64_e64 s[28:29], 0, v[33:34]
	v_not_b32_e32 v5, v34
	v_ashrrev_i32_e32 v5, 31, v5
	v_and_b32_e32 v4, exec_lo, v4
	v_xor_b32_e32 v6, s29, v5
	v_xor_b32_e32 v5, s28, v5
	v_lshlrev_b32_e32 v34, 29, v1
	v_and_b32_e32 v4, v4, v5
	v_cmp_gt_i64_e64 s[28:29], 0, v[33:34]
	v_not_b32_e32 v5, v34
	v_and_b32_e32 v2, exec_hi, v2
	v_ashrrev_i32_e32 v5, 31, v5
	v_and_b32_e32 v2, v2, v6
	v_xor_b32_e32 v6, s29, v5
	v_xor_b32_e32 v5, s28, v5
	v_lshlrev_b32_e32 v34, 28, v1
	v_and_b32_e32 v4, v4, v5
	v_cmp_gt_i64_e64 s[28:29], 0, v[33:34]
	v_not_b32_e32 v5, v34
	v_ashrrev_i32_e32 v5, 31, v5
	v_and_b32_e32 v2, v2, v6
	v_xor_b32_e32 v6, s29, v5
	v_xor_b32_e32 v5, s28, v5
	v_lshlrev_b32_e32 v34, 27, v1
	v_and_b32_e32 v4, v4, v5
	v_cmp_gt_i64_e64 s[28:29], 0, v[33:34]
	v_not_b32_e32 v5, v34
	;; [unrolled: 8-line block ×4, first 2 shown]
	v_ashrrev_i32_e32 v5, 31, v5
	v_lshlrev_b32_e32 v34, 24, v1
	v_lshlrev_b32_e32 v3, 4, v1
	v_and_b32_e32 v2, v2, v6
	v_xor_b32_e32 v6, s29, v5
	v_xor_b32_e32 v5, s28, v5
	v_cmp_gt_i64_e64 s[28:29], 0, v[33:34]
	v_not_b32_e32 v1, v34
	v_ashrrev_i32_e32 v1, 31, v1
	v_and_b32_e32 v4, v4, v5
	v_xor_b32_e32 v5, s29, v1
	v_xor_b32_e32 v1, s28, v1
	v_and_b32_e32 v2, v2, v6
	v_and_b32_e32 v1, v4, v1
	;; [unrolled: 1-line block ×3, first 2 shown]
	v_mbcnt_lo_u32_b32 v4, v1, 0
	v_mbcnt_hi_u32_b32 v5, v2, v4
	v_cmp_ne_u64_e64 s[28:29], 0, v[1:2]
	v_mov_b32_e32 v48, v8
	v_mov_b32_e32 v46, v10
	;; [unrolled: 1-line block ×12, first 2 shown]
	v_cmp_eq_u32_e64 s[30:31], 0, v5
	v_mov_b32_e32 v47, v7
	v_mov_b32_e32 v45, v9
	;; [unrolled: 1-line block ×12, first 2 shown]
	s_and_b64 s[30:31], s[30:31], s[28:29]
	v_add_u32_e32 v6, v78, v3
	ds_write2_b64 v71, v[35:36], v[37:38] offset0:2 offset1:3
	s_waitcnt lgkmcnt(0)
	s_barrier
	; wave barrier
	s_and_saveexec_b64 s[28:29], s[30:31]
; %bb.5:                                ;   in Loop: Header=BB175_4 Depth=2
	v_bcnt_u32_b32 v1, v1, 0
	v_bcnt_u32_b32 v1, v2, v1
	ds_write_b32 v6, v1 offset:16
; %bb.6:                                ;   in Loop: Header=BB175_4 Depth=2
	s_or_b64 exec, exec, s[28:29]
	v_lshrrev_b32_e32 v2, s43, v67
	v_lshrrev_b32_e32 v1, s37, v68
	v_and_b32_e32 v2, s44, v2
	v_and_b32_e32 v1, s42, v1
	v_lshlrev_b32_e32 v2, s40, v2
	v_cndmask_b32_e64 v1, 0, v1, s[26:27]
	v_cndmask_b32_e32 v2, 0, v2, vcc
	v_or_b32_e32 v1, v1, v2
	v_lshlrev_b32_e32 v2, 4, v1
	v_add_u32_e32 v8, v78, v2
	v_and_b32_e32 v2, 1, v1
	v_add_co_u32_e64 v3, s[28:29], -1, v2
	v_addc_co_u32_e64 v4, s[28:29], 0, -1, s[28:29]
	v_cmp_ne_u32_e64 s[28:29], 0, v2
	v_lshlrev_b32_e32 v34, 30, v1
	v_xor_b32_e32 v2, s29, v4
	v_xor_b32_e32 v3, s28, v3
	v_cmp_gt_i64_e64 s[28:29], 0, v[33:34]
	v_not_b32_e32 v4, v34
	v_ashrrev_i32_e32 v4, 31, v4
	v_and_b32_e32 v3, exec_lo, v3
	v_xor_b32_e32 v9, s29, v4
	v_xor_b32_e32 v4, s28, v4
	v_lshlrev_b32_e32 v34, 29, v1
	v_and_b32_e32 v3, v3, v4
	v_cmp_gt_i64_e64 s[28:29], 0, v[33:34]
	v_not_b32_e32 v4, v34
	v_and_b32_e32 v2, exec_hi, v2
	v_ashrrev_i32_e32 v4, 31, v4
	v_and_b32_e32 v2, v2, v9
	v_xor_b32_e32 v9, s29, v4
	v_xor_b32_e32 v4, s28, v4
	v_lshlrev_b32_e32 v34, 28, v1
	v_and_b32_e32 v3, v3, v4
	v_cmp_gt_i64_e64 s[28:29], 0, v[33:34]
	v_not_b32_e32 v4, v34
	v_ashrrev_i32_e32 v4, 31, v4
	v_and_b32_e32 v2, v2, v9
	v_xor_b32_e32 v9, s29, v4
	v_xor_b32_e32 v4, s28, v4
	v_lshlrev_b32_e32 v34, 27, v1
	v_and_b32_e32 v3, v3, v4
	v_cmp_gt_i64_e64 s[28:29], 0, v[33:34]
	v_not_b32_e32 v4, v34
	;; [unrolled: 8-line block ×4, first 2 shown]
	v_ashrrev_i32_e32 v4, 31, v4
	v_lshlrev_b32_e32 v34, 24, v1
	v_and_b32_e32 v2, v2, v9
	v_xor_b32_e32 v9, s29, v4
	v_xor_b32_e32 v4, s28, v4
	v_cmp_gt_i64_e64 s[28:29], 0, v[33:34]
	v_not_b32_e32 v1, v34
	v_ashrrev_i32_e32 v1, 31, v1
	v_and_b32_e32 v3, v3, v4
	v_xor_b32_e32 v4, s29, v1
	v_xor_b32_e32 v1, s28, v1
	; wave barrier
	ds_read_b32 v7, v8 offset:16
	v_and_b32_e32 v2, v2, v9
	v_and_b32_e32 v1, v3, v1
	v_and_b32_e32 v2, v2, v4
	v_mbcnt_lo_u32_b32 v3, v1, 0
	v_mbcnt_hi_u32_b32 v9, v2, v3
	v_cmp_ne_u64_e64 s[28:29], 0, v[1:2]
	v_cmp_eq_u32_e64 s[30:31], 0, v9
	s_and_b64 s[30:31], s[30:31], s[28:29]
	; wave barrier
	s_and_saveexec_b64 s[28:29], s[30:31]
	s_cbranch_execz .LBB175_8
; %bb.7:                                ;   in Loop: Header=BB175_4 Depth=2
	v_bcnt_u32_b32 v1, v1, 0
	v_bcnt_u32_b32 v1, v2, v1
	s_waitcnt lgkmcnt(0)
	v_add_u32_e32 v1, v7, v1
	ds_write_b32 v8, v1 offset:16
.LBB175_8:                              ;   in Loop: Header=BB175_4 Depth=2
	s_or_b64 exec, exec, s[28:29]
	v_lshrrev_b32_e32 v2, s43, v65
	v_lshrrev_b32_e32 v1, s37, v66
	v_and_b32_e32 v2, s44, v2
	v_and_b32_e32 v1, s42, v1
	v_lshlrev_b32_e32 v2, s40, v2
	v_cndmask_b32_e64 v1, 0, v1, s[26:27]
	v_cndmask_b32_e32 v2, 0, v2, vcc
	v_or_b32_e32 v1, v1, v2
	v_lshlrev_b32_e32 v2, 4, v1
	v_add_u32_e32 v11, v78, v2
	v_and_b32_e32 v2, 1, v1
	v_add_co_u32_e64 v3, s[28:29], -1, v2
	v_addc_co_u32_e64 v4, s[28:29], 0, -1, s[28:29]
	v_cmp_ne_u32_e64 s[28:29], 0, v2
	v_lshlrev_b32_e32 v34, 30, v1
	v_xor_b32_e32 v2, s29, v4
	v_xor_b32_e32 v3, s28, v3
	v_cmp_gt_i64_e64 s[28:29], 0, v[33:34]
	v_not_b32_e32 v4, v34
	v_ashrrev_i32_e32 v4, 31, v4
	v_and_b32_e32 v3, exec_lo, v3
	v_xor_b32_e32 v12, s29, v4
	v_xor_b32_e32 v4, s28, v4
	v_lshlrev_b32_e32 v34, 29, v1
	v_and_b32_e32 v3, v3, v4
	v_cmp_gt_i64_e64 s[28:29], 0, v[33:34]
	v_not_b32_e32 v4, v34
	v_and_b32_e32 v2, exec_hi, v2
	v_ashrrev_i32_e32 v4, 31, v4
	v_and_b32_e32 v2, v2, v12
	v_xor_b32_e32 v12, s29, v4
	v_xor_b32_e32 v4, s28, v4
	v_lshlrev_b32_e32 v34, 28, v1
	v_and_b32_e32 v3, v3, v4
	v_cmp_gt_i64_e64 s[28:29], 0, v[33:34]
	v_not_b32_e32 v4, v34
	v_ashrrev_i32_e32 v4, 31, v4
	v_and_b32_e32 v2, v2, v12
	v_xor_b32_e32 v12, s29, v4
	v_xor_b32_e32 v4, s28, v4
	v_lshlrev_b32_e32 v34, 27, v1
	v_and_b32_e32 v3, v3, v4
	v_cmp_gt_i64_e64 s[28:29], 0, v[33:34]
	v_not_b32_e32 v4, v34
	;; [unrolled: 8-line block ×4, first 2 shown]
	v_ashrrev_i32_e32 v4, 31, v4
	v_lshlrev_b32_e32 v34, 24, v1
	v_and_b32_e32 v2, v2, v12
	v_xor_b32_e32 v12, s29, v4
	v_xor_b32_e32 v4, s28, v4
	v_cmp_gt_i64_e64 s[28:29], 0, v[33:34]
	v_not_b32_e32 v1, v34
	v_ashrrev_i32_e32 v1, 31, v1
	v_and_b32_e32 v3, v3, v4
	v_xor_b32_e32 v4, s29, v1
	v_xor_b32_e32 v1, s28, v1
	; wave barrier
	ds_read_b32 v10, v11 offset:16
	v_and_b32_e32 v2, v2, v12
	v_and_b32_e32 v1, v3, v1
	;; [unrolled: 1-line block ×3, first 2 shown]
	v_mbcnt_lo_u32_b32 v3, v1, 0
	v_mbcnt_hi_u32_b32 v12, v2, v3
	v_cmp_ne_u64_e64 s[28:29], 0, v[1:2]
	v_cmp_eq_u32_e64 s[30:31], 0, v12
	s_and_b64 s[30:31], s[30:31], s[28:29]
	; wave barrier
	s_and_saveexec_b64 s[28:29], s[30:31]
	s_cbranch_execz .LBB175_10
; %bb.9:                                ;   in Loop: Header=BB175_4 Depth=2
	v_bcnt_u32_b32 v1, v1, 0
	v_bcnt_u32_b32 v1, v2, v1
	s_waitcnt lgkmcnt(0)
	v_add_u32_e32 v1, v10, v1
	ds_write_b32 v11, v1 offset:16
.LBB175_10:                             ;   in Loop: Header=BB175_4 Depth=2
	s_or_b64 exec, exec, s[28:29]
	v_lshrrev_b32_e32 v2, s43, v63
	v_lshrrev_b32_e32 v1, s37, v64
	v_and_b32_e32 v2, s44, v2
	v_and_b32_e32 v1, s42, v1
	v_lshlrev_b32_e32 v2, s40, v2
	v_cndmask_b32_e64 v1, 0, v1, s[26:27]
	v_cndmask_b32_e32 v2, 0, v2, vcc
	v_or_b32_e32 v1, v1, v2
	v_lshlrev_b32_e32 v2, 4, v1
	v_add_u32_e32 v14, v78, v2
	v_and_b32_e32 v2, 1, v1
	v_add_co_u32_e64 v3, s[28:29], -1, v2
	v_addc_co_u32_e64 v4, s[28:29], 0, -1, s[28:29]
	v_cmp_ne_u32_e64 s[28:29], 0, v2
	v_lshlrev_b32_e32 v34, 30, v1
	v_xor_b32_e32 v2, s29, v4
	v_xor_b32_e32 v3, s28, v3
	v_cmp_gt_i64_e64 s[28:29], 0, v[33:34]
	v_not_b32_e32 v4, v34
	v_ashrrev_i32_e32 v4, 31, v4
	v_and_b32_e32 v3, exec_lo, v3
	v_xor_b32_e32 v15, s29, v4
	v_xor_b32_e32 v4, s28, v4
	v_lshlrev_b32_e32 v34, 29, v1
	v_and_b32_e32 v3, v3, v4
	v_cmp_gt_i64_e64 s[28:29], 0, v[33:34]
	v_not_b32_e32 v4, v34
	v_and_b32_e32 v2, exec_hi, v2
	v_ashrrev_i32_e32 v4, 31, v4
	v_and_b32_e32 v2, v2, v15
	v_xor_b32_e32 v15, s29, v4
	v_xor_b32_e32 v4, s28, v4
	v_lshlrev_b32_e32 v34, 28, v1
	v_and_b32_e32 v3, v3, v4
	v_cmp_gt_i64_e64 s[28:29], 0, v[33:34]
	v_not_b32_e32 v4, v34
	v_ashrrev_i32_e32 v4, 31, v4
	v_and_b32_e32 v2, v2, v15
	v_xor_b32_e32 v15, s29, v4
	v_xor_b32_e32 v4, s28, v4
	v_lshlrev_b32_e32 v34, 27, v1
	v_and_b32_e32 v3, v3, v4
	v_cmp_gt_i64_e64 s[28:29], 0, v[33:34]
	v_not_b32_e32 v4, v34
	;; [unrolled: 8-line block ×4, first 2 shown]
	v_ashrrev_i32_e32 v4, 31, v4
	v_lshlrev_b32_e32 v34, 24, v1
	v_and_b32_e32 v2, v2, v15
	v_xor_b32_e32 v15, s29, v4
	v_xor_b32_e32 v4, s28, v4
	v_cmp_gt_i64_e64 s[28:29], 0, v[33:34]
	v_not_b32_e32 v1, v34
	v_ashrrev_i32_e32 v1, 31, v1
	v_and_b32_e32 v3, v3, v4
	v_xor_b32_e32 v4, s29, v1
	v_xor_b32_e32 v1, s28, v1
	; wave barrier
	ds_read_b32 v13, v14 offset:16
	v_and_b32_e32 v2, v2, v15
	v_and_b32_e32 v1, v3, v1
	;; [unrolled: 1-line block ×3, first 2 shown]
	v_mbcnt_lo_u32_b32 v3, v1, 0
	v_mbcnt_hi_u32_b32 v15, v2, v3
	v_cmp_ne_u64_e64 s[28:29], 0, v[1:2]
	v_cmp_eq_u32_e64 s[30:31], 0, v15
	s_and_b64 s[30:31], s[30:31], s[28:29]
	; wave barrier
	s_and_saveexec_b64 s[28:29], s[30:31]
	s_cbranch_execz .LBB175_12
; %bb.11:                               ;   in Loop: Header=BB175_4 Depth=2
	v_bcnt_u32_b32 v1, v1, 0
	v_bcnt_u32_b32 v1, v2, v1
	s_waitcnt lgkmcnt(0)
	v_add_u32_e32 v1, v13, v1
	ds_write_b32 v14, v1 offset:16
.LBB175_12:                             ;   in Loop: Header=BB175_4 Depth=2
	s_or_b64 exec, exec, s[28:29]
	v_lshrrev_b32_e32 v2, s43, v61
	v_lshrrev_b32_e32 v1, s37, v62
	v_and_b32_e32 v2, s44, v2
	v_and_b32_e32 v1, s42, v1
	v_lshlrev_b32_e32 v2, s40, v2
	v_cndmask_b32_e64 v1, 0, v1, s[26:27]
	v_cndmask_b32_e32 v2, 0, v2, vcc
	v_or_b32_e32 v1, v1, v2
	v_lshlrev_b32_e32 v2, 4, v1
	v_add_u32_e32 v17, v78, v2
	v_and_b32_e32 v2, 1, v1
	v_add_co_u32_e64 v3, s[28:29], -1, v2
	v_addc_co_u32_e64 v4, s[28:29], 0, -1, s[28:29]
	v_cmp_ne_u32_e64 s[28:29], 0, v2
	v_lshlrev_b32_e32 v34, 30, v1
	v_xor_b32_e32 v2, s29, v4
	v_xor_b32_e32 v3, s28, v3
	v_cmp_gt_i64_e64 s[28:29], 0, v[33:34]
	v_not_b32_e32 v4, v34
	v_ashrrev_i32_e32 v4, 31, v4
	v_and_b32_e32 v3, exec_lo, v3
	v_xor_b32_e32 v18, s29, v4
	v_xor_b32_e32 v4, s28, v4
	v_lshlrev_b32_e32 v34, 29, v1
	v_and_b32_e32 v3, v3, v4
	v_cmp_gt_i64_e64 s[28:29], 0, v[33:34]
	v_not_b32_e32 v4, v34
	v_and_b32_e32 v2, exec_hi, v2
	v_ashrrev_i32_e32 v4, 31, v4
	v_and_b32_e32 v2, v2, v18
	v_xor_b32_e32 v18, s29, v4
	v_xor_b32_e32 v4, s28, v4
	v_lshlrev_b32_e32 v34, 28, v1
	v_and_b32_e32 v3, v3, v4
	v_cmp_gt_i64_e64 s[28:29], 0, v[33:34]
	v_not_b32_e32 v4, v34
	v_ashrrev_i32_e32 v4, 31, v4
	v_and_b32_e32 v2, v2, v18
	v_xor_b32_e32 v18, s29, v4
	v_xor_b32_e32 v4, s28, v4
	v_lshlrev_b32_e32 v34, 27, v1
	v_and_b32_e32 v3, v3, v4
	v_cmp_gt_i64_e64 s[28:29], 0, v[33:34]
	v_not_b32_e32 v4, v34
	;; [unrolled: 8-line block ×4, first 2 shown]
	v_ashrrev_i32_e32 v4, 31, v4
	v_lshlrev_b32_e32 v34, 24, v1
	v_and_b32_e32 v2, v2, v18
	v_xor_b32_e32 v18, s29, v4
	v_xor_b32_e32 v4, s28, v4
	v_cmp_gt_i64_e64 s[28:29], 0, v[33:34]
	v_not_b32_e32 v1, v34
	v_ashrrev_i32_e32 v1, 31, v1
	v_and_b32_e32 v3, v3, v4
	v_xor_b32_e32 v4, s29, v1
	v_xor_b32_e32 v1, s28, v1
	; wave barrier
	ds_read_b32 v16, v17 offset:16
	v_and_b32_e32 v2, v2, v18
	v_and_b32_e32 v1, v3, v1
	;; [unrolled: 1-line block ×3, first 2 shown]
	v_mbcnt_lo_u32_b32 v3, v1, 0
	v_mbcnt_hi_u32_b32 v18, v2, v3
	v_cmp_ne_u64_e64 s[28:29], 0, v[1:2]
	v_cmp_eq_u32_e64 s[30:31], 0, v18
	s_and_b64 s[30:31], s[30:31], s[28:29]
	; wave barrier
	s_and_saveexec_b64 s[28:29], s[30:31]
	s_cbranch_execz .LBB175_14
; %bb.13:                               ;   in Loop: Header=BB175_4 Depth=2
	v_bcnt_u32_b32 v1, v1, 0
	v_bcnt_u32_b32 v1, v2, v1
	s_waitcnt lgkmcnt(0)
	v_add_u32_e32 v1, v16, v1
	ds_write_b32 v17, v1 offset:16
.LBB175_14:                             ;   in Loop: Header=BB175_4 Depth=2
	s_or_b64 exec, exec, s[28:29]
	v_lshrrev_b32_e32 v2, s43, v59
	v_lshrrev_b32_e32 v1, s37, v60
	v_and_b32_e32 v2, s44, v2
	v_and_b32_e32 v1, s42, v1
	v_lshlrev_b32_e32 v2, s40, v2
	v_cndmask_b32_e64 v1, 0, v1, s[26:27]
	v_cndmask_b32_e32 v2, 0, v2, vcc
	v_or_b32_e32 v1, v1, v2
	v_lshlrev_b32_e32 v2, 4, v1
	v_add_u32_e32 v20, v78, v2
	v_and_b32_e32 v2, 1, v1
	v_add_co_u32_e64 v3, s[28:29], -1, v2
	v_addc_co_u32_e64 v4, s[28:29], 0, -1, s[28:29]
	v_cmp_ne_u32_e64 s[28:29], 0, v2
	v_lshlrev_b32_e32 v34, 30, v1
	v_xor_b32_e32 v2, s29, v4
	v_xor_b32_e32 v3, s28, v3
	v_cmp_gt_i64_e64 s[28:29], 0, v[33:34]
	v_not_b32_e32 v4, v34
	v_ashrrev_i32_e32 v4, 31, v4
	v_and_b32_e32 v3, exec_lo, v3
	v_xor_b32_e32 v21, s29, v4
	v_xor_b32_e32 v4, s28, v4
	v_lshlrev_b32_e32 v34, 29, v1
	v_and_b32_e32 v3, v3, v4
	v_cmp_gt_i64_e64 s[28:29], 0, v[33:34]
	v_not_b32_e32 v4, v34
	v_and_b32_e32 v2, exec_hi, v2
	v_ashrrev_i32_e32 v4, 31, v4
	v_and_b32_e32 v2, v2, v21
	v_xor_b32_e32 v21, s29, v4
	v_xor_b32_e32 v4, s28, v4
	v_lshlrev_b32_e32 v34, 28, v1
	v_and_b32_e32 v3, v3, v4
	v_cmp_gt_i64_e64 s[28:29], 0, v[33:34]
	v_not_b32_e32 v4, v34
	v_ashrrev_i32_e32 v4, 31, v4
	v_and_b32_e32 v2, v2, v21
	v_xor_b32_e32 v21, s29, v4
	v_xor_b32_e32 v4, s28, v4
	v_lshlrev_b32_e32 v34, 27, v1
	v_and_b32_e32 v3, v3, v4
	v_cmp_gt_i64_e64 s[28:29], 0, v[33:34]
	v_not_b32_e32 v4, v34
	;; [unrolled: 8-line block ×4, first 2 shown]
	v_ashrrev_i32_e32 v4, 31, v4
	v_lshlrev_b32_e32 v34, 24, v1
	v_and_b32_e32 v2, v2, v21
	v_xor_b32_e32 v21, s29, v4
	v_xor_b32_e32 v4, s28, v4
	v_cmp_gt_i64_e64 s[28:29], 0, v[33:34]
	v_not_b32_e32 v1, v34
	v_ashrrev_i32_e32 v1, 31, v1
	v_and_b32_e32 v3, v3, v4
	v_xor_b32_e32 v4, s29, v1
	v_xor_b32_e32 v1, s28, v1
	; wave barrier
	ds_read_b32 v19, v20 offset:16
	v_and_b32_e32 v2, v2, v21
	v_and_b32_e32 v1, v3, v1
	;; [unrolled: 1-line block ×3, first 2 shown]
	v_mbcnt_lo_u32_b32 v3, v1, 0
	v_mbcnt_hi_u32_b32 v21, v2, v3
	v_cmp_ne_u64_e64 s[28:29], 0, v[1:2]
	v_cmp_eq_u32_e64 s[30:31], 0, v21
	s_and_b64 s[30:31], s[30:31], s[28:29]
	; wave barrier
	s_and_saveexec_b64 s[28:29], s[30:31]
	s_cbranch_execz .LBB175_16
; %bb.15:                               ;   in Loop: Header=BB175_4 Depth=2
	v_bcnt_u32_b32 v1, v1, 0
	v_bcnt_u32_b32 v1, v2, v1
	s_waitcnt lgkmcnt(0)
	v_add_u32_e32 v1, v19, v1
	ds_write_b32 v20, v1 offset:16
.LBB175_16:                             ;   in Loop: Header=BB175_4 Depth=2
	s_or_b64 exec, exec, s[28:29]
	v_lshrrev_b32_e32 v2, s43, v57
	v_lshrrev_b32_e32 v1, s37, v58
	v_and_b32_e32 v2, s44, v2
	v_and_b32_e32 v1, s42, v1
	v_lshlrev_b32_e32 v2, s40, v2
	v_cndmask_b32_e64 v1, 0, v1, s[26:27]
	v_cndmask_b32_e32 v2, 0, v2, vcc
	v_or_b32_e32 v1, v1, v2
	v_lshlrev_b32_e32 v2, 4, v1
	v_add_u32_e32 v23, v78, v2
	v_and_b32_e32 v2, 1, v1
	v_add_co_u32_e64 v3, s[28:29], -1, v2
	v_addc_co_u32_e64 v4, s[28:29], 0, -1, s[28:29]
	v_cmp_ne_u32_e64 s[28:29], 0, v2
	v_lshlrev_b32_e32 v34, 30, v1
	v_xor_b32_e32 v2, s29, v4
	v_xor_b32_e32 v3, s28, v3
	v_cmp_gt_i64_e64 s[28:29], 0, v[33:34]
	v_not_b32_e32 v4, v34
	v_ashrrev_i32_e32 v4, 31, v4
	v_and_b32_e32 v3, exec_lo, v3
	v_xor_b32_e32 v24, s29, v4
	v_xor_b32_e32 v4, s28, v4
	v_lshlrev_b32_e32 v34, 29, v1
	v_and_b32_e32 v3, v3, v4
	v_cmp_gt_i64_e64 s[28:29], 0, v[33:34]
	v_not_b32_e32 v4, v34
	v_and_b32_e32 v2, exec_hi, v2
	v_ashrrev_i32_e32 v4, 31, v4
	v_and_b32_e32 v2, v2, v24
	v_xor_b32_e32 v24, s29, v4
	v_xor_b32_e32 v4, s28, v4
	v_lshlrev_b32_e32 v34, 28, v1
	v_and_b32_e32 v3, v3, v4
	v_cmp_gt_i64_e64 s[28:29], 0, v[33:34]
	v_not_b32_e32 v4, v34
	v_ashrrev_i32_e32 v4, 31, v4
	v_and_b32_e32 v2, v2, v24
	v_xor_b32_e32 v24, s29, v4
	v_xor_b32_e32 v4, s28, v4
	v_lshlrev_b32_e32 v34, 27, v1
	v_and_b32_e32 v3, v3, v4
	v_cmp_gt_i64_e64 s[28:29], 0, v[33:34]
	v_not_b32_e32 v4, v34
	;; [unrolled: 8-line block ×4, first 2 shown]
	v_ashrrev_i32_e32 v4, 31, v4
	v_lshlrev_b32_e32 v34, 24, v1
	v_and_b32_e32 v2, v2, v24
	v_xor_b32_e32 v24, s29, v4
	v_xor_b32_e32 v4, s28, v4
	v_cmp_gt_i64_e64 s[28:29], 0, v[33:34]
	v_not_b32_e32 v1, v34
	v_ashrrev_i32_e32 v1, 31, v1
	v_and_b32_e32 v3, v3, v4
	v_xor_b32_e32 v4, s29, v1
	v_xor_b32_e32 v1, s28, v1
	; wave barrier
	ds_read_b32 v22, v23 offset:16
	v_and_b32_e32 v2, v2, v24
	v_and_b32_e32 v1, v3, v1
	;; [unrolled: 1-line block ×3, first 2 shown]
	v_mbcnt_lo_u32_b32 v3, v1, 0
	v_mbcnt_hi_u32_b32 v24, v2, v3
	v_cmp_ne_u64_e64 s[28:29], 0, v[1:2]
	v_cmp_eq_u32_e64 s[30:31], 0, v24
	s_and_b64 s[30:31], s[30:31], s[28:29]
	; wave barrier
	s_and_saveexec_b64 s[28:29], s[30:31]
	s_cbranch_execz .LBB175_18
; %bb.17:                               ;   in Loop: Header=BB175_4 Depth=2
	v_bcnt_u32_b32 v1, v1, 0
	v_bcnt_u32_b32 v1, v2, v1
	s_waitcnt lgkmcnt(0)
	v_add_u32_e32 v1, v22, v1
	ds_write_b32 v23, v1 offset:16
.LBB175_18:                             ;   in Loop: Header=BB175_4 Depth=2
	s_or_b64 exec, exec, s[28:29]
	v_lshrrev_b32_e32 v2, s43, v55
	v_lshrrev_b32_e32 v1, s37, v56
	v_and_b32_e32 v2, s44, v2
	v_and_b32_e32 v1, s42, v1
	v_lshlrev_b32_e32 v2, s40, v2
	v_cndmask_b32_e64 v1, 0, v1, s[26:27]
	v_cndmask_b32_e32 v2, 0, v2, vcc
	v_or_b32_e32 v1, v1, v2
	v_lshlrev_b32_e32 v2, 4, v1
	v_add_u32_e32 v26, v78, v2
	v_and_b32_e32 v2, 1, v1
	v_add_co_u32_e32 v3, vcc, -1, v2
	v_addc_co_u32_e64 v4, s[26:27], 0, -1, vcc
	v_cmp_ne_u32_e32 vcc, 0, v2
	v_lshlrev_b32_e32 v34, 30, v1
	v_xor_b32_e32 v2, vcc_hi, v4
	v_xor_b32_e32 v3, vcc_lo, v3
	v_cmp_gt_i64_e32 vcc, 0, v[33:34]
	v_not_b32_e32 v4, v34
	v_ashrrev_i32_e32 v4, 31, v4
	v_and_b32_e32 v3, exec_lo, v3
	v_xor_b32_e32 v27, vcc_hi, v4
	v_xor_b32_e32 v4, vcc_lo, v4
	v_lshlrev_b32_e32 v34, 29, v1
	v_and_b32_e32 v3, v3, v4
	v_cmp_gt_i64_e32 vcc, 0, v[33:34]
	v_not_b32_e32 v4, v34
	v_and_b32_e32 v2, exec_hi, v2
	v_ashrrev_i32_e32 v4, 31, v4
	v_and_b32_e32 v2, v2, v27
	v_xor_b32_e32 v27, vcc_hi, v4
	v_xor_b32_e32 v4, vcc_lo, v4
	v_lshlrev_b32_e32 v34, 28, v1
	v_and_b32_e32 v3, v3, v4
	v_cmp_gt_i64_e32 vcc, 0, v[33:34]
	v_not_b32_e32 v4, v34
	v_ashrrev_i32_e32 v4, 31, v4
	v_and_b32_e32 v2, v2, v27
	v_xor_b32_e32 v27, vcc_hi, v4
	v_xor_b32_e32 v4, vcc_lo, v4
	v_lshlrev_b32_e32 v34, 27, v1
	v_and_b32_e32 v3, v3, v4
	v_cmp_gt_i64_e32 vcc, 0, v[33:34]
	v_not_b32_e32 v4, v34
	;; [unrolled: 8-line block ×4, first 2 shown]
	v_ashrrev_i32_e32 v4, 31, v4
	v_lshlrev_b32_e32 v34, 24, v1
	v_and_b32_e32 v2, v2, v27
	v_xor_b32_e32 v27, vcc_hi, v4
	v_xor_b32_e32 v4, vcc_lo, v4
	v_cmp_gt_i64_e32 vcc, 0, v[33:34]
	v_not_b32_e32 v1, v34
	v_ashrrev_i32_e32 v1, 31, v1
	v_and_b32_e32 v3, v3, v4
	v_xor_b32_e32 v4, vcc_hi, v1
	v_xor_b32_e32 v1, vcc_lo, v1
	; wave barrier
	ds_read_b32 v25, v26 offset:16
	v_and_b32_e32 v2, v2, v27
	v_and_b32_e32 v1, v3, v1
	;; [unrolled: 1-line block ×3, first 2 shown]
	v_mbcnt_lo_u32_b32 v3, v1, 0
	v_mbcnt_hi_u32_b32 v27, v2, v3
	v_cmp_ne_u64_e32 vcc, 0, v[1:2]
	v_cmp_eq_u32_e64 s[26:27], 0, v27
	s_and_b64 s[28:29], s[26:27], vcc
	; wave barrier
	s_and_saveexec_b64 s[26:27], s[28:29]
	s_cbranch_execz .LBB175_20
; %bb.19:                               ;   in Loop: Header=BB175_4 Depth=2
	v_bcnt_u32_b32 v1, v1, 0
	v_bcnt_u32_b32 v1, v2, v1
	s_waitcnt lgkmcnt(0)
	v_add_u32_e32 v1, v25, v1
	ds_write_b32 v26, v1 offset:16
.LBB175_20:                             ;   in Loop: Header=BB175_4 Depth=2
	s_or_b64 exec, exec, s[26:27]
	; wave barrier
	s_waitcnt lgkmcnt(0)
	s_barrier
	ds_read2_b64 v[1:4], v71 offset0:2 offset1:3
	s_waitcnt lgkmcnt(0)
	v_add_u32_e32 v28, v2, v1
	v_add3_u32 v4, v28, v3, v4
	s_nop 1
	v_mov_b32_dpp v28, v4 row_shr:1 row_mask:0xf bank_mask:0xf
	v_cndmask_b32_e64 v28, v28, 0, s[10:11]
	v_add_u32_e32 v4, v28, v4
	s_nop 1
	v_mov_b32_dpp v28, v4 row_shr:2 row_mask:0xf bank_mask:0xf
	v_cndmask_b32_e64 v28, 0, v28, s[12:13]
	v_add_u32_e32 v4, v4, v28
	;; [unrolled: 4-line block ×4, first 2 shown]
	s_nop 1
	v_mov_b32_dpp v28, v4 row_bcast:15 row_mask:0xf bank_mask:0xf
	v_cndmask_b32_e64 v28, v28, 0, s[18:19]
	v_add_u32_e32 v4, v4, v28
	s_nop 1
	v_mov_b32_dpp v28, v4 row_bcast:31 row_mask:0xf bank_mask:0xf
	v_cndmask_b32_e64 v28, 0, v28, s[6:7]
	v_add_u32_e32 v4, v4, v28
	s_and_saveexec_b64 s[26:27], s[20:21]
; %bb.21:                               ;   in Loop: Header=BB175_4 Depth=2
	ds_write_b32 v73, v4
; %bb.22:                               ;   in Loop: Header=BB175_4 Depth=2
	s_or_b64 exec, exec, s[26:27]
	s_waitcnt lgkmcnt(0)
	s_barrier
	s_and_saveexec_b64 s[26:27], s[0:1]
	s_cbranch_execz .LBB175_24
; %bb.23:                               ;   in Loop: Header=BB175_4 Depth=2
	ds_read_b32 v28, v76
	s_waitcnt lgkmcnt(0)
	s_nop 0
	v_mov_b32_dpp v29, v28 row_shr:1 row_mask:0xf bank_mask:0xf
	v_cndmask_b32_e64 v29, v29, 0, s[22:23]
	v_add_u32_e32 v28, v29, v28
	s_nop 1
	v_mov_b32_dpp v29, v28 row_shr:2 row_mask:0xf bank_mask:0xf
	v_cndmask_b32_e64 v29, 0, v29, s[24:25]
	v_add_u32_e32 v28, v28, v29
	ds_write_b32 v76, v28
.LBB175_24:                             ;   in Loop: Header=BB175_4 Depth=2
	s_or_b64 exec, exec, s[26:27]
	v_mov_b32_e32 v28, 0
	s_waitcnt lgkmcnt(0)
	s_barrier
	s_and_saveexec_b64 s[26:27], s[2:3]
; %bb.25:                               ;   in Loop: Header=BB175_4 Depth=2
	ds_read_b32 v28, v77
; %bb.26:                               ;   in Loop: Header=BB175_4 Depth=2
	s_or_b64 exec, exec, s[26:27]
	s_waitcnt lgkmcnt(0)
	v_add_u32_e32 v4, v28, v4
	ds_bpermute_b32 v4, v75, v4
	v_lshlrev_b32_e32 v5, 3, v5
	s_cmp_gt_u32 s37, 55
	s_mov_b64 s[26:27], -1
	s_waitcnt lgkmcnt(0)
	v_cndmask_b32_e64 v4, v4, v28, s[8:9]
	v_cndmask_b32_e64 v28, v4, 0, s[4:5]
	v_add_u32_e32 v29, v28, v1
	v_add_u32_e32 v1, v29, v2
	;; [unrolled: 1-line block ×3, first 2 shown]
	ds_write2_b64 v71, v[28:29], v[1:2] offset0:2 offset1:3
	s_waitcnt lgkmcnt(0)
	s_barrier
	ds_read_b32 v1, v6 offset:16
	ds_read_b32 v2, v8 offset:16
	ds_read_b32 v3, v11 offset:16
	ds_read_b32 v4, v14 offset:16
	ds_read_b32 v6, v17 offset:16
	ds_read_b32 v8, v20 offset:16
	ds_read_b32 v11, v23 offset:16
	ds_read_b32 v14, v26 offset:16
	s_waitcnt lgkmcnt(7)
	v_lshl_add_u32 v34, v1, 3, v5
	v_lshlrev_b32_e32 v1, 3, v9
	v_lshlrev_b32_e32 v5, 3, v7
	s_waitcnt lgkmcnt(6)
	v_lshlrev_b32_e32 v2, 3, v2
	v_add3_u32 v80, v1, v5, v2
	v_lshlrev_b32_e32 v1, 3, v12
	v_lshlrev_b32_e32 v2, 3, v10
	s_waitcnt lgkmcnt(5)
	v_lshlrev_b32_e32 v3, 3, v3
	v_add3_u32 v81, v1, v2, v3
	;; [unrolled: 5-line block ×7, first 2 shown]
                                        ; implicit-def: $vgpr1_vgpr2
                                        ; implicit-def: $vgpr5_vgpr6
                                        ; implicit-def: $vgpr9_vgpr10
                                        ; implicit-def: $vgpr13_vgpr14
                                        ; implicit-def: $vgpr17_vgpr18
                                        ; implicit-def: $vgpr21_vgpr22
                                        ; implicit-def: $vgpr25_vgpr26
                                        ; implicit-def: $vgpr29_vgpr30
	s_cbranch_scc1 .LBB175_3
; %bb.27:                               ;   in Loop: Header=BB175_4 Depth=2
	s_barrier
	ds_write_b64 v34, v[69:70]
	ds_write_b64 v80, v[67:68]
	;; [unrolled: 1-line block ×8, first 2 shown]
	s_waitcnt lgkmcnt(0)
	s_barrier
	ds_read2st64_b64 v[17:20], v74 offset1:1
	ds_read2st64_b64 v[21:24], v74 offset0:2 offset1:3
	ds_read2st64_b64 v[25:28], v74 offset0:4 offset1:5
	;; [unrolled: 1-line block ×3, first 2 shown]
	s_waitcnt lgkmcnt(0)
	s_barrier
	ds_write_b64 v34, v[53:54]
	ds_write_b64 v80, v[51:52]
	;; [unrolled: 1-line block ×8, first 2 shown]
	s_waitcnt lgkmcnt(0)
	s_barrier
	ds_read2st64_b64 v[1:4], v74 offset1:1
	ds_read2st64_b64 v[5:8], v74 offset0:2 offset1:3
	ds_read2st64_b64 v[9:12], v74 offset0:4 offset1:5
	ds_read2st64_b64 v[13:16], v74 offset0:6 offset1:7
	s_add_i32 s36, s36, -8
	s_add_i32 s33, s33, 8
	s_add_i32 s37, s37, 8
	s_mov_b64 s[26:27], 0
	s_waitcnt lgkmcnt(0)
	s_barrier
	s_branch .LBB175_3
.LBB175_28:
	s_add_u32 s0, s38, s34
	s_addc_u32 s1, s39, s35
	v_lshlrev_b32_e32 v0, 3, v0
	s_waitcnt lgkmcnt(3)
	v_add_u32_e32 v13, v17, v13
	v_add_u32_e32 v14, v18, v14
	v_mov_b32_e32 v17, s1
	v_add_co_u32_e32 v18, vcc, s0, v0
	v_add_u32_e32 v15, v19, v15
	v_add_u32_e32 v16, v20, v16
	v_addc_co_u32_e32 v17, vcc, 0, v17, vcc
	global_store_dwordx2 v0, v[13:14], s[0:1]
	global_store_dwordx2 v0, v[15:16], s[0:1] offset:2048
	s_movk_i32 s0, 0x1000
	v_add_co_u32_e32 v13, vcc, s0, v18
	v_addc_co_u32_e32 v14, vcc, 0, v17, vcc
	s_movk_i32 s0, 0x2000
	v_add_co_u32_e32 v15, vcc, s0, v18
	s_waitcnt lgkmcnt(2)
	v_add_u32_e32 v9, v23, v9
	v_add_u32_e32 v10, v24, v10
	s_waitcnt lgkmcnt(1)
	v_add_u32_e32 v5, v25, v5
	v_addc_co_u32_e32 v16, vcc, 0, v17, vcc
	v_add_u32_e32 v11, v21, v11
	v_add_u32_e32 v12, v22, v12
	;; [unrolled: 1-line block ×5, first 2 shown]
	global_store_dwordx2 v[15:16], v[9:10], off offset:-4096
	global_store_dwordx2 v[13:14], v[11:12], off offset:2048
	global_store_dwordx2 v[15:16], v[5:6], off
	global_store_dwordx2 v[15:16], v[7:8], off offset:2048
	v_add_co_u32_e32 v5, vcc, 0x3000, v18
	s_waitcnt lgkmcnt(0)
	v_add_u32_e32 v1, v29, v1
	v_add_u32_e32 v2, v30, v2
	v_addc_co_u32_e32 v6, vcc, 0, v17, vcc
	v_add_u32_e32 v3, v31, v3
	v_add_u32_e32 v4, v32, v4
	global_store_dwordx2 v[5:6], v[1:2], off
	global_store_dwordx2 v[5:6], v[3:4], off offset:2048
	s_endpgm
	.section	.rodata,"a",@progbits
	.p2align	6, 0x0
	.amdhsa_kernel _Z17sort_pairs_kernelI22helper_blocked_blockedN15benchmark_utils11custom_typeIiiEELj256ELj8ELj10EEvPKT0_PS4_
		.amdhsa_group_segment_fixed_size 16384
		.amdhsa_private_segment_fixed_size 0
		.amdhsa_kernarg_size 272
		.amdhsa_user_sgpr_count 6
		.amdhsa_user_sgpr_private_segment_buffer 1
		.amdhsa_user_sgpr_dispatch_ptr 0
		.amdhsa_user_sgpr_queue_ptr 0
		.amdhsa_user_sgpr_kernarg_segment_ptr 1
		.amdhsa_user_sgpr_dispatch_id 0
		.amdhsa_user_sgpr_flat_scratch_init 0
		.amdhsa_user_sgpr_private_segment_size 0
		.amdhsa_uses_dynamic_stack 0
		.amdhsa_system_sgpr_private_segment_wavefront_offset 0
		.amdhsa_system_sgpr_workgroup_id_x 1
		.amdhsa_system_sgpr_workgroup_id_y 0
		.amdhsa_system_sgpr_workgroup_id_z 0
		.amdhsa_system_sgpr_workgroup_info 0
		.amdhsa_system_vgpr_workitem_id 2
		.amdhsa_next_free_vgpr 87
		.amdhsa_next_free_sgpr 98
		.amdhsa_reserve_vcc 1
		.amdhsa_reserve_flat_scratch 0
		.amdhsa_float_round_mode_32 0
		.amdhsa_float_round_mode_16_64 0
		.amdhsa_float_denorm_mode_32 3
		.amdhsa_float_denorm_mode_16_64 3
		.amdhsa_dx10_clamp 1
		.amdhsa_ieee_mode 1
		.amdhsa_fp16_overflow 0
		.amdhsa_exception_fp_ieee_invalid_op 0
		.amdhsa_exception_fp_denorm_src 0
		.amdhsa_exception_fp_ieee_div_zero 0
		.amdhsa_exception_fp_ieee_overflow 0
		.amdhsa_exception_fp_ieee_underflow 0
		.amdhsa_exception_fp_ieee_inexact 0
		.amdhsa_exception_int_div_zero 0
	.end_amdhsa_kernel
	.section	.text._Z17sort_pairs_kernelI22helper_blocked_blockedN15benchmark_utils11custom_typeIiiEELj256ELj8ELj10EEvPKT0_PS4_,"axG",@progbits,_Z17sort_pairs_kernelI22helper_blocked_blockedN15benchmark_utils11custom_typeIiiEELj256ELj8ELj10EEvPKT0_PS4_,comdat
.Lfunc_end175:
	.size	_Z17sort_pairs_kernelI22helper_blocked_blockedN15benchmark_utils11custom_typeIiiEELj256ELj8ELj10EEvPKT0_PS4_, .Lfunc_end175-_Z17sort_pairs_kernelI22helper_blocked_blockedN15benchmark_utils11custom_typeIiiEELj256ELj8ELj10EEvPKT0_PS4_
                                        ; -- End function
	.set _Z17sort_pairs_kernelI22helper_blocked_blockedN15benchmark_utils11custom_typeIiiEELj256ELj8ELj10EEvPKT0_PS4_.num_vgpr, 87
	.set _Z17sort_pairs_kernelI22helper_blocked_blockedN15benchmark_utils11custom_typeIiiEELj256ELj8ELj10EEvPKT0_PS4_.num_agpr, 0
	.set _Z17sort_pairs_kernelI22helper_blocked_blockedN15benchmark_utils11custom_typeIiiEELj256ELj8ELj10EEvPKT0_PS4_.numbered_sgpr, 45
	.set _Z17sort_pairs_kernelI22helper_blocked_blockedN15benchmark_utils11custom_typeIiiEELj256ELj8ELj10EEvPKT0_PS4_.num_named_barrier, 0
	.set _Z17sort_pairs_kernelI22helper_blocked_blockedN15benchmark_utils11custom_typeIiiEELj256ELj8ELj10EEvPKT0_PS4_.private_seg_size, 0
	.set _Z17sort_pairs_kernelI22helper_blocked_blockedN15benchmark_utils11custom_typeIiiEELj256ELj8ELj10EEvPKT0_PS4_.uses_vcc, 1
	.set _Z17sort_pairs_kernelI22helper_blocked_blockedN15benchmark_utils11custom_typeIiiEELj256ELj8ELj10EEvPKT0_PS4_.uses_flat_scratch, 0
	.set _Z17sort_pairs_kernelI22helper_blocked_blockedN15benchmark_utils11custom_typeIiiEELj256ELj8ELj10EEvPKT0_PS4_.has_dyn_sized_stack, 0
	.set _Z17sort_pairs_kernelI22helper_blocked_blockedN15benchmark_utils11custom_typeIiiEELj256ELj8ELj10EEvPKT0_PS4_.has_recursion, 0
	.set _Z17sort_pairs_kernelI22helper_blocked_blockedN15benchmark_utils11custom_typeIiiEELj256ELj8ELj10EEvPKT0_PS4_.has_indirect_call, 0
	.section	.AMDGPU.csdata,"",@progbits
; Kernel info:
; codeLenInByte = 5888
; TotalNumSgprs: 49
; NumVgprs: 87
; ScratchSize: 0
; MemoryBound: 0
; FloatMode: 240
; IeeeMode: 1
; LDSByteSize: 16384 bytes/workgroup (compile time only)
; SGPRBlocks: 12
; VGPRBlocks: 21
; NumSGPRsForWavesPerEU: 102
; NumVGPRsForWavesPerEU: 87
; Occupancy: 2
; WaveLimiterHint : 1
; COMPUTE_PGM_RSRC2:SCRATCH_EN: 0
; COMPUTE_PGM_RSRC2:USER_SGPR: 6
; COMPUTE_PGM_RSRC2:TRAP_HANDLER: 0
; COMPUTE_PGM_RSRC2:TGID_X_EN: 1
; COMPUTE_PGM_RSRC2:TGID_Y_EN: 0
; COMPUTE_PGM_RSRC2:TGID_Z_EN: 0
; COMPUTE_PGM_RSRC2:TIDIG_COMP_CNT: 2
	.section	.text._Z16sort_keys_kernelI22helper_blocked_blockedN15benchmark_utils11custom_typeIiiEELj320ELj1ELj10EEvPKT0_PS4_,"axG",@progbits,_Z16sort_keys_kernelI22helper_blocked_blockedN15benchmark_utils11custom_typeIiiEELj320ELj1ELj10EEvPKT0_PS4_,comdat
	.protected	_Z16sort_keys_kernelI22helper_blocked_blockedN15benchmark_utils11custom_typeIiiEELj320ELj1ELj10EEvPKT0_PS4_ ; -- Begin function _Z16sort_keys_kernelI22helper_blocked_blockedN15benchmark_utils11custom_typeIiiEELj320ELj1ELj10EEvPKT0_PS4_
	.globl	_Z16sort_keys_kernelI22helper_blocked_blockedN15benchmark_utils11custom_typeIiiEELj320ELj1ELj10EEvPKT0_PS4_
	.p2align	8
	.type	_Z16sort_keys_kernelI22helper_blocked_blockedN15benchmark_utils11custom_typeIiiEELj320ELj1ELj10EEvPKT0_PS4_,@function
_Z16sort_keys_kernelI22helper_blocked_blockedN15benchmark_utils11custom_typeIiiEELj320ELj1ELj10EEvPKT0_PS4_: ; @_Z16sort_keys_kernelI22helper_blocked_blockedN15benchmark_utils11custom_typeIiiEELj320ELj1ELj10EEvPKT0_PS4_
; %bb.0:
	s_load_dwordx4 s[28:31], s[4:5], 0x0
	s_load_dword s26, s[4:5], 0x1c
	s_mul_i32 s0, s6, 0x140
	s_mov_b32 s1, 0
	s_lshl_b64 s[34:35], s[0:1], 3
	s_waitcnt lgkmcnt(0)
	s_add_u32 s0, s28, s34
	s_addc_u32 s1, s29, s35
	v_lshlrev_b32_e32 v3, 3, v0
	global_load_dwordx2 v[3:4], v3, s[0:1]
	v_mbcnt_lo_u32_b32 v5, -1, 0
	v_mbcnt_hi_u32_b32 v5, -1, v5
	v_subrev_co_u32_e64 v23, s[6:7], 1, v5
	v_and_b32_e32 v24, 64, v5
	v_lshrrev_b32_e32 v7, 4, v0
	v_cmp_lt_i32_e64 s[24:25], v23, v24
	v_and_b32_e32 v19, 28, v7
	v_cndmask_b32_e64 v7, v23, v5, s[24:25]
	s_lshr_b32 s24, s26, 16
	s_and_b32 s25, s26, 0xffff
	v_mad_u32_u24 v1, v2, s24, v1
	v_mad_u64_u32 v[1:2], s[24:25], v1, s25, v[0:1]
	v_and_b32_e32 v6, 0x1c0, v0
	v_lshlrev_b32_e32 v18, 4, v0
	v_and_b32_e32 v21, 15, v5
	v_lshlrev_b32_e32 v26, 3, v6
	v_min_u32_e32 v6, 0x100, v6
	v_lshlrev_b32_e32 v8, 2, v0
	v_and_b32_e32 v22, 16, v5
	v_cmp_lt_u32_e64 s[4:5], 31, v5
	v_and_b32_e32 v25, 7, v5
	v_mad_i32_i24 v20, v0, -12, v18
	v_cmp_eq_u32_e64 s[8:9], 0, v21
	v_cmp_lt_u32_e64 s[10:11], 1, v21
	v_cmp_lt_u32_e64 s[12:13], 3, v21
	;; [unrolled: 1-line block ×3, first 2 shown]
	v_lshl_add_u32 v21, v5, 3, v26
	v_or_b32_e32 v5, 63, v6
	v_lshrrev_b32_e32 v1, 4, v1
	s_mov_b32 s33, 10
	s_movk_i32 s36, 0xff
	v_mov_b32_e32 v9, 20
	v_mov_b32_e32 v10, 1
	;; [unrolled: 1-line block ×9, first 2 shown]
	v_cmp_gt_u32_e32 vcc, 5, v0
	v_cmp_lt_u32_e64 s[0:1], 63, v0
	v_cmp_eq_u32_e64 s[2:3], 0, v0
	v_cmp_eq_u32_e64 s[16:17], 0, v22
	v_cmp_eq_u32_e64 s[18:19], 0, v25
	v_cmp_lt_u32_e64 s[20:21], 1, v25
	v_cmp_lt_u32_e64 s[22:23], 3, v25
	v_add_u32_e32 v22, v20, v8
	v_add_u32_e32 v23, -4, v19
	v_cmp_eq_u32_e64 s[24:25], v0, v5
	v_lshlrev_b32_e32 v24, 2, v7
	v_and_b32_e32 v25, 0xffffffc, v1
	v_mov_b32_e32 v1, 0
	s_waitcnt vmcnt(0)
	v_xor_b32_e32 v3, 0x80000000, v3
	v_xor_b32_e32 v4, 0x80000000, v4
	s_branch .LBB176_2
.LBB176_1:                              ;   in Loop: Header=BB176_2 Depth=1
	s_or_b64 exec, exec, s[26:27]
	s_waitcnt lgkmcnt(0)
	v_add_u32_e32 v6, v27, v6
	ds_bpermute_b32 v6, v24, v6
	v_lshlrev_b32_e32 v2, 3, v2
	s_add_i32 s33, s33, -1
	s_cmp_eq_u32 s33, 0
	s_waitcnt lgkmcnt(0)
	v_cndmask_b32_e64 v6, v6, v27, s[6:7]
	v_cndmask_b32_e64 v6, v6, 0, s[2:3]
	v_add_u32_e32 v7, v6, v7
	v_add_u32_e32 v8, v7, v8
	;; [unrolled: 1-line block ×3, first 2 shown]
	ds_write2_b32 v18, v6, v7 offset0:5 offset1:6
	ds_write2_b32 v18, v8, v5 offset0:7 offset1:8
	s_waitcnt lgkmcnt(0)
	s_barrier
	ds_read_b32 v5, v26 offset:20
	s_waitcnt lgkmcnt(0)
	s_barrier
	v_lshl_add_u32 v2, v5, 3, v2
	ds_write_b64 v2, v[3:4]
	s_waitcnt lgkmcnt(0)
	s_barrier
	ds_read_b64 v[3:4], v22
	s_cbranch_scc1 .LBB176_66
.LBB176_2:                              ; =>This Inner Loop Header: Depth=1
	s_waitcnt lgkmcnt(0)
	v_and_b32_e32 v2, 1, v4
	v_add_co_u32_e64 v5, s[26:27], -1, v2
	v_addc_co_u32_e64 v6, s[26:27], 0, -1, s[26:27]
	v_cmp_ne_u32_e64 s[26:27], 0, v2
	v_xor_b32_e32 v2, s27, v6
	v_and_b32_e32 v6, exec_hi, v2
	v_lshlrev_b32_e32 v2, 30, v4
	v_xor_b32_e32 v5, s26, v5
	v_cmp_gt_i64_e64 s[26:27], 0, v[1:2]
	v_not_b32_e32 v2, v2
	v_ashrrev_i32_e32 v2, 31, v2
	v_and_b32_e32 v5, exec_lo, v5
	v_xor_b32_e32 v8, s27, v2
	v_xor_b32_e32 v2, s26, v2
	v_and_b32_e32 v5, v5, v2
	v_lshlrev_b32_e32 v2, 29, v4
	v_cmp_gt_i64_e64 s[26:27], 0, v[1:2]
	v_not_b32_e32 v2, v2
	v_ashrrev_i32_e32 v2, 31, v2
	v_and_b32_e32 v6, v6, v8
	v_xor_b32_e32 v8, s27, v2
	v_xor_b32_e32 v2, s26, v2
	v_and_b32_e32 v5, v5, v2
	v_lshlrev_b32_e32 v2, 28, v4
	v_cmp_gt_i64_e64 s[26:27], 0, v[1:2]
	v_not_b32_e32 v2, v2
	v_ashrrev_i32_e32 v2, 31, v2
	v_and_b32_e32 v6, v6, v8
	;; [unrolled: 8-line block ×6, first 2 shown]
	v_xor_b32_e32 v8, s27, v2
	v_xor_b32_e32 v2, s26, v2
	v_and_b32_e32 v5, v5, v2
	v_and_b32_e32 v6, v6, v8
	v_mbcnt_lo_u32_b32 v2, v5, 0
	v_mbcnt_hi_u32_b32 v2, v6, v2
	v_cmp_ne_u64_e64 s[26:27], 0, v[5:6]
	v_mul_u32_u24_sdwa v7, v4, v9 dst_sel:DWORD dst_unused:UNUSED_PAD src0_sel:BYTE_0 src1_sel:DWORD
	v_cmp_eq_u32_e64 s[28:29], 0, v2
	s_and_b64 s[28:29], s[28:29], s[26:27]
	v_add_u32_e32 v26, v25, v7
	ds_write2_b32 v18, v1, v1 offset0:5 offset1:6
	ds_write2_b32 v18, v1, v1 offset0:7 offset1:8
	s_waitcnt lgkmcnt(0)
	s_barrier
	; wave barrier
	s_and_saveexec_b64 s[26:27], s[28:29]
; %bb.3:                                ;   in Loop: Header=BB176_2 Depth=1
	v_bcnt_u32_b32 v5, v5, 0
	v_bcnt_u32_b32 v5, v6, v5
	ds_write_b32 v26, v5 offset:20
; %bb.4:                                ;   in Loop: Header=BB176_2 Depth=1
	s_or_b64 exec, exec, s[26:27]
	; wave barrier
	s_waitcnt lgkmcnt(0)
	s_barrier
	ds_read2_b32 v[7:8], v18 offset0:5 offset1:6
	ds_read2_b32 v[5:6], v18 offset0:7 offset1:8
	s_waitcnt lgkmcnt(1)
	v_add_u32_e32 v27, v8, v7
	s_waitcnt lgkmcnt(0)
	v_add3_u32 v6, v27, v5, v6
	s_nop 1
	v_mov_b32_dpp v27, v6 row_shr:1 row_mask:0xf bank_mask:0xf
	v_cndmask_b32_e64 v27, v27, 0, s[8:9]
	v_add_u32_e32 v6, v27, v6
	s_nop 1
	v_mov_b32_dpp v27, v6 row_shr:2 row_mask:0xf bank_mask:0xf
	v_cndmask_b32_e64 v27, 0, v27, s[10:11]
	v_add_u32_e32 v6, v6, v27
	;; [unrolled: 4-line block ×4, first 2 shown]
	s_nop 1
	v_mov_b32_dpp v27, v6 row_bcast:15 row_mask:0xf bank_mask:0xf
	v_cndmask_b32_e64 v27, v27, 0, s[16:17]
	v_add_u32_e32 v6, v6, v27
	s_nop 1
	v_mov_b32_dpp v27, v6 row_bcast:31 row_mask:0xf bank_mask:0xf
	v_cndmask_b32_e64 v27, 0, v27, s[4:5]
	v_add_u32_e32 v6, v6, v27
	s_and_saveexec_b64 s[26:27], s[24:25]
; %bb.5:                                ;   in Loop: Header=BB176_2 Depth=1
	ds_write_b32 v19, v6
; %bb.6:                                ;   in Loop: Header=BB176_2 Depth=1
	s_or_b64 exec, exec, s[26:27]
	s_waitcnt lgkmcnt(0)
	s_barrier
	s_and_saveexec_b64 s[26:27], vcc
	s_cbranch_execz .LBB176_8
; %bb.7:                                ;   in Loop: Header=BB176_2 Depth=1
	ds_read_b32 v27, v20
	s_waitcnt lgkmcnt(0)
	s_nop 0
	v_mov_b32_dpp v28, v27 row_shr:1 row_mask:0xf bank_mask:0xf
	v_cndmask_b32_e64 v28, v28, 0, s[18:19]
	v_add_u32_e32 v27, v28, v27
	s_nop 1
	v_mov_b32_dpp v28, v27 row_shr:2 row_mask:0xf bank_mask:0xf
	v_cndmask_b32_e64 v28, 0, v28, s[20:21]
	v_add_u32_e32 v27, v27, v28
	;; [unrolled: 4-line block ×3, first 2 shown]
	ds_write_b32 v20, v27
.LBB176_8:                              ;   in Loop: Header=BB176_2 Depth=1
	s_or_b64 exec, exec, s[26:27]
	v_mov_b32_e32 v27, 0
	s_waitcnt lgkmcnt(0)
	s_barrier
	s_and_saveexec_b64 s[26:27], s[0:1]
; %bb.9:                                ;   in Loop: Header=BB176_2 Depth=1
	ds_read_b32 v27, v23
; %bb.10:                               ;   in Loop: Header=BB176_2 Depth=1
	s_or_b64 exec, exec, s[26:27]
	s_waitcnt lgkmcnt(0)
	v_add_u32_e32 v6, v27, v6
	ds_bpermute_b32 v6, v24, v6
	v_lshlrev_b32_e32 v2, 3, v2
	s_waitcnt lgkmcnt(0)
	v_cndmask_b32_e64 v6, v6, v27, s[6:7]
	v_cndmask_b32_e64 v6, v6, 0, s[2:3]
	v_add_u32_e32 v7, v6, v7
	v_add_u32_e32 v8, v7, v8
	;; [unrolled: 1-line block ×3, first 2 shown]
	ds_write2_b32 v18, v6, v7 offset0:5 offset1:6
	ds_write2_b32 v18, v8, v5 offset0:7 offset1:8
	s_waitcnt lgkmcnt(0)
	s_barrier
	ds_read_b32 v5, v26 offset:20
	s_waitcnt lgkmcnt(0)
	s_barrier
	v_lshl_add_u32 v2, v5, 3, v2
	ds_write_b64 v2, v[3:4]
	s_waitcnt lgkmcnt(0)
	s_barrier
	ds_read_b64 v[3:4], v21
	s_waitcnt lgkmcnt(0)
	s_barrier
	ds_write2_b32 v18, v1, v1 offset0:5 offset1:6
	ds_write2_b32 v18, v1, v1 offset0:7 offset1:8
	v_lshrrev_b32_e32 v5, 8, v4
	v_and_b32_e32 v2, 1, v5
	v_add_co_u32_e64 v6, s[26:27], -1, v2
	v_addc_co_u32_e64 v8, s[26:27], 0, -1, s[26:27]
	v_cmp_ne_u32_e64 s[26:27], 0, v2
	v_xor_b32_e32 v2, s27, v8
	v_and_b32_e32 v8, exec_hi, v2
	v_lshlrev_b32_e32 v2, 30, v5
	v_xor_b32_e32 v6, s26, v6
	v_cmp_gt_i64_e64 s[26:27], 0, v[1:2]
	v_not_b32_e32 v2, v2
	v_ashrrev_i32_e32 v2, 31, v2
	v_and_b32_e32 v6, exec_lo, v6
	v_xor_b32_e32 v26, s27, v2
	v_xor_b32_e32 v2, s26, v2
	v_and_b32_e32 v6, v6, v2
	v_lshlrev_b32_e32 v2, 29, v5
	v_cmp_gt_i64_e64 s[26:27], 0, v[1:2]
	v_not_b32_e32 v2, v2
	v_ashrrev_i32_e32 v2, 31, v2
	v_and_b32_e32 v8, v8, v26
	v_xor_b32_e32 v26, s27, v2
	v_xor_b32_e32 v2, s26, v2
	v_and_b32_e32 v6, v6, v2
	v_lshlrev_b32_e32 v2, 28, v5
	v_cmp_gt_i64_e64 s[26:27], 0, v[1:2]
	v_not_b32_e32 v2, v2
	v_ashrrev_i32_e32 v2, 31, v2
	v_and_b32_e32 v8, v8, v26
	;; [unrolled: 8-line block ×5, first 2 shown]
	v_xor_b32_e32 v26, s27, v2
	v_xor_b32_e32 v2, s26, v2
	v_and_b32_e32 v8, v8, v26
	v_and_b32_e32 v26, v6, v2
	v_lshlrev_b32_e32 v2, 24, v5
	v_cmp_gt_i64_e64 s[26:27], 0, v[1:2]
	v_not_b32_e32 v2, v2
	v_ashrrev_i32_e32 v2, 31, v2
	v_mul_u32_u24_sdwa v7, v5, v9 dst_sel:DWORD dst_unused:UNUSED_PAD src0_sel:BYTE_0 src1_sel:DWORD
	v_xor_b32_e32 v5, s27, v2
	v_xor_b32_e32 v2, s26, v2
	v_and_b32_e32 v6, v8, v5
	v_and_b32_e32 v5, v26, v2
	v_mbcnt_lo_u32_b32 v2, v5, 0
	v_mbcnt_hi_u32_b32 v2, v6, v2
	v_cmp_ne_u64_e64 s[26:27], 0, v[5:6]
	v_cmp_eq_u32_e64 s[28:29], 0, v2
	s_and_b64 s[28:29], s[28:29], s[26:27]
	v_add_u32_e32 v26, v25, v7
	s_waitcnt lgkmcnt(0)
	s_barrier
	; wave barrier
	s_and_saveexec_b64 s[26:27], s[28:29]
; %bb.11:                               ;   in Loop: Header=BB176_2 Depth=1
	v_bcnt_u32_b32 v5, v5, 0
	v_bcnt_u32_b32 v5, v6, v5
	ds_write_b32 v26, v5 offset:20
; %bb.12:                               ;   in Loop: Header=BB176_2 Depth=1
	s_or_b64 exec, exec, s[26:27]
	; wave barrier
	s_waitcnt lgkmcnt(0)
	s_barrier
	ds_read2_b32 v[7:8], v18 offset0:5 offset1:6
	ds_read2_b32 v[5:6], v18 offset0:7 offset1:8
	s_waitcnt lgkmcnt(1)
	v_add_u32_e32 v27, v8, v7
	s_waitcnt lgkmcnt(0)
	v_add3_u32 v6, v27, v5, v6
	s_nop 1
	v_mov_b32_dpp v27, v6 row_shr:1 row_mask:0xf bank_mask:0xf
	v_cndmask_b32_e64 v27, v27, 0, s[8:9]
	v_add_u32_e32 v6, v27, v6
	s_nop 1
	v_mov_b32_dpp v27, v6 row_shr:2 row_mask:0xf bank_mask:0xf
	v_cndmask_b32_e64 v27, 0, v27, s[10:11]
	v_add_u32_e32 v6, v6, v27
	s_nop 1
	v_mov_b32_dpp v27, v6 row_shr:4 row_mask:0xf bank_mask:0xf
	v_cndmask_b32_e64 v27, 0, v27, s[12:13]
	v_add_u32_e32 v6, v6, v27
	s_nop 1
	v_mov_b32_dpp v27, v6 row_shr:8 row_mask:0xf bank_mask:0xf
	v_cndmask_b32_e64 v27, 0, v27, s[14:15]
	v_add_u32_e32 v6, v6, v27
	s_nop 1
	v_mov_b32_dpp v27, v6 row_bcast:15 row_mask:0xf bank_mask:0xf
	v_cndmask_b32_e64 v27, v27, 0, s[16:17]
	v_add_u32_e32 v6, v6, v27
	s_nop 1
	v_mov_b32_dpp v27, v6 row_bcast:31 row_mask:0xf bank_mask:0xf
	v_cndmask_b32_e64 v27, 0, v27, s[4:5]
	v_add_u32_e32 v6, v6, v27
	s_and_saveexec_b64 s[26:27], s[24:25]
; %bb.13:                               ;   in Loop: Header=BB176_2 Depth=1
	ds_write_b32 v19, v6
; %bb.14:                               ;   in Loop: Header=BB176_2 Depth=1
	s_or_b64 exec, exec, s[26:27]
	s_waitcnt lgkmcnt(0)
	s_barrier
	s_and_saveexec_b64 s[26:27], vcc
	s_cbranch_execz .LBB176_16
; %bb.15:                               ;   in Loop: Header=BB176_2 Depth=1
	ds_read_b32 v27, v20
	s_waitcnt lgkmcnt(0)
	s_nop 0
	v_mov_b32_dpp v28, v27 row_shr:1 row_mask:0xf bank_mask:0xf
	v_cndmask_b32_e64 v28, v28, 0, s[18:19]
	v_add_u32_e32 v27, v28, v27
	s_nop 1
	v_mov_b32_dpp v28, v27 row_shr:2 row_mask:0xf bank_mask:0xf
	v_cndmask_b32_e64 v28, 0, v28, s[20:21]
	v_add_u32_e32 v27, v27, v28
	;; [unrolled: 4-line block ×3, first 2 shown]
	ds_write_b32 v20, v27
.LBB176_16:                             ;   in Loop: Header=BB176_2 Depth=1
	s_or_b64 exec, exec, s[26:27]
	v_mov_b32_e32 v27, 0
	s_waitcnt lgkmcnt(0)
	s_barrier
	s_and_saveexec_b64 s[26:27], s[0:1]
; %bb.17:                               ;   in Loop: Header=BB176_2 Depth=1
	ds_read_b32 v27, v23
; %bb.18:                               ;   in Loop: Header=BB176_2 Depth=1
	s_or_b64 exec, exec, s[26:27]
	s_waitcnt lgkmcnt(0)
	v_add_u32_e32 v6, v27, v6
	ds_bpermute_b32 v6, v24, v6
	v_lshlrev_b32_e32 v2, 3, v2
	s_waitcnt lgkmcnt(0)
	v_cndmask_b32_e64 v6, v6, v27, s[6:7]
	v_cndmask_b32_e64 v6, v6, 0, s[2:3]
	v_add_u32_e32 v7, v6, v7
	v_add_u32_e32 v8, v7, v8
	;; [unrolled: 1-line block ×3, first 2 shown]
	ds_write2_b32 v18, v6, v7 offset0:5 offset1:6
	ds_write2_b32 v18, v8, v5 offset0:7 offset1:8
	s_waitcnt lgkmcnt(0)
	s_barrier
	ds_read_b32 v5, v26 offset:20
	s_waitcnt lgkmcnt(0)
	s_barrier
	v_lshl_add_u32 v2, v5, 3, v2
	ds_write_b64 v2, v[3:4]
	s_waitcnt lgkmcnt(0)
	s_barrier
	ds_read_b64 v[3:4], v21
	s_waitcnt lgkmcnt(0)
	s_barrier
	ds_write2_b32 v18, v1, v1 offset0:5 offset1:6
	ds_write2_b32 v18, v1, v1 offset0:7 offset1:8
	v_and_b32_sdwa v2, v4, s36 dst_sel:DWORD dst_unused:UNUSED_PAD src0_sel:WORD_1 src1_sel:DWORD
	v_mul_u32_u24_e32 v7, 20, v2
	v_and_b32_sdwa v2, v4, v10 dst_sel:DWORD dst_unused:UNUSED_PAD src0_sel:WORD_1 src1_sel:DWORD
	v_add_co_u32_e64 v5, s[26:27], -1, v2
	v_addc_co_u32_e64 v6, s[26:27], 0, -1, s[26:27]
	v_cmp_ne_u32_e64 s[26:27], 0, v2
	v_xor_b32_e32 v2, s27, v6
	v_and_b32_e32 v6, exec_hi, v2
	v_lshlrev_b32_sdwa v2, v11, v4 dst_sel:DWORD dst_unused:UNUSED_PAD src0_sel:DWORD src1_sel:WORD_1
	v_xor_b32_e32 v5, s26, v5
	v_cmp_gt_i64_e64 s[26:27], 0, v[1:2]
	v_not_b32_e32 v2, v2
	v_ashrrev_i32_e32 v2, 31, v2
	v_and_b32_e32 v5, exec_lo, v5
	v_xor_b32_e32 v8, s27, v2
	v_xor_b32_e32 v2, s26, v2
	v_and_b32_e32 v5, v5, v2
	v_lshlrev_b32_sdwa v2, v12, v4 dst_sel:DWORD dst_unused:UNUSED_PAD src0_sel:DWORD src1_sel:WORD_1
	v_cmp_gt_i64_e64 s[26:27], 0, v[1:2]
	v_not_b32_e32 v2, v2
	v_ashrrev_i32_e32 v2, 31, v2
	v_and_b32_e32 v6, v6, v8
	v_xor_b32_e32 v8, s27, v2
	v_xor_b32_e32 v2, s26, v2
	v_and_b32_e32 v5, v5, v2
	v_lshlrev_b32_sdwa v2, v13, v4 dst_sel:DWORD dst_unused:UNUSED_PAD src0_sel:DWORD src1_sel:WORD_1
	v_cmp_gt_i64_e64 s[26:27], 0, v[1:2]
	v_not_b32_e32 v2, v2
	v_ashrrev_i32_e32 v2, 31, v2
	v_and_b32_e32 v6, v6, v8
	;; [unrolled: 8-line block ×6, first 2 shown]
	v_xor_b32_e32 v8, s27, v2
	v_xor_b32_e32 v2, s26, v2
	v_and_b32_e32 v5, v5, v2
	v_and_b32_e32 v6, v6, v8
	v_mbcnt_lo_u32_b32 v2, v5, 0
	v_mbcnt_hi_u32_b32 v2, v6, v2
	v_cmp_ne_u64_e64 s[26:27], 0, v[5:6]
	v_cmp_eq_u32_e64 s[28:29], 0, v2
	s_and_b64 s[28:29], s[28:29], s[26:27]
	v_add_u32_e32 v26, v25, v7
	s_waitcnt lgkmcnt(0)
	s_barrier
	; wave barrier
	s_and_saveexec_b64 s[26:27], s[28:29]
; %bb.19:                               ;   in Loop: Header=BB176_2 Depth=1
	v_bcnt_u32_b32 v5, v5, 0
	v_bcnt_u32_b32 v5, v6, v5
	ds_write_b32 v26, v5 offset:20
; %bb.20:                               ;   in Loop: Header=BB176_2 Depth=1
	s_or_b64 exec, exec, s[26:27]
	; wave barrier
	s_waitcnt lgkmcnt(0)
	s_barrier
	ds_read2_b32 v[7:8], v18 offset0:5 offset1:6
	ds_read2_b32 v[5:6], v18 offset0:7 offset1:8
	s_waitcnt lgkmcnt(1)
	v_add_u32_e32 v27, v8, v7
	s_waitcnt lgkmcnt(0)
	v_add3_u32 v6, v27, v5, v6
	s_nop 1
	v_mov_b32_dpp v27, v6 row_shr:1 row_mask:0xf bank_mask:0xf
	v_cndmask_b32_e64 v27, v27, 0, s[8:9]
	v_add_u32_e32 v6, v27, v6
	s_nop 1
	v_mov_b32_dpp v27, v6 row_shr:2 row_mask:0xf bank_mask:0xf
	v_cndmask_b32_e64 v27, 0, v27, s[10:11]
	v_add_u32_e32 v6, v6, v27
	;; [unrolled: 4-line block ×4, first 2 shown]
	s_nop 1
	v_mov_b32_dpp v27, v6 row_bcast:15 row_mask:0xf bank_mask:0xf
	v_cndmask_b32_e64 v27, v27, 0, s[16:17]
	v_add_u32_e32 v6, v6, v27
	s_nop 1
	v_mov_b32_dpp v27, v6 row_bcast:31 row_mask:0xf bank_mask:0xf
	v_cndmask_b32_e64 v27, 0, v27, s[4:5]
	v_add_u32_e32 v6, v6, v27
	s_and_saveexec_b64 s[26:27], s[24:25]
; %bb.21:                               ;   in Loop: Header=BB176_2 Depth=1
	ds_write_b32 v19, v6
; %bb.22:                               ;   in Loop: Header=BB176_2 Depth=1
	s_or_b64 exec, exec, s[26:27]
	s_waitcnt lgkmcnt(0)
	s_barrier
	s_and_saveexec_b64 s[26:27], vcc
	s_cbranch_execz .LBB176_24
; %bb.23:                               ;   in Loop: Header=BB176_2 Depth=1
	ds_read_b32 v27, v20
	s_waitcnt lgkmcnt(0)
	s_nop 0
	v_mov_b32_dpp v28, v27 row_shr:1 row_mask:0xf bank_mask:0xf
	v_cndmask_b32_e64 v28, v28, 0, s[18:19]
	v_add_u32_e32 v27, v28, v27
	s_nop 1
	v_mov_b32_dpp v28, v27 row_shr:2 row_mask:0xf bank_mask:0xf
	v_cndmask_b32_e64 v28, 0, v28, s[20:21]
	v_add_u32_e32 v27, v27, v28
	;; [unrolled: 4-line block ×3, first 2 shown]
	ds_write_b32 v20, v27
.LBB176_24:                             ;   in Loop: Header=BB176_2 Depth=1
	s_or_b64 exec, exec, s[26:27]
	v_mov_b32_e32 v27, 0
	s_waitcnt lgkmcnt(0)
	s_barrier
	s_and_saveexec_b64 s[26:27], s[0:1]
; %bb.25:                               ;   in Loop: Header=BB176_2 Depth=1
	ds_read_b32 v27, v23
; %bb.26:                               ;   in Loop: Header=BB176_2 Depth=1
	s_or_b64 exec, exec, s[26:27]
	s_waitcnt lgkmcnt(0)
	v_add_u32_e32 v6, v27, v6
	ds_bpermute_b32 v6, v24, v6
	v_lshlrev_b32_e32 v2, 3, v2
	s_waitcnt lgkmcnt(0)
	v_cndmask_b32_e64 v6, v6, v27, s[6:7]
	v_cndmask_b32_e64 v6, v6, 0, s[2:3]
	v_add_u32_e32 v7, v6, v7
	v_add_u32_e32 v8, v7, v8
	;; [unrolled: 1-line block ×3, first 2 shown]
	ds_write2_b32 v18, v6, v7 offset0:5 offset1:6
	ds_write2_b32 v18, v8, v5 offset0:7 offset1:8
	s_waitcnt lgkmcnt(0)
	s_barrier
	ds_read_b32 v5, v26 offset:20
	s_waitcnt lgkmcnt(0)
	s_barrier
	v_lshl_add_u32 v2, v5, 3, v2
	ds_write_b64 v2, v[3:4]
	s_waitcnt lgkmcnt(0)
	s_barrier
	ds_read_b64 v[3:4], v21
	s_waitcnt lgkmcnt(0)
	s_barrier
	ds_write2_b32 v18, v1, v1 offset0:5 offset1:6
	ds_write2_b32 v18, v1, v1 offset0:7 offset1:8
	v_and_b32_sdwa v2, v4, v10 dst_sel:DWORD dst_unused:UNUSED_PAD src0_sel:BYTE_3 src1_sel:DWORD
	v_add_co_u32_e64 v5, s[26:27], -1, v2
	v_addc_co_u32_e64 v6, s[26:27], 0, -1, s[26:27]
	v_cmp_ne_u32_e64 s[26:27], 0, v2
	v_xor_b32_e32 v2, s27, v6
	v_and_b32_e32 v6, exec_hi, v2
	v_lshlrev_b32_sdwa v2, v11, v4 dst_sel:DWORD dst_unused:UNUSED_PAD src0_sel:DWORD src1_sel:BYTE_3
	v_xor_b32_e32 v5, s26, v5
	v_cmp_gt_i64_e64 s[26:27], 0, v[1:2]
	v_not_b32_e32 v2, v2
	v_ashrrev_i32_e32 v2, 31, v2
	v_and_b32_e32 v5, exec_lo, v5
	v_xor_b32_e32 v8, s27, v2
	v_xor_b32_e32 v2, s26, v2
	v_and_b32_e32 v5, v5, v2
	v_lshlrev_b32_sdwa v2, v12, v4 dst_sel:DWORD dst_unused:UNUSED_PAD src0_sel:DWORD src1_sel:BYTE_3
	v_cmp_gt_i64_e64 s[26:27], 0, v[1:2]
	v_not_b32_e32 v2, v2
	v_ashrrev_i32_e32 v2, 31, v2
	v_and_b32_e32 v6, v6, v8
	v_xor_b32_e32 v8, s27, v2
	v_xor_b32_e32 v2, s26, v2
	v_and_b32_e32 v5, v5, v2
	v_lshlrev_b32_sdwa v2, v13, v4 dst_sel:DWORD dst_unused:UNUSED_PAD src0_sel:DWORD src1_sel:BYTE_3
	v_cmp_gt_i64_e64 s[26:27], 0, v[1:2]
	v_not_b32_e32 v2, v2
	v_ashrrev_i32_e32 v2, 31, v2
	v_and_b32_e32 v6, v6, v8
	;; [unrolled: 8-line block ×6, first 2 shown]
	v_xor_b32_e32 v8, s27, v2
	v_xor_b32_e32 v2, s26, v2
	v_and_b32_e32 v5, v5, v2
	v_and_b32_e32 v6, v6, v8
	v_mbcnt_lo_u32_b32 v2, v5, 0
	v_mbcnt_hi_u32_b32 v2, v6, v2
	v_cmp_ne_u64_e64 s[26:27], 0, v[5:6]
	v_mul_u32_u24_sdwa v7, v4, v9 dst_sel:DWORD dst_unused:UNUSED_PAD src0_sel:BYTE_3 src1_sel:DWORD
	v_cmp_eq_u32_e64 s[28:29], 0, v2
	s_and_b64 s[28:29], s[28:29], s[26:27]
	v_add_u32_e32 v26, v25, v7
	s_waitcnt lgkmcnt(0)
	s_barrier
	; wave barrier
	s_and_saveexec_b64 s[26:27], s[28:29]
; %bb.27:                               ;   in Loop: Header=BB176_2 Depth=1
	v_bcnt_u32_b32 v5, v5, 0
	v_bcnt_u32_b32 v5, v6, v5
	ds_write_b32 v26, v5 offset:20
; %bb.28:                               ;   in Loop: Header=BB176_2 Depth=1
	s_or_b64 exec, exec, s[26:27]
	; wave barrier
	s_waitcnt lgkmcnt(0)
	s_barrier
	ds_read2_b32 v[7:8], v18 offset0:5 offset1:6
	ds_read2_b32 v[5:6], v18 offset0:7 offset1:8
	s_waitcnt lgkmcnt(1)
	v_add_u32_e32 v27, v8, v7
	s_waitcnt lgkmcnt(0)
	v_add3_u32 v6, v27, v5, v6
	s_nop 1
	v_mov_b32_dpp v27, v6 row_shr:1 row_mask:0xf bank_mask:0xf
	v_cndmask_b32_e64 v27, v27, 0, s[8:9]
	v_add_u32_e32 v6, v27, v6
	s_nop 1
	v_mov_b32_dpp v27, v6 row_shr:2 row_mask:0xf bank_mask:0xf
	v_cndmask_b32_e64 v27, 0, v27, s[10:11]
	v_add_u32_e32 v6, v6, v27
	;; [unrolled: 4-line block ×4, first 2 shown]
	s_nop 1
	v_mov_b32_dpp v27, v6 row_bcast:15 row_mask:0xf bank_mask:0xf
	v_cndmask_b32_e64 v27, v27, 0, s[16:17]
	v_add_u32_e32 v6, v6, v27
	s_nop 1
	v_mov_b32_dpp v27, v6 row_bcast:31 row_mask:0xf bank_mask:0xf
	v_cndmask_b32_e64 v27, 0, v27, s[4:5]
	v_add_u32_e32 v6, v6, v27
	s_and_saveexec_b64 s[26:27], s[24:25]
; %bb.29:                               ;   in Loop: Header=BB176_2 Depth=1
	ds_write_b32 v19, v6
; %bb.30:                               ;   in Loop: Header=BB176_2 Depth=1
	s_or_b64 exec, exec, s[26:27]
	s_waitcnt lgkmcnt(0)
	s_barrier
	s_and_saveexec_b64 s[26:27], vcc
	s_cbranch_execz .LBB176_32
; %bb.31:                               ;   in Loop: Header=BB176_2 Depth=1
	ds_read_b32 v27, v20
	s_waitcnt lgkmcnt(0)
	s_nop 0
	v_mov_b32_dpp v28, v27 row_shr:1 row_mask:0xf bank_mask:0xf
	v_cndmask_b32_e64 v28, v28, 0, s[18:19]
	v_add_u32_e32 v27, v28, v27
	s_nop 1
	v_mov_b32_dpp v28, v27 row_shr:2 row_mask:0xf bank_mask:0xf
	v_cndmask_b32_e64 v28, 0, v28, s[20:21]
	v_add_u32_e32 v27, v27, v28
	;; [unrolled: 4-line block ×3, first 2 shown]
	ds_write_b32 v20, v27
.LBB176_32:                             ;   in Loop: Header=BB176_2 Depth=1
	s_or_b64 exec, exec, s[26:27]
	v_mov_b32_e32 v27, 0
	s_waitcnt lgkmcnt(0)
	s_barrier
	s_and_saveexec_b64 s[26:27], s[0:1]
; %bb.33:                               ;   in Loop: Header=BB176_2 Depth=1
	ds_read_b32 v27, v23
; %bb.34:                               ;   in Loop: Header=BB176_2 Depth=1
	s_or_b64 exec, exec, s[26:27]
	s_waitcnt lgkmcnt(0)
	v_add_u32_e32 v6, v27, v6
	ds_bpermute_b32 v6, v24, v6
	v_lshlrev_b32_e32 v2, 3, v2
	s_waitcnt lgkmcnt(0)
	v_cndmask_b32_e64 v6, v6, v27, s[6:7]
	v_cndmask_b32_e64 v6, v6, 0, s[2:3]
	v_add_u32_e32 v7, v6, v7
	v_add_u32_e32 v8, v7, v8
	;; [unrolled: 1-line block ×3, first 2 shown]
	ds_write2_b32 v18, v6, v7 offset0:5 offset1:6
	ds_write2_b32 v18, v8, v5 offset0:7 offset1:8
	s_waitcnt lgkmcnt(0)
	s_barrier
	ds_read_b32 v5, v26 offset:20
	s_waitcnt lgkmcnt(0)
	s_barrier
	v_lshl_add_u32 v2, v5, 3, v2
	ds_write_b64 v2, v[3:4]
	s_waitcnt lgkmcnt(0)
	s_barrier
	ds_read_b64 v[3:4], v21
	s_waitcnt lgkmcnt(0)
	s_barrier
	ds_write2_b32 v18, v1, v1 offset0:5 offset1:6
	ds_write2_b32 v18, v1, v1 offset0:7 offset1:8
	v_and_b32_e32 v2, 1, v3
	v_add_co_u32_e64 v5, s[26:27], -1, v2
	v_addc_co_u32_e64 v6, s[26:27], 0, -1, s[26:27]
	v_cmp_ne_u32_e64 s[26:27], 0, v2
	v_xor_b32_e32 v2, s27, v6
	v_and_b32_e32 v6, exec_hi, v2
	v_lshlrev_b32_e32 v2, 30, v3
	v_xor_b32_e32 v5, s26, v5
	v_cmp_gt_i64_e64 s[26:27], 0, v[1:2]
	v_not_b32_e32 v2, v2
	v_ashrrev_i32_e32 v2, 31, v2
	v_and_b32_e32 v5, exec_lo, v5
	v_xor_b32_e32 v8, s27, v2
	v_xor_b32_e32 v2, s26, v2
	v_and_b32_e32 v5, v5, v2
	v_lshlrev_b32_e32 v2, 29, v3
	v_cmp_gt_i64_e64 s[26:27], 0, v[1:2]
	v_not_b32_e32 v2, v2
	v_ashrrev_i32_e32 v2, 31, v2
	v_and_b32_e32 v6, v6, v8
	v_xor_b32_e32 v8, s27, v2
	v_xor_b32_e32 v2, s26, v2
	v_and_b32_e32 v5, v5, v2
	v_lshlrev_b32_e32 v2, 28, v3
	v_cmp_gt_i64_e64 s[26:27], 0, v[1:2]
	v_not_b32_e32 v2, v2
	v_ashrrev_i32_e32 v2, 31, v2
	v_and_b32_e32 v6, v6, v8
	;; [unrolled: 8-line block ×6, first 2 shown]
	v_xor_b32_e32 v8, s27, v2
	v_xor_b32_e32 v2, s26, v2
	v_and_b32_e32 v5, v5, v2
	v_and_b32_e32 v6, v6, v8
	v_mbcnt_lo_u32_b32 v2, v5, 0
	v_mbcnt_hi_u32_b32 v2, v6, v2
	v_cmp_ne_u64_e64 s[26:27], 0, v[5:6]
	v_mul_u32_u24_sdwa v7, v3, v9 dst_sel:DWORD dst_unused:UNUSED_PAD src0_sel:BYTE_0 src1_sel:DWORD
	v_cmp_eq_u32_e64 s[28:29], 0, v2
	s_and_b64 s[28:29], s[28:29], s[26:27]
	v_add_u32_e32 v26, v25, v7
	s_waitcnt lgkmcnt(0)
	s_barrier
	; wave barrier
	s_and_saveexec_b64 s[26:27], s[28:29]
; %bb.35:                               ;   in Loop: Header=BB176_2 Depth=1
	v_bcnt_u32_b32 v5, v5, 0
	v_bcnt_u32_b32 v5, v6, v5
	ds_write_b32 v26, v5 offset:20
; %bb.36:                               ;   in Loop: Header=BB176_2 Depth=1
	s_or_b64 exec, exec, s[26:27]
	; wave barrier
	s_waitcnt lgkmcnt(0)
	s_barrier
	ds_read2_b32 v[7:8], v18 offset0:5 offset1:6
	ds_read2_b32 v[5:6], v18 offset0:7 offset1:8
	s_waitcnt lgkmcnt(1)
	v_add_u32_e32 v27, v8, v7
	s_waitcnt lgkmcnt(0)
	v_add3_u32 v6, v27, v5, v6
	s_nop 1
	v_mov_b32_dpp v27, v6 row_shr:1 row_mask:0xf bank_mask:0xf
	v_cndmask_b32_e64 v27, v27, 0, s[8:9]
	v_add_u32_e32 v6, v27, v6
	s_nop 1
	v_mov_b32_dpp v27, v6 row_shr:2 row_mask:0xf bank_mask:0xf
	v_cndmask_b32_e64 v27, 0, v27, s[10:11]
	v_add_u32_e32 v6, v6, v27
	;; [unrolled: 4-line block ×4, first 2 shown]
	s_nop 1
	v_mov_b32_dpp v27, v6 row_bcast:15 row_mask:0xf bank_mask:0xf
	v_cndmask_b32_e64 v27, v27, 0, s[16:17]
	v_add_u32_e32 v6, v6, v27
	s_nop 1
	v_mov_b32_dpp v27, v6 row_bcast:31 row_mask:0xf bank_mask:0xf
	v_cndmask_b32_e64 v27, 0, v27, s[4:5]
	v_add_u32_e32 v6, v6, v27
	s_and_saveexec_b64 s[26:27], s[24:25]
; %bb.37:                               ;   in Loop: Header=BB176_2 Depth=1
	ds_write_b32 v19, v6
; %bb.38:                               ;   in Loop: Header=BB176_2 Depth=1
	s_or_b64 exec, exec, s[26:27]
	s_waitcnt lgkmcnt(0)
	s_barrier
	s_and_saveexec_b64 s[26:27], vcc
	s_cbranch_execz .LBB176_40
; %bb.39:                               ;   in Loop: Header=BB176_2 Depth=1
	ds_read_b32 v27, v20
	s_waitcnt lgkmcnt(0)
	s_nop 0
	v_mov_b32_dpp v28, v27 row_shr:1 row_mask:0xf bank_mask:0xf
	v_cndmask_b32_e64 v28, v28, 0, s[18:19]
	v_add_u32_e32 v27, v28, v27
	s_nop 1
	v_mov_b32_dpp v28, v27 row_shr:2 row_mask:0xf bank_mask:0xf
	v_cndmask_b32_e64 v28, 0, v28, s[20:21]
	v_add_u32_e32 v27, v27, v28
	;; [unrolled: 4-line block ×3, first 2 shown]
	ds_write_b32 v20, v27
.LBB176_40:                             ;   in Loop: Header=BB176_2 Depth=1
	s_or_b64 exec, exec, s[26:27]
	v_mov_b32_e32 v27, 0
	s_waitcnt lgkmcnt(0)
	s_barrier
	s_and_saveexec_b64 s[26:27], s[0:1]
; %bb.41:                               ;   in Loop: Header=BB176_2 Depth=1
	ds_read_b32 v27, v23
; %bb.42:                               ;   in Loop: Header=BB176_2 Depth=1
	s_or_b64 exec, exec, s[26:27]
	s_waitcnt lgkmcnt(0)
	v_add_u32_e32 v6, v27, v6
	ds_bpermute_b32 v6, v24, v6
	v_lshlrev_b32_e32 v2, 3, v2
	s_waitcnt lgkmcnt(0)
	v_cndmask_b32_e64 v6, v6, v27, s[6:7]
	v_cndmask_b32_e64 v6, v6, 0, s[2:3]
	v_add_u32_e32 v7, v6, v7
	v_add_u32_e32 v8, v7, v8
	;; [unrolled: 1-line block ×3, first 2 shown]
	ds_write2_b32 v18, v6, v7 offset0:5 offset1:6
	ds_write2_b32 v18, v8, v5 offset0:7 offset1:8
	s_waitcnt lgkmcnt(0)
	s_barrier
	ds_read_b32 v5, v26 offset:20
	s_waitcnt lgkmcnt(0)
	s_barrier
	v_lshl_add_u32 v2, v5, 3, v2
	ds_write_b64 v2, v[3:4]
	s_waitcnt lgkmcnt(0)
	s_barrier
	ds_read_b64 v[3:4], v21
	s_waitcnt lgkmcnt(0)
	s_barrier
	ds_write2_b32 v18, v1, v1 offset0:5 offset1:6
	ds_write2_b32 v18, v1, v1 offset0:7 offset1:8
	v_lshrrev_b32_e32 v5, 8, v3
	v_and_b32_e32 v2, 1, v5
	v_add_co_u32_e64 v6, s[26:27], -1, v2
	v_addc_co_u32_e64 v8, s[26:27], 0, -1, s[26:27]
	v_cmp_ne_u32_e64 s[26:27], 0, v2
	v_xor_b32_e32 v2, s27, v8
	v_and_b32_e32 v8, exec_hi, v2
	v_lshlrev_b32_e32 v2, 30, v5
	v_xor_b32_e32 v6, s26, v6
	v_cmp_gt_i64_e64 s[26:27], 0, v[1:2]
	v_not_b32_e32 v2, v2
	v_ashrrev_i32_e32 v2, 31, v2
	v_and_b32_e32 v6, exec_lo, v6
	v_xor_b32_e32 v26, s27, v2
	v_xor_b32_e32 v2, s26, v2
	v_and_b32_e32 v6, v6, v2
	v_lshlrev_b32_e32 v2, 29, v5
	v_cmp_gt_i64_e64 s[26:27], 0, v[1:2]
	v_not_b32_e32 v2, v2
	v_ashrrev_i32_e32 v2, 31, v2
	v_and_b32_e32 v8, v8, v26
	v_xor_b32_e32 v26, s27, v2
	v_xor_b32_e32 v2, s26, v2
	v_and_b32_e32 v6, v6, v2
	v_lshlrev_b32_e32 v2, 28, v5
	v_cmp_gt_i64_e64 s[26:27], 0, v[1:2]
	v_not_b32_e32 v2, v2
	v_ashrrev_i32_e32 v2, 31, v2
	v_and_b32_e32 v8, v8, v26
	;; [unrolled: 8-line block ×5, first 2 shown]
	v_xor_b32_e32 v26, s27, v2
	v_xor_b32_e32 v2, s26, v2
	v_and_b32_e32 v8, v8, v26
	v_and_b32_e32 v26, v6, v2
	v_lshlrev_b32_e32 v2, 24, v5
	v_cmp_gt_i64_e64 s[26:27], 0, v[1:2]
	v_not_b32_e32 v2, v2
	v_ashrrev_i32_e32 v2, 31, v2
	v_mul_u32_u24_sdwa v7, v5, v9 dst_sel:DWORD dst_unused:UNUSED_PAD src0_sel:BYTE_0 src1_sel:DWORD
	v_xor_b32_e32 v5, s27, v2
	v_xor_b32_e32 v2, s26, v2
	v_and_b32_e32 v6, v8, v5
	v_and_b32_e32 v5, v26, v2
	v_mbcnt_lo_u32_b32 v2, v5, 0
	v_mbcnt_hi_u32_b32 v2, v6, v2
	v_cmp_ne_u64_e64 s[26:27], 0, v[5:6]
	v_cmp_eq_u32_e64 s[28:29], 0, v2
	s_and_b64 s[28:29], s[28:29], s[26:27]
	v_add_u32_e32 v26, v25, v7
	s_waitcnt lgkmcnt(0)
	s_barrier
	; wave barrier
	s_and_saveexec_b64 s[26:27], s[28:29]
; %bb.43:                               ;   in Loop: Header=BB176_2 Depth=1
	v_bcnt_u32_b32 v5, v5, 0
	v_bcnt_u32_b32 v5, v6, v5
	ds_write_b32 v26, v5 offset:20
; %bb.44:                               ;   in Loop: Header=BB176_2 Depth=1
	s_or_b64 exec, exec, s[26:27]
	; wave barrier
	s_waitcnt lgkmcnt(0)
	s_barrier
	ds_read2_b32 v[7:8], v18 offset0:5 offset1:6
	ds_read2_b32 v[5:6], v18 offset0:7 offset1:8
	s_waitcnt lgkmcnt(1)
	v_add_u32_e32 v27, v8, v7
	s_waitcnt lgkmcnt(0)
	v_add3_u32 v6, v27, v5, v6
	s_nop 1
	v_mov_b32_dpp v27, v6 row_shr:1 row_mask:0xf bank_mask:0xf
	v_cndmask_b32_e64 v27, v27, 0, s[8:9]
	v_add_u32_e32 v6, v27, v6
	s_nop 1
	v_mov_b32_dpp v27, v6 row_shr:2 row_mask:0xf bank_mask:0xf
	v_cndmask_b32_e64 v27, 0, v27, s[10:11]
	v_add_u32_e32 v6, v6, v27
	;; [unrolled: 4-line block ×4, first 2 shown]
	s_nop 1
	v_mov_b32_dpp v27, v6 row_bcast:15 row_mask:0xf bank_mask:0xf
	v_cndmask_b32_e64 v27, v27, 0, s[16:17]
	v_add_u32_e32 v6, v6, v27
	s_nop 1
	v_mov_b32_dpp v27, v6 row_bcast:31 row_mask:0xf bank_mask:0xf
	v_cndmask_b32_e64 v27, 0, v27, s[4:5]
	v_add_u32_e32 v6, v6, v27
	s_and_saveexec_b64 s[26:27], s[24:25]
; %bb.45:                               ;   in Loop: Header=BB176_2 Depth=1
	ds_write_b32 v19, v6
; %bb.46:                               ;   in Loop: Header=BB176_2 Depth=1
	s_or_b64 exec, exec, s[26:27]
	s_waitcnt lgkmcnt(0)
	s_barrier
	s_and_saveexec_b64 s[26:27], vcc
	s_cbranch_execz .LBB176_48
; %bb.47:                               ;   in Loop: Header=BB176_2 Depth=1
	ds_read_b32 v27, v20
	s_waitcnt lgkmcnt(0)
	s_nop 0
	v_mov_b32_dpp v28, v27 row_shr:1 row_mask:0xf bank_mask:0xf
	v_cndmask_b32_e64 v28, v28, 0, s[18:19]
	v_add_u32_e32 v27, v28, v27
	s_nop 1
	v_mov_b32_dpp v28, v27 row_shr:2 row_mask:0xf bank_mask:0xf
	v_cndmask_b32_e64 v28, 0, v28, s[20:21]
	v_add_u32_e32 v27, v27, v28
	;; [unrolled: 4-line block ×3, first 2 shown]
	ds_write_b32 v20, v27
.LBB176_48:                             ;   in Loop: Header=BB176_2 Depth=1
	s_or_b64 exec, exec, s[26:27]
	v_mov_b32_e32 v27, 0
	s_waitcnt lgkmcnt(0)
	s_barrier
	s_and_saveexec_b64 s[26:27], s[0:1]
; %bb.49:                               ;   in Loop: Header=BB176_2 Depth=1
	ds_read_b32 v27, v23
; %bb.50:                               ;   in Loop: Header=BB176_2 Depth=1
	s_or_b64 exec, exec, s[26:27]
	s_waitcnt lgkmcnt(0)
	v_add_u32_e32 v6, v27, v6
	ds_bpermute_b32 v6, v24, v6
	v_lshlrev_b32_e32 v2, 3, v2
	s_waitcnt lgkmcnt(0)
	v_cndmask_b32_e64 v6, v6, v27, s[6:7]
	v_cndmask_b32_e64 v6, v6, 0, s[2:3]
	v_add_u32_e32 v7, v6, v7
	v_add_u32_e32 v8, v7, v8
	;; [unrolled: 1-line block ×3, first 2 shown]
	ds_write2_b32 v18, v6, v7 offset0:5 offset1:6
	ds_write2_b32 v18, v8, v5 offset0:7 offset1:8
	s_waitcnt lgkmcnt(0)
	s_barrier
	ds_read_b32 v5, v26 offset:20
	s_waitcnt lgkmcnt(0)
	s_barrier
	v_lshl_add_u32 v2, v5, 3, v2
	ds_write_b64 v2, v[3:4]
	s_waitcnt lgkmcnt(0)
	s_barrier
	ds_read_b64 v[3:4], v21
	s_waitcnt lgkmcnt(0)
	s_barrier
	ds_write2_b32 v18, v1, v1 offset0:5 offset1:6
	ds_write2_b32 v18, v1, v1 offset0:7 offset1:8
	v_and_b32_sdwa v2, v3, s36 dst_sel:DWORD dst_unused:UNUSED_PAD src0_sel:WORD_1 src1_sel:DWORD
	v_mul_u32_u24_e32 v7, 20, v2
	v_and_b32_sdwa v2, v3, v10 dst_sel:DWORD dst_unused:UNUSED_PAD src0_sel:WORD_1 src1_sel:DWORD
	v_add_co_u32_e64 v5, s[26:27], -1, v2
	v_addc_co_u32_e64 v6, s[26:27], 0, -1, s[26:27]
	v_cmp_ne_u32_e64 s[26:27], 0, v2
	v_xor_b32_e32 v2, s27, v6
	v_and_b32_e32 v6, exec_hi, v2
	v_lshlrev_b32_sdwa v2, v11, v3 dst_sel:DWORD dst_unused:UNUSED_PAD src0_sel:DWORD src1_sel:WORD_1
	v_xor_b32_e32 v5, s26, v5
	v_cmp_gt_i64_e64 s[26:27], 0, v[1:2]
	v_not_b32_e32 v2, v2
	v_ashrrev_i32_e32 v2, 31, v2
	v_and_b32_e32 v5, exec_lo, v5
	v_xor_b32_e32 v8, s27, v2
	v_xor_b32_e32 v2, s26, v2
	v_and_b32_e32 v5, v5, v2
	v_lshlrev_b32_sdwa v2, v12, v3 dst_sel:DWORD dst_unused:UNUSED_PAD src0_sel:DWORD src1_sel:WORD_1
	v_cmp_gt_i64_e64 s[26:27], 0, v[1:2]
	v_not_b32_e32 v2, v2
	v_ashrrev_i32_e32 v2, 31, v2
	v_and_b32_e32 v6, v6, v8
	v_xor_b32_e32 v8, s27, v2
	v_xor_b32_e32 v2, s26, v2
	v_and_b32_e32 v5, v5, v2
	v_lshlrev_b32_sdwa v2, v13, v3 dst_sel:DWORD dst_unused:UNUSED_PAD src0_sel:DWORD src1_sel:WORD_1
	v_cmp_gt_i64_e64 s[26:27], 0, v[1:2]
	v_not_b32_e32 v2, v2
	v_ashrrev_i32_e32 v2, 31, v2
	v_and_b32_e32 v6, v6, v8
	v_xor_b32_e32 v8, s27, v2
	v_xor_b32_e32 v2, s26, v2
	v_and_b32_e32 v5, v5, v2
	v_lshlrev_b32_sdwa v2, v14, v3 dst_sel:DWORD dst_unused:UNUSED_PAD src0_sel:DWORD src1_sel:WORD_1
	v_cmp_gt_i64_e64 s[26:27], 0, v[1:2]
	v_not_b32_e32 v2, v2
	v_ashrrev_i32_e32 v2, 31, v2
	v_and_b32_e32 v6, v6, v8
	v_xor_b32_e32 v8, s27, v2
	v_xor_b32_e32 v2, s26, v2
	v_and_b32_e32 v5, v5, v2
	v_lshlrev_b32_sdwa v2, v15, v3 dst_sel:DWORD dst_unused:UNUSED_PAD src0_sel:DWORD src1_sel:WORD_1
	v_cmp_gt_i64_e64 s[26:27], 0, v[1:2]
	v_not_b32_e32 v2, v2
	v_ashrrev_i32_e32 v2, 31, v2
	v_and_b32_e32 v6, v6, v8
	v_xor_b32_e32 v8, s27, v2
	v_xor_b32_e32 v2, s26, v2
	v_and_b32_e32 v5, v5, v2
	v_lshlrev_b32_sdwa v2, v16, v3 dst_sel:DWORD dst_unused:UNUSED_PAD src0_sel:DWORD src1_sel:WORD_1
	v_cmp_gt_i64_e64 s[26:27], 0, v[1:2]
	v_not_b32_e32 v2, v2
	v_ashrrev_i32_e32 v2, 31, v2
	v_and_b32_e32 v6, v6, v8
	v_xor_b32_e32 v8, s27, v2
	v_xor_b32_e32 v2, s26, v2
	v_and_b32_e32 v5, v5, v2
	v_lshlrev_b32_sdwa v2, v17, v3 dst_sel:DWORD dst_unused:UNUSED_PAD src0_sel:DWORD src1_sel:WORD_1
	v_cmp_gt_i64_e64 s[26:27], 0, v[1:2]
	v_not_b32_e32 v2, v2
	v_ashrrev_i32_e32 v2, 31, v2
	v_and_b32_e32 v6, v6, v8
	v_xor_b32_e32 v8, s27, v2
	v_xor_b32_e32 v2, s26, v2
	v_and_b32_e32 v5, v5, v2
	v_and_b32_e32 v6, v6, v8
	v_mbcnt_lo_u32_b32 v2, v5, 0
	v_mbcnt_hi_u32_b32 v2, v6, v2
	v_cmp_ne_u64_e64 s[26:27], 0, v[5:6]
	v_cmp_eq_u32_e64 s[28:29], 0, v2
	s_and_b64 s[28:29], s[28:29], s[26:27]
	v_add_u32_e32 v26, v25, v7
	s_waitcnt lgkmcnt(0)
	s_barrier
	; wave barrier
	s_and_saveexec_b64 s[26:27], s[28:29]
; %bb.51:                               ;   in Loop: Header=BB176_2 Depth=1
	v_bcnt_u32_b32 v5, v5, 0
	v_bcnt_u32_b32 v5, v6, v5
	ds_write_b32 v26, v5 offset:20
; %bb.52:                               ;   in Loop: Header=BB176_2 Depth=1
	s_or_b64 exec, exec, s[26:27]
	; wave barrier
	s_waitcnt lgkmcnt(0)
	s_barrier
	ds_read2_b32 v[7:8], v18 offset0:5 offset1:6
	ds_read2_b32 v[5:6], v18 offset0:7 offset1:8
	s_waitcnt lgkmcnt(1)
	v_add_u32_e32 v27, v8, v7
	s_waitcnt lgkmcnt(0)
	v_add3_u32 v6, v27, v5, v6
	s_nop 1
	v_mov_b32_dpp v27, v6 row_shr:1 row_mask:0xf bank_mask:0xf
	v_cndmask_b32_e64 v27, v27, 0, s[8:9]
	v_add_u32_e32 v6, v27, v6
	s_nop 1
	v_mov_b32_dpp v27, v6 row_shr:2 row_mask:0xf bank_mask:0xf
	v_cndmask_b32_e64 v27, 0, v27, s[10:11]
	v_add_u32_e32 v6, v6, v27
	s_nop 1
	v_mov_b32_dpp v27, v6 row_shr:4 row_mask:0xf bank_mask:0xf
	v_cndmask_b32_e64 v27, 0, v27, s[12:13]
	v_add_u32_e32 v6, v6, v27
	s_nop 1
	v_mov_b32_dpp v27, v6 row_shr:8 row_mask:0xf bank_mask:0xf
	v_cndmask_b32_e64 v27, 0, v27, s[14:15]
	v_add_u32_e32 v6, v6, v27
	s_nop 1
	v_mov_b32_dpp v27, v6 row_bcast:15 row_mask:0xf bank_mask:0xf
	v_cndmask_b32_e64 v27, v27, 0, s[16:17]
	v_add_u32_e32 v6, v6, v27
	s_nop 1
	v_mov_b32_dpp v27, v6 row_bcast:31 row_mask:0xf bank_mask:0xf
	v_cndmask_b32_e64 v27, 0, v27, s[4:5]
	v_add_u32_e32 v6, v6, v27
	s_and_saveexec_b64 s[26:27], s[24:25]
; %bb.53:                               ;   in Loop: Header=BB176_2 Depth=1
	ds_write_b32 v19, v6
; %bb.54:                               ;   in Loop: Header=BB176_2 Depth=1
	s_or_b64 exec, exec, s[26:27]
	s_waitcnt lgkmcnt(0)
	s_barrier
	s_and_saveexec_b64 s[26:27], vcc
	s_cbranch_execz .LBB176_56
; %bb.55:                               ;   in Loop: Header=BB176_2 Depth=1
	ds_read_b32 v27, v20
	s_waitcnt lgkmcnt(0)
	s_nop 0
	v_mov_b32_dpp v28, v27 row_shr:1 row_mask:0xf bank_mask:0xf
	v_cndmask_b32_e64 v28, v28, 0, s[18:19]
	v_add_u32_e32 v27, v28, v27
	s_nop 1
	v_mov_b32_dpp v28, v27 row_shr:2 row_mask:0xf bank_mask:0xf
	v_cndmask_b32_e64 v28, 0, v28, s[20:21]
	v_add_u32_e32 v27, v27, v28
	;; [unrolled: 4-line block ×3, first 2 shown]
	ds_write_b32 v20, v27
.LBB176_56:                             ;   in Loop: Header=BB176_2 Depth=1
	s_or_b64 exec, exec, s[26:27]
	v_mov_b32_e32 v27, 0
	s_waitcnt lgkmcnt(0)
	s_barrier
	s_and_saveexec_b64 s[26:27], s[0:1]
; %bb.57:                               ;   in Loop: Header=BB176_2 Depth=1
	ds_read_b32 v27, v23
; %bb.58:                               ;   in Loop: Header=BB176_2 Depth=1
	s_or_b64 exec, exec, s[26:27]
	s_waitcnt lgkmcnt(0)
	v_add_u32_e32 v6, v27, v6
	ds_bpermute_b32 v6, v24, v6
	v_lshlrev_b32_e32 v2, 3, v2
	s_waitcnt lgkmcnt(0)
	v_cndmask_b32_e64 v6, v6, v27, s[6:7]
	v_cndmask_b32_e64 v6, v6, 0, s[2:3]
	v_add_u32_e32 v7, v6, v7
	v_add_u32_e32 v8, v7, v8
	;; [unrolled: 1-line block ×3, first 2 shown]
	ds_write2_b32 v18, v6, v7 offset0:5 offset1:6
	ds_write2_b32 v18, v8, v5 offset0:7 offset1:8
	s_waitcnt lgkmcnt(0)
	s_barrier
	ds_read_b32 v5, v26 offset:20
	s_waitcnt lgkmcnt(0)
	s_barrier
	v_lshl_add_u32 v2, v5, 3, v2
	ds_write_b64 v2, v[3:4]
	s_waitcnt lgkmcnt(0)
	s_barrier
	ds_read_b64 v[3:4], v21
	s_waitcnt lgkmcnt(0)
	s_barrier
	ds_write2_b32 v18, v1, v1 offset0:5 offset1:6
	ds_write2_b32 v18, v1, v1 offset0:7 offset1:8
	v_and_b32_sdwa v2, v3, v10 dst_sel:DWORD dst_unused:UNUSED_PAD src0_sel:BYTE_3 src1_sel:DWORD
	v_add_co_u32_e64 v5, s[26:27], -1, v2
	v_addc_co_u32_e64 v6, s[26:27], 0, -1, s[26:27]
	v_cmp_ne_u32_e64 s[26:27], 0, v2
	v_xor_b32_e32 v2, s27, v6
	v_and_b32_e32 v6, exec_hi, v2
	v_lshlrev_b32_sdwa v2, v11, v3 dst_sel:DWORD dst_unused:UNUSED_PAD src0_sel:DWORD src1_sel:BYTE_3
	v_xor_b32_e32 v5, s26, v5
	v_cmp_gt_i64_e64 s[26:27], 0, v[1:2]
	v_not_b32_e32 v2, v2
	v_ashrrev_i32_e32 v2, 31, v2
	v_and_b32_e32 v5, exec_lo, v5
	v_xor_b32_e32 v8, s27, v2
	v_xor_b32_e32 v2, s26, v2
	v_and_b32_e32 v5, v5, v2
	v_lshlrev_b32_sdwa v2, v12, v3 dst_sel:DWORD dst_unused:UNUSED_PAD src0_sel:DWORD src1_sel:BYTE_3
	v_cmp_gt_i64_e64 s[26:27], 0, v[1:2]
	v_not_b32_e32 v2, v2
	v_ashrrev_i32_e32 v2, 31, v2
	v_and_b32_e32 v6, v6, v8
	v_xor_b32_e32 v8, s27, v2
	v_xor_b32_e32 v2, s26, v2
	v_and_b32_e32 v5, v5, v2
	v_lshlrev_b32_sdwa v2, v13, v3 dst_sel:DWORD dst_unused:UNUSED_PAD src0_sel:DWORD src1_sel:BYTE_3
	v_cmp_gt_i64_e64 s[26:27], 0, v[1:2]
	v_not_b32_e32 v2, v2
	v_ashrrev_i32_e32 v2, 31, v2
	v_and_b32_e32 v6, v6, v8
	;; [unrolled: 8-line block ×6, first 2 shown]
	v_xor_b32_e32 v8, s27, v2
	v_xor_b32_e32 v2, s26, v2
	v_and_b32_e32 v5, v5, v2
	v_and_b32_e32 v6, v6, v8
	v_mbcnt_lo_u32_b32 v2, v5, 0
	v_mbcnt_hi_u32_b32 v2, v6, v2
	v_cmp_ne_u64_e64 s[26:27], 0, v[5:6]
	v_mul_u32_u24_sdwa v7, v3, v9 dst_sel:DWORD dst_unused:UNUSED_PAD src0_sel:BYTE_3 src1_sel:DWORD
	v_cmp_eq_u32_e64 s[28:29], 0, v2
	s_and_b64 s[28:29], s[28:29], s[26:27]
	v_add_u32_e32 v26, v25, v7
	s_waitcnt lgkmcnt(0)
	s_barrier
	; wave barrier
	s_and_saveexec_b64 s[26:27], s[28:29]
; %bb.59:                               ;   in Loop: Header=BB176_2 Depth=1
	v_bcnt_u32_b32 v5, v5, 0
	v_bcnt_u32_b32 v5, v6, v5
	ds_write_b32 v26, v5 offset:20
; %bb.60:                               ;   in Loop: Header=BB176_2 Depth=1
	s_or_b64 exec, exec, s[26:27]
	; wave barrier
	s_waitcnt lgkmcnt(0)
	s_barrier
	ds_read2_b32 v[7:8], v18 offset0:5 offset1:6
	ds_read2_b32 v[5:6], v18 offset0:7 offset1:8
	s_waitcnt lgkmcnt(1)
	v_add_u32_e32 v27, v8, v7
	s_waitcnt lgkmcnt(0)
	v_add3_u32 v6, v27, v5, v6
	s_nop 1
	v_mov_b32_dpp v27, v6 row_shr:1 row_mask:0xf bank_mask:0xf
	v_cndmask_b32_e64 v27, v27, 0, s[8:9]
	v_add_u32_e32 v6, v27, v6
	s_nop 1
	v_mov_b32_dpp v27, v6 row_shr:2 row_mask:0xf bank_mask:0xf
	v_cndmask_b32_e64 v27, 0, v27, s[10:11]
	v_add_u32_e32 v6, v6, v27
	s_nop 1
	v_mov_b32_dpp v27, v6 row_shr:4 row_mask:0xf bank_mask:0xf
	v_cndmask_b32_e64 v27, 0, v27, s[12:13]
	v_add_u32_e32 v6, v6, v27
	s_nop 1
	v_mov_b32_dpp v27, v6 row_shr:8 row_mask:0xf bank_mask:0xf
	v_cndmask_b32_e64 v27, 0, v27, s[14:15]
	v_add_u32_e32 v6, v6, v27
	s_nop 1
	v_mov_b32_dpp v27, v6 row_bcast:15 row_mask:0xf bank_mask:0xf
	v_cndmask_b32_e64 v27, v27, 0, s[16:17]
	v_add_u32_e32 v6, v6, v27
	s_nop 1
	v_mov_b32_dpp v27, v6 row_bcast:31 row_mask:0xf bank_mask:0xf
	v_cndmask_b32_e64 v27, 0, v27, s[4:5]
	v_add_u32_e32 v6, v6, v27
	s_and_saveexec_b64 s[26:27], s[24:25]
; %bb.61:                               ;   in Loop: Header=BB176_2 Depth=1
	ds_write_b32 v19, v6
; %bb.62:                               ;   in Loop: Header=BB176_2 Depth=1
	s_or_b64 exec, exec, s[26:27]
	s_waitcnt lgkmcnt(0)
	s_barrier
	s_and_saveexec_b64 s[26:27], vcc
	s_cbranch_execz .LBB176_64
; %bb.63:                               ;   in Loop: Header=BB176_2 Depth=1
	ds_read_b32 v27, v20
	s_waitcnt lgkmcnt(0)
	s_nop 0
	v_mov_b32_dpp v28, v27 row_shr:1 row_mask:0xf bank_mask:0xf
	v_cndmask_b32_e64 v28, v28, 0, s[18:19]
	v_add_u32_e32 v27, v28, v27
	s_nop 1
	v_mov_b32_dpp v28, v27 row_shr:2 row_mask:0xf bank_mask:0xf
	v_cndmask_b32_e64 v28, 0, v28, s[20:21]
	v_add_u32_e32 v27, v27, v28
	s_nop 1
	v_mov_b32_dpp v28, v27 row_shr:4 row_mask:0xf bank_mask:0xf
	v_cndmask_b32_e64 v28, 0, v28, s[22:23]
	v_add_u32_e32 v27, v27, v28
	ds_write_b32 v20, v27
.LBB176_64:                             ;   in Loop: Header=BB176_2 Depth=1
	s_or_b64 exec, exec, s[26:27]
	v_mov_b32_e32 v27, 0
	s_waitcnt lgkmcnt(0)
	s_barrier
	s_and_saveexec_b64 s[26:27], s[0:1]
	s_cbranch_execz .LBB176_1
; %bb.65:                               ;   in Loop: Header=BB176_2 Depth=1
	ds_read_b32 v27, v23
	s_branch .LBB176_1
.LBB176_66:
	s_add_u32 s0, s30, s34
	s_waitcnt lgkmcnt(0)
	v_xor_b32_e32 v2, 0x80000000, v4
	v_xor_b32_e32 v1, 0x80000000, v3
	s_addc_u32 s1, s31, s35
	v_lshlrev_b32_e32 v0, 3, v0
	global_store_dwordx2 v0, v[1:2], s[0:1]
	s_endpgm
	.section	.rodata,"a",@progbits
	.p2align	6, 0x0
	.amdhsa_kernel _Z16sort_keys_kernelI22helper_blocked_blockedN15benchmark_utils11custom_typeIiiEELj320ELj1ELj10EEvPKT0_PS4_
		.amdhsa_group_segment_fixed_size 5152
		.amdhsa_private_segment_fixed_size 0
		.amdhsa_kernarg_size 272
		.amdhsa_user_sgpr_count 6
		.amdhsa_user_sgpr_private_segment_buffer 1
		.amdhsa_user_sgpr_dispatch_ptr 0
		.amdhsa_user_sgpr_queue_ptr 0
		.amdhsa_user_sgpr_kernarg_segment_ptr 1
		.amdhsa_user_sgpr_dispatch_id 0
		.amdhsa_user_sgpr_flat_scratch_init 0
		.amdhsa_user_sgpr_private_segment_size 0
		.amdhsa_uses_dynamic_stack 0
		.amdhsa_system_sgpr_private_segment_wavefront_offset 0
		.amdhsa_system_sgpr_workgroup_id_x 1
		.amdhsa_system_sgpr_workgroup_id_y 0
		.amdhsa_system_sgpr_workgroup_id_z 0
		.amdhsa_system_sgpr_workgroup_info 0
		.amdhsa_system_vgpr_workitem_id 2
		.amdhsa_next_free_vgpr 29
		.amdhsa_next_free_sgpr 37
		.amdhsa_reserve_vcc 1
		.amdhsa_reserve_flat_scratch 0
		.amdhsa_float_round_mode_32 0
		.amdhsa_float_round_mode_16_64 0
		.amdhsa_float_denorm_mode_32 3
		.amdhsa_float_denorm_mode_16_64 3
		.amdhsa_dx10_clamp 1
		.amdhsa_ieee_mode 1
		.amdhsa_fp16_overflow 0
		.amdhsa_exception_fp_ieee_invalid_op 0
		.amdhsa_exception_fp_denorm_src 0
		.amdhsa_exception_fp_ieee_div_zero 0
		.amdhsa_exception_fp_ieee_overflow 0
		.amdhsa_exception_fp_ieee_underflow 0
		.amdhsa_exception_fp_ieee_inexact 0
		.amdhsa_exception_int_div_zero 0
	.end_amdhsa_kernel
	.section	.text._Z16sort_keys_kernelI22helper_blocked_blockedN15benchmark_utils11custom_typeIiiEELj320ELj1ELj10EEvPKT0_PS4_,"axG",@progbits,_Z16sort_keys_kernelI22helper_blocked_blockedN15benchmark_utils11custom_typeIiiEELj320ELj1ELj10EEvPKT0_PS4_,comdat
.Lfunc_end176:
	.size	_Z16sort_keys_kernelI22helper_blocked_blockedN15benchmark_utils11custom_typeIiiEELj320ELj1ELj10EEvPKT0_PS4_, .Lfunc_end176-_Z16sort_keys_kernelI22helper_blocked_blockedN15benchmark_utils11custom_typeIiiEELj320ELj1ELj10EEvPKT0_PS4_
                                        ; -- End function
	.set _Z16sort_keys_kernelI22helper_blocked_blockedN15benchmark_utils11custom_typeIiiEELj320ELj1ELj10EEvPKT0_PS4_.num_vgpr, 29
	.set _Z16sort_keys_kernelI22helper_blocked_blockedN15benchmark_utils11custom_typeIiiEELj320ELj1ELj10EEvPKT0_PS4_.num_agpr, 0
	.set _Z16sort_keys_kernelI22helper_blocked_blockedN15benchmark_utils11custom_typeIiiEELj320ELj1ELj10EEvPKT0_PS4_.numbered_sgpr, 37
	.set _Z16sort_keys_kernelI22helper_blocked_blockedN15benchmark_utils11custom_typeIiiEELj320ELj1ELj10EEvPKT0_PS4_.num_named_barrier, 0
	.set _Z16sort_keys_kernelI22helper_blocked_blockedN15benchmark_utils11custom_typeIiiEELj320ELj1ELj10EEvPKT0_PS4_.private_seg_size, 0
	.set _Z16sort_keys_kernelI22helper_blocked_blockedN15benchmark_utils11custom_typeIiiEELj320ELj1ELj10EEvPKT0_PS4_.uses_vcc, 1
	.set _Z16sort_keys_kernelI22helper_blocked_blockedN15benchmark_utils11custom_typeIiiEELj320ELj1ELj10EEvPKT0_PS4_.uses_flat_scratch, 0
	.set _Z16sort_keys_kernelI22helper_blocked_blockedN15benchmark_utils11custom_typeIiiEELj320ELj1ELj10EEvPKT0_PS4_.has_dyn_sized_stack, 0
	.set _Z16sort_keys_kernelI22helper_blocked_blockedN15benchmark_utils11custom_typeIiiEELj320ELj1ELj10EEvPKT0_PS4_.has_recursion, 0
	.set _Z16sort_keys_kernelI22helper_blocked_blockedN15benchmark_utils11custom_typeIiiEELj320ELj1ELj10EEvPKT0_PS4_.has_indirect_call, 0
	.section	.AMDGPU.csdata,"",@progbits
; Kernel info:
; codeLenInByte = 7604
; TotalNumSgprs: 41
; NumVgprs: 29
; ScratchSize: 0
; MemoryBound: 0
; FloatMode: 240
; IeeeMode: 1
; LDSByteSize: 5152 bytes/workgroup (compile time only)
; SGPRBlocks: 5
; VGPRBlocks: 7
; NumSGPRsForWavesPerEU: 41
; NumVGPRsForWavesPerEU: 29
; Occupancy: 8
; WaveLimiterHint : 0
; COMPUTE_PGM_RSRC2:SCRATCH_EN: 0
; COMPUTE_PGM_RSRC2:USER_SGPR: 6
; COMPUTE_PGM_RSRC2:TRAP_HANDLER: 0
; COMPUTE_PGM_RSRC2:TGID_X_EN: 1
; COMPUTE_PGM_RSRC2:TGID_Y_EN: 0
; COMPUTE_PGM_RSRC2:TGID_Z_EN: 0
; COMPUTE_PGM_RSRC2:TIDIG_COMP_CNT: 2
	.section	.text._Z17sort_pairs_kernelI22helper_blocked_blockedN15benchmark_utils11custom_typeIiiEELj320ELj1ELj10EEvPKT0_PS4_,"axG",@progbits,_Z17sort_pairs_kernelI22helper_blocked_blockedN15benchmark_utils11custom_typeIiiEELj320ELj1ELj10EEvPKT0_PS4_,comdat
	.protected	_Z17sort_pairs_kernelI22helper_blocked_blockedN15benchmark_utils11custom_typeIiiEELj320ELj1ELj10EEvPKT0_PS4_ ; -- Begin function _Z17sort_pairs_kernelI22helper_blocked_blockedN15benchmark_utils11custom_typeIiiEELj320ELj1ELj10EEvPKT0_PS4_
	.globl	_Z17sort_pairs_kernelI22helper_blocked_blockedN15benchmark_utils11custom_typeIiiEELj320ELj1ELj10EEvPKT0_PS4_
	.p2align	8
	.type	_Z17sort_pairs_kernelI22helper_blocked_blockedN15benchmark_utils11custom_typeIiiEELj320ELj1ELj10EEvPKT0_PS4_,@function
_Z17sort_pairs_kernelI22helper_blocked_blockedN15benchmark_utils11custom_typeIiiEELj320ELj1ELj10EEvPKT0_PS4_: ; @_Z17sort_pairs_kernelI22helper_blocked_blockedN15benchmark_utils11custom_typeIiiEELj320ELj1ELj10EEvPKT0_PS4_
; %bb.0:
	s_load_dwordx4 s[28:31], s[4:5], 0x0
	s_load_dword s26, s[4:5], 0x1c
	s_mul_i32 s36, s6, 0x140
	s_mov_b32 s37, 0
	s_lshl_b64 s[34:35], s[36:37], 3
	s_waitcnt lgkmcnt(0)
	s_add_u32 s0, s28, s34
	s_addc_u32 s1, s29, s35
	v_lshlrev_b32_e32 v3, 3, v0
	global_load_dwordx2 v[3:4], v3, s[0:1]
	s_lshr_b32 s27, s26, 16
	s_and_b32 s26, s26, 0xffff
	v_mad_u32_u24 v1, v2, s27, v1
	v_mbcnt_lo_u32_b32 v5, -1, 0
	v_mad_u64_u32 v[1:2], s[26:27], v1, s26, v[0:1]
	v_mbcnt_hi_u32_b32 v5, -1, v5
	v_and_b32_e32 v6, 0x1c0, v0
	v_subrev_co_u32_e64 v19, s[8:9], 1, v5
	v_and_b32_e32 v20, 64, v5
	v_lshlrev_b32_e32 v16, 4, v0
	v_lshrrev_b32_e32 v7, 4, v0
	v_lshlrev_b32_e32 v22, 3, v6
	v_min_u32_e32 v6, 0x100, v6
	v_cmp_lt_i32_e32 vcc, v19, v20
	v_lshlrev_b32_e32 v8, 2, v0
	v_and_b32_e32 v9, 15, v5
	v_and_b32_e32 v10, 16, v5
	v_cmp_lt_u32_e64 s[6:7], 31, v5
	v_and_b32_e32 v21, 7, v5
	v_and_b32_e32 v17, 28, v7
	v_mad_i32_i24 v18, v0, -12, v16
	v_cndmask_b32_e32 v7, v19, v5, vcc
	v_lshl_add_u32 v19, v5, 3, v22
	v_or_b32_e32 v5, 63, v6
	v_lshrrev_b32_e32 v1, 4, v1
	s_movk_i32 s33, 0xff
	v_mov_b32_e32 v11, 20
	v_mov_b32_e32 v12, 27
	;; [unrolled: 1-line block ×5, first 2 shown]
	v_cmp_gt_u32_e64 s[0:1], 5, v0
	v_cmp_lt_u32_e64 s[2:3], 63, v0
	v_cmp_eq_u32_e64 s[4:5], 0, v0
	v_cmp_eq_u32_e64 s[10:11], 0, v9
	v_cmp_lt_u32_e64 s[12:13], 1, v9
	v_cmp_lt_u32_e64 s[14:15], 3, v9
	;; [unrolled: 1-line block ×3, first 2 shown]
	v_cmp_eq_u32_e64 s[18:19], 0, v10
	v_cmp_eq_u32_e64 s[20:21], 0, v21
	v_cmp_lt_u32_e64 s[22:23], 1, v21
	v_cmp_lt_u32_e64 s[24:25], 3, v21
	v_add_u32_e32 v20, v18, v8
	v_add_u32_e32 v21, -4, v17
	v_cmp_eq_u32_e64 s[26:27], v0, v5
	v_lshlrev_b32_e32 v22, 2, v7
	v_and_b32_e32 v23, 0xffffffc, v1
	v_mov_b32_e32 v1, 0
	s_waitcnt vmcnt(0)
	v_add_u32_e32 v6, 1, v4
	v_add_u32_e32 v5, 1, v3
	v_xor_b32_e32 v3, 0x80000000, v3
	v_xor_b32_e32 v4, 0x80000000, v4
	s_branch .LBB177_2
.LBB177_1:                              ;   in Loop: Header=BB177_2 Depth=1
	s_barrier
	ds_write_b64 v2, v[9:10]
	s_waitcnt lgkmcnt(0)
	s_barrier
	ds_read_b64 v[3:4], v20
	s_waitcnt lgkmcnt(0)
	s_barrier
	ds_write_b64 v2, v[7:8]
	s_waitcnt lgkmcnt(0)
	s_barrier
	ds_read_b64 v[5:6], v20
	s_add_i32 s37, s37, 1
	s_cmp_eq_u32 s37, 10
	s_cbranch_scc1 .LBB177_38
.LBB177_2:                              ; =>This Loop Header: Depth=1
                                        ;     Child Loop BB177_28 Depth 2
	v_and_b32_e32 v2, 1, v4
	v_add_co_u32_e32 v7, vcc, -1, v2
	v_addc_co_u32_e64 v8, s[28:29], 0, -1, vcc
	v_cmp_ne_u32_e32 vcc, 0, v2
	v_xor_b32_e32 v2, vcc_hi, v8
	v_and_b32_e32 v8, exec_hi, v2
	v_lshlrev_b32_e32 v2, 30, v4
	v_xor_b32_e32 v7, vcc_lo, v7
	v_cmp_gt_i64_e32 vcc, 0, v[1:2]
	v_not_b32_e32 v2, v2
	v_ashrrev_i32_e32 v2, 31, v2
	v_and_b32_e32 v7, exec_lo, v7
	v_xor_b32_e32 v10, vcc_hi, v2
	v_xor_b32_e32 v2, vcc_lo, v2
	v_and_b32_e32 v7, v7, v2
	v_lshlrev_b32_e32 v2, 29, v4
	v_cmp_gt_i64_e32 vcc, 0, v[1:2]
	v_not_b32_e32 v2, v2
	v_ashrrev_i32_e32 v2, 31, v2
	v_and_b32_e32 v8, v8, v10
	v_xor_b32_e32 v10, vcc_hi, v2
	v_xor_b32_e32 v2, vcc_lo, v2
	v_and_b32_e32 v7, v7, v2
	v_lshlrev_b32_e32 v2, 28, v4
	v_cmp_gt_i64_e32 vcc, 0, v[1:2]
	v_not_b32_e32 v2, v2
	v_ashrrev_i32_e32 v2, 31, v2
	v_and_b32_e32 v8, v8, v10
	;; [unrolled: 8-line block ×6, first 2 shown]
	v_xor_b32_e32 v10, vcc_hi, v2
	v_xor_b32_e32 v2, vcc_lo, v2
	v_and_b32_e32 v7, v7, v2
	v_and_b32_e32 v8, v8, v10
	v_mbcnt_lo_u32_b32 v2, v7, 0
	v_mbcnt_hi_u32_b32 v2, v8, v2
	v_cmp_ne_u64_e32 vcc, 0, v[7:8]
	v_mul_u32_u24_sdwa v9, v4, v11 dst_sel:DWORD dst_unused:UNUSED_PAD src0_sel:BYTE_0 src1_sel:DWORD
	v_cmp_eq_u32_e64 s[28:29], 0, v2
	s_and_b64 s[38:39], s[28:29], vcc
	v_add_u32_e32 v24, v23, v9
	ds_write2_b32 v16, v1, v1 offset0:5 offset1:6
	ds_write2_b32 v16, v1, v1 offset0:7 offset1:8
	s_waitcnt lgkmcnt(0)
	s_barrier
	; wave barrier
	s_and_saveexec_b64 s[28:29], s[38:39]
; %bb.3:                                ;   in Loop: Header=BB177_2 Depth=1
	v_bcnt_u32_b32 v7, v7, 0
	v_bcnt_u32_b32 v7, v8, v7
	ds_write_b32 v24, v7 offset:20
; %bb.4:                                ;   in Loop: Header=BB177_2 Depth=1
	s_or_b64 exec, exec, s[28:29]
	; wave barrier
	s_waitcnt lgkmcnt(0)
	s_barrier
	ds_read2_b32 v[9:10], v16 offset0:5 offset1:6
	ds_read2_b32 v[7:8], v16 offset0:7 offset1:8
	s_waitcnt lgkmcnt(1)
	v_add_u32_e32 v25, v10, v9
	s_waitcnt lgkmcnt(0)
	v_add3_u32 v8, v25, v7, v8
	s_nop 1
	v_mov_b32_dpp v25, v8 row_shr:1 row_mask:0xf bank_mask:0xf
	v_cndmask_b32_e64 v25, v25, 0, s[10:11]
	v_add_u32_e32 v8, v25, v8
	s_nop 1
	v_mov_b32_dpp v25, v8 row_shr:2 row_mask:0xf bank_mask:0xf
	v_cndmask_b32_e64 v25, 0, v25, s[12:13]
	v_add_u32_e32 v8, v8, v25
	;; [unrolled: 4-line block ×4, first 2 shown]
	s_nop 1
	v_mov_b32_dpp v25, v8 row_bcast:15 row_mask:0xf bank_mask:0xf
	v_cndmask_b32_e64 v25, v25, 0, s[18:19]
	v_add_u32_e32 v8, v8, v25
	s_nop 1
	v_mov_b32_dpp v25, v8 row_bcast:31 row_mask:0xf bank_mask:0xf
	v_cndmask_b32_e64 v25, 0, v25, s[6:7]
	v_add_u32_e32 v8, v8, v25
	s_and_saveexec_b64 s[28:29], s[26:27]
; %bb.5:                                ;   in Loop: Header=BB177_2 Depth=1
	ds_write_b32 v17, v8
; %bb.6:                                ;   in Loop: Header=BB177_2 Depth=1
	s_or_b64 exec, exec, s[28:29]
	s_waitcnt lgkmcnt(0)
	s_barrier
	s_and_saveexec_b64 s[28:29], s[0:1]
	s_cbranch_execz .LBB177_8
; %bb.7:                                ;   in Loop: Header=BB177_2 Depth=1
	ds_read_b32 v25, v18
	s_waitcnt lgkmcnt(0)
	s_nop 0
	v_mov_b32_dpp v26, v25 row_shr:1 row_mask:0xf bank_mask:0xf
	v_cndmask_b32_e64 v26, v26, 0, s[20:21]
	v_add_u32_e32 v25, v26, v25
	s_nop 1
	v_mov_b32_dpp v26, v25 row_shr:2 row_mask:0xf bank_mask:0xf
	v_cndmask_b32_e64 v26, 0, v26, s[22:23]
	v_add_u32_e32 v25, v25, v26
	;; [unrolled: 4-line block ×3, first 2 shown]
	ds_write_b32 v18, v25
.LBB177_8:                              ;   in Loop: Header=BB177_2 Depth=1
	s_or_b64 exec, exec, s[28:29]
	v_mov_b32_e32 v25, 0
	s_waitcnt lgkmcnt(0)
	s_barrier
	s_and_saveexec_b64 s[28:29], s[2:3]
; %bb.9:                                ;   in Loop: Header=BB177_2 Depth=1
	ds_read_b32 v25, v21
; %bb.10:                               ;   in Loop: Header=BB177_2 Depth=1
	s_or_b64 exec, exec, s[28:29]
	s_waitcnt lgkmcnt(0)
	v_add_u32_e32 v8, v25, v8
	ds_bpermute_b32 v8, v22, v8
	v_lshlrev_b32_e32 v2, 3, v2
	s_waitcnt lgkmcnt(0)
	v_cndmask_b32_e64 v8, v8, v25, s[8:9]
	v_cndmask_b32_e64 v8, v8, 0, s[4:5]
	v_add_u32_e32 v9, v8, v9
	v_add_u32_e32 v10, v9, v10
	;; [unrolled: 1-line block ×3, first 2 shown]
	ds_write2_b32 v16, v8, v9 offset0:5 offset1:6
	ds_write2_b32 v16, v10, v7 offset0:7 offset1:8
	s_waitcnt lgkmcnt(0)
	s_barrier
	ds_read_b32 v7, v24 offset:20
	s_waitcnt lgkmcnt(0)
	s_barrier
	v_lshl_add_u32 v2, v7, 3, v2
	ds_write_b64 v2, v[3:4]
	s_waitcnt lgkmcnt(0)
	s_barrier
	ds_read_b64 v[3:4], v19
	s_waitcnt lgkmcnt(0)
	s_barrier
	ds_write_b64 v2, v[5:6]
	v_lshrrev_b32_e32 v7, 8, v4
	v_and_b32_e32 v2, 1, v7
	v_add_co_u32_e32 v8, vcc, -1, v2
	v_addc_co_u32_e64 v10, s[28:29], 0, -1, vcc
	v_cmp_ne_u32_e32 vcc, 0, v2
	v_xor_b32_e32 v2, vcc_hi, v10
	v_and_b32_e32 v10, exec_hi, v2
	v_lshlrev_b32_e32 v2, 30, v7
	v_xor_b32_e32 v8, vcc_lo, v8
	v_cmp_gt_i64_e32 vcc, 0, v[1:2]
	v_not_b32_e32 v2, v2
	v_ashrrev_i32_e32 v2, 31, v2
	v_and_b32_e32 v8, exec_lo, v8
	v_xor_b32_e32 v24, vcc_hi, v2
	v_xor_b32_e32 v2, vcc_lo, v2
	v_and_b32_e32 v8, v8, v2
	v_lshlrev_b32_e32 v2, 29, v7
	v_cmp_gt_i64_e32 vcc, 0, v[1:2]
	v_not_b32_e32 v2, v2
	v_ashrrev_i32_e32 v2, 31, v2
	v_and_b32_e32 v10, v10, v24
	v_xor_b32_e32 v24, vcc_hi, v2
	v_xor_b32_e32 v2, vcc_lo, v2
	v_and_b32_e32 v8, v8, v2
	v_lshlrev_b32_e32 v2, 28, v7
	v_cmp_gt_i64_e32 vcc, 0, v[1:2]
	v_not_b32_e32 v2, v2
	v_ashrrev_i32_e32 v2, 31, v2
	v_and_b32_e32 v10, v10, v24
	;; [unrolled: 8-line block ×5, first 2 shown]
	v_xor_b32_e32 v24, vcc_hi, v2
	v_xor_b32_e32 v2, vcc_lo, v2
	v_and_b32_e32 v10, v10, v24
	v_and_b32_e32 v24, v8, v2
	v_lshlrev_b32_e32 v2, 24, v7
	v_cmp_gt_i64_e32 vcc, 0, v[1:2]
	v_not_b32_e32 v2, v2
	v_ashrrev_i32_e32 v2, 31, v2
	v_mul_u32_u24_sdwa v9, v7, v11 dst_sel:DWORD dst_unused:UNUSED_PAD src0_sel:BYTE_0 src1_sel:DWORD
	v_xor_b32_e32 v7, vcc_hi, v2
	v_xor_b32_e32 v2, vcc_lo, v2
	s_waitcnt lgkmcnt(0)
	s_barrier
	ds_read_b64 v[5:6], v19
	v_and_b32_e32 v8, v10, v7
	v_and_b32_e32 v7, v24, v2
	v_mbcnt_lo_u32_b32 v2, v7, 0
	v_mbcnt_hi_u32_b32 v2, v8, v2
	v_cmp_ne_u64_e32 vcc, 0, v[7:8]
	v_cmp_eq_u32_e64 s[28:29], 0, v2
	s_and_b64 s[38:39], s[28:29], vcc
	v_add_u32_e32 v24, v23, v9
	s_waitcnt lgkmcnt(0)
	s_barrier
	ds_write2_b32 v16, v1, v1 offset0:5 offset1:6
	ds_write2_b32 v16, v1, v1 offset0:7 offset1:8
	s_waitcnt lgkmcnt(0)
	s_barrier
	; wave barrier
	s_and_saveexec_b64 s[28:29], s[38:39]
; %bb.11:                               ;   in Loop: Header=BB177_2 Depth=1
	v_bcnt_u32_b32 v7, v7, 0
	v_bcnt_u32_b32 v7, v8, v7
	ds_write_b32 v24, v7 offset:20
; %bb.12:                               ;   in Loop: Header=BB177_2 Depth=1
	s_or_b64 exec, exec, s[28:29]
	; wave barrier
	s_waitcnt lgkmcnt(0)
	s_barrier
	ds_read2_b32 v[9:10], v16 offset0:5 offset1:6
	ds_read2_b32 v[7:8], v16 offset0:7 offset1:8
	s_waitcnt lgkmcnt(1)
	v_add_u32_e32 v25, v10, v9
	s_waitcnt lgkmcnt(0)
	v_add3_u32 v8, v25, v7, v8
	s_nop 1
	v_mov_b32_dpp v25, v8 row_shr:1 row_mask:0xf bank_mask:0xf
	v_cndmask_b32_e64 v25, v25, 0, s[10:11]
	v_add_u32_e32 v8, v25, v8
	s_nop 1
	v_mov_b32_dpp v25, v8 row_shr:2 row_mask:0xf bank_mask:0xf
	v_cndmask_b32_e64 v25, 0, v25, s[12:13]
	v_add_u32_e32 v8, v8, v25
	;; [unrolled: 4-line block ×4, first 2 shown]
	s_nop 1
	v_mov_b32_dpp v25, v8 row_bcast:15 row_mask:0xf bank_mask:0xf
	v_cndmask_b32_e64 v25, v25, 0, s[18:19]
	v_add_u32_e32 v8, v8, v25
	s_nop 1
	v_mov_b32_dpp v25, v8 row_bcast:31 row_mask:0xf bank_mask:0xf
	v_cndmask_b32_e64 v25, 0, v25, s[6:7]
	v_add_u32_e32 v8, v8, v25
	s_and_saveexec_b64 s[28:29], s[26:27]
; %bb.13:                               ;   in Loop: Header=BB177_2 Depth=1
	ds_write_b32 v17, v8
; %bb.14:                               ;   in Loop: Header=BB177_2 Depth=1
	s_or_b64 exec, exec, s[28:29]
	s_waitcnt lgkmcnt(0)
	s_barrier
	s_and_saveexec_b64 s[28:29], s[0:1]
	s_cbranch_execz .LBB177_16
; %bb.15:                               ;   in Loop: Header=BB177_2 Depth=1
	ds_read_b32 v25, v18
	s_waitcnt lgkmcnt(0)
	s_nop 0
	v_mov_b32_dpp v26, v25 row_shr:1 row_mask:0xf bank_mask:0xf
	v_cndmask_b32_e64 v26, v26, 0, s[20:21]
	v_add_u32_e32 v25, v26, v25
	s_nop 1
	v_mov_b32_dpp v26, v25 row_shr:2 row_mask:0xf bank_mask:0xf
	v_cndmask_b32_e64 v26, 0, v26, s[22:23]
	v_add_u32_e32 v25, v25, v26
	;; [unrolled: 4-line block ×3, first 2 shown]
	ds_write_b32 v18, v25
.LBB177_16:                             ;   in Loop: Header=BB177_2 Depth=1
	s_or_b64 exec, exec, s[28:29]
	v_mov_b32_e32 v25, 0
	s_waitcnt lgkmcnt(0)
	s_barrier
	s_and_saveexec_b64 s[28:29], s[2:3]
; %bb.17:                               ;   in Loop: Header=BB177_2 Depth=1
	ds_read_b32 v25, v21
; %bb.18:                               ;   in Loop: Header=BB177_2 Depth=1
	s_or_b64 exec, exec, s[28:29]
	s_waitcnt lgkmcnt(0)
	v_add_u32_e32 v8, v25, v8
	ds_bpermute_b32 v8, v22, v8
	v_lshlrev_b32_e32 v2, 3, v2
	s_waitcnt lgkmcnt(0)
	v_cndmask_b32_e64 v8, v8, v25, s[8:9]
	v_cndmask_b32_e64 v8, v8, 0, s[4:5]
	v_add_u32_e32 v9, v8, v9
	v_add_u32_e32 v10, v9, v10
	;; [unrolled: 1-line block ×3, first 2 shown]
	ds_write2_b32 v16, v8, v9 offset0:5 offset1:6
	ds_write2_b32 v16, v10, v7 offset0:7 offset1:8
	s_waitcnt lgkmcnt(0)
	s_barrier
	ds_read_b32 v7, v24 offset:20
	s_waitcnt lgkmcnt(0)
	s_barrier
	v_lshl_add_u32 v2, v7, 3, v2
	ds_write_b64 v2, v[3:4]
	s_waitcnt lgkmcnt(0)
	s_barrier
	ds_read_b64 v[3:4], v19
	s_waitcnt lgkmcnt(0)
	s_barrier
	ds_write_b64 v2, v[5:6]
	v_and_b32_sdwa v2, v4, s33 dst_sel:DWORD dst_unused:UNUSED_PAD src0_sel:WORD_1 src1_sel:DWORD
	v_mul_u32_u24_e32 v9, 20, v2
	v_mov_b32_e32 v2, 1
	v_and_b32_sdwa v2, v4, v2 dst_sel:DWORD dst_unused:UNUSED_PAD src0_sel:WORD_1 src1_sel:DWORD
	v_add_co_u32_e32 v7, vcc, -1, v2
	v_addc_co_u32_e64 v8, s[28:29], 0, -1, vcc
	v_cmp_ne_u32_e32 vcc, 0, v2
	v_xor_b32_e32 v2, vcc_hi, v8
	v_and_b32_e32 v8, exec_hi, v2
	v_mov_b32_e32 v2, 30
	v_lshlrev_b32_sdwa v2, v2, v4 dst_sel:DWORD dst_unused:UNUSED_PAD src0_sel:DWORD src1_sel:WORD_1
	v_xor_b32_e32 v7, vcc_lo, v7
	v_cmp_gt_i64_e32 vcc, 0, v[1:2]
	v_not_b32_e32 v2, v2
	v_ashrrev_i32_e32 v2, 31, v2
	v_and_b32_e32 v7, exec_lo, v7
	v_xor_b32_e32 v10, vcc_hi, v2
	v_xor_b32_e32 v2, vcc_lo, v2
	v_and_b32_e32 v7, v7, v2
	v_mov_b32_e32 v2, 29
	v_lshlrev_b32_sdwa v2, v2, v4 dst_sel:DWORD dst_unused:UNUSED_PAD src0_sel:DWORD src1_sel:WORD_1
	v_cmp_gt_i64_e32 vcc, 0, v[1:2]
	v_not_b32_e32 v2, v2
	v_ashrrev_i32_e32 v2, 31, v2
	v_and_b32_e32 v8, v8, v10
	v_xor_b32_e32 v10, vcc_hi, v2
	v_xor_b32_e32 v2, vcc_lo, v2
	v_and_b32_e32 v7, v7, v2
	v_mov_b32_e32 v2, 28
	v_lshlrev_b32_sdwa v2, v2, v4 dst_sel:DWORD dst_unused:UNUSED_PAD src0_sel:DWORD src1_sel:WORD_1
	v_cmp_gt_i64_e32 vcc, 0, v[1:2]
	v_not_b32_e32 v2, v2
	v_ashrrev_i32_e32 v2, 31, v2
	v_and_b32_e32 v8, v8, v10
	v_xor_b32_e32 v10, vcc_hi, v2
	v_xor_b32_e32 v2, vcc_lo, v2
	v_and_b32_e32 v7, v7, v2
	v_lshlrev_b32_sdwa v2, v12, v4 dst_sel:DWORD dst_unused:UNUSED_PAD src0_sel:DWORD src1_sel:WORD_1
	v_cmp_gt_i64_e32 vcc, 0, v[1:2]
	v_not_b32_e32 v2, v2
	v_ashrrev_i32_e32 v2, 31, v2
	v_and_b32_e32 v8, v8, v10
	v_xor_b32_e32 v10, vcc_hi, v2
	v_xor_b32_e32 v2, vcc_lo, v2
	v_and_b32_e32 v7, v7, v2
	;; [unrolled: 8-line block ×4, first 2 shown]
	v_lshlrev_b32_sdwa v2, v15, v4 dst_sel:DWORD dst_unused:UNUSED_PAD src0_sel:DWORD src1_sel:WORD_1
	v_cmp_gt_i64_e32 vcc, 0, v[1:2]
	v_not_b32_e32 v2, v2
	v_ashrrev_i32_e32 v2, 31, v2
	v_and_b32_e32 v8, v8, v10
	v_xor_b32_e32 v10, vcc_hi, v2
	v_xor_b32_e32 v2, vcc_lo, v2
	s_waitcnt lgkmcnt(0)
	s_barrier
	ds_read_b64 v[5:6], v19
	v_and_b32_e32 v7, v7, v2
	v_and_b32_e32 v8, v8, v10
	v_mbcnt_lo_u32_b32 v2, v7, 0
	v_mbcnt_hi_u32_b32 v2, v8, v2
	v_cmp_ne_u64_e32 vcc, 0, v[7:8]
	v_cmp_eq_u32_e64 s[28:29], 0, v2
	s_and_b64 s[38:39], s[28:29], vcc
	v_add_u32_e32 v24, v23, v9
	s_waitcnt lgkmcnt(0)
	s_barrier
	ds_write2_b32 v16, v1, v1 offset0:5 offset1:6
	ds_write2_b32 v16, v1, v1 offset0:7 offset1:8
	s_waitcnt lgkmcnt(0)
	s_barrier
	; wave barrier
	s_and_saveexec_b64 s[28:29], s[38:39]
; %bb.19:                               ;   in Loop: Header=BB177_2 Depth=1
	v_bcnt_u32_b32 v7, v7, 0
	v_bcnt_u32_b32 v7, v8, v7
	ds_write_b32 v24, v7 offset:20
; %bb.20:                               ;   in Loop: Header=BB177_2 Depth=1
	s_or_b64 exec, exec, s[28:29]
	; wave barrier
	s_waitcnt lgkmcnt(0)
	s_barrier
	ds_read2_b32 v[9:10], v16 offset0:5 offset1:6
	ds_read2_b32 v[7:8], v16 offset0:7 offset1:8
	s_waitcnt lgkmcnt(1)
	v_add_u32_e32 v25, v10, v9
	s_waitcnt lgkmcnt(0)
	v_add3_u32 v8, v25, v7, v8
	s_nop 1
	v_mov_b32_dpp v25, v8 row_shr:1 row_mask:0xf bank_mask:0xf
	v_cndmask_b32_e64 v25, v25, 0, s[10:11]
	v_add_u32_e32 v8, v25, v8
	s_nop 1
	v_mov_b32_dpp v25, v8 row_shr:2 row_mask:0xf bank_mask:0xf
	v_cndmask_b32_e64 v25, 0, v25, s[12:13]
	v_add_u32_e32 v8, v8, v25
	;; [unrolled: 4-line block ×4, first 2 shown]
	s_nop 1
	v_mov_b32_dpp v25, v8 row_bcast:15 row_mask:0xf bank_mask:0xf
	v_cndmask_b32_e64 v25, v25, 0, s[18:19]
	v_add_u32_e32 v8, v8, v25
	s_nop 1
	v_mov_b32_dpp v25, v8 row_bcast:31 row_mask:0xf bank_mask:0xf
	v_cndmask_b32_e64 v25, 0, v25, s[6:7]
	v_add_u32_e32 v8, v8, v25
	s_and_saveexec_b64 s[28:29], s[26:27]
; %bb.21:                               ;   in Loop: Header=BB177_2 Depth=1
	ds_write_b32 v17, v8
; %bb.22:                               ;   in Loop: Header=BB177_2 Depth=1
	s_or_b64 exec, exec, s[28:29]
	s_waitcnt lgkmcnt(0)
	s_barrier
	s_and_saveexec_b64 s[28:29], s[0:1]
	s_cbranch_execz .LBB177_24
; %bb.23:                               ;   in Loop: Header=BB177_2 Depth=1
	ds_read_b32 v25, v18
	s_waitcnt lgkmcnt(0)
	s_nop 0
	v_mov_b32_dpp v26, v25 row_shr:1 row_mask:0xf bank_mask:0xf
	v_cndmask_b32_e64 v26, v26, 0, s[20:21]
	v_add_u32_e32 v25, v26, v25
	s_nop 1
	v_mov_b32_dpp v26, v25 row_shr:2 row_mask:0xf bank_mask:0xf
	v_cndmask_b32_e64 v26, 0, v26, s[22:23]
	v_add_u32_e32 v25, v25, v26
	;; [unrolled: 4-line block ×3, first 2 shown]
	ds_write_b32 v18, v25
.LBB177_24:                             ;   in Loop: Header=BB177_2 Depth=1
	s_or_b64 exec, exec, s[28:29]
	v_mov_b32_e32 v25, 0
	s_waitcnt lgkmcnt(0)
	s_barrier
	s_and_saveexec_b64 s[28:29], s[2:3]
; %bb.25:                               ;   in Loop: Header=BB177_2 Depth=1
	ds_read_b32 v25, v21
; %bb.26:                               ;   in Loop: Header=BB177_2 Depth=1
	s_or_b64 exec, exec, s[28:29]
	s_waitcnt lgkmcnt(0)
	v_add_u32_e32 v8, v25, v8
	ds_bpermute_b32 v8, v22, v8
	v_lshlrev_b32_e32 v2, 3, v2
	s_mov_b32 s36, 24
	s_mov_b32 s38, 8
	s_waitcnt lgkmcnt(0)
	v_cndmask_b32_e64 v8, v8, v25, s[8:9]
	v_cndmask_b32_e64 v8, v8, 0, s[4:5]
	v_add_u32_e32 v9, v8, v9
	v_add_u32_e32 v10, v9, v10
	;; [unrolled: 1-line block ×3, first 2 shown]
	ds_write2_b32 v16, v8, v9 offset0:5 offset1:6
	ds_write2_b32 v16, v10, v7 offset0:7 offset1:8
	s_waitcnt lgkmcnt(0)
	s_barrier
	ds_read_b32 v7, v24 offset:20
	s_waitcnt lgkmcnt(0)
	s_barrier
	v_lshl_add_u32 v2, v7, 3, v2
	ds_write_b64 v2, v[3:4]
	s_waitcnt lgkmcnt(0)
	s_barrier
	ds_read_b64 v[3:4], v19
	s_waitcnt lgkmcnt(0)
	s_barrier
	ds_write_b64 v2, v[5:6]
	s_waitcnt lgkmcnt(0)
	s_barrier
	ds_read_b64 v[5:6], v19
	s_waitcnt lgkmcnt(0)
	s_barrier
	s_branch .LBB177_28
.LBB177_27:                             ;   in Loop: Header=BB177_28 Depth=2
	s_barrier
	ds_write_b64 v2, v[9:10]
	s_waitcnt lgkmcnt(0)
	s_barrier
	ds_read_b64 v[3:4], v19
	s_waitcnt lgkmcnt(0)
	s_barrier
	ds_write_b64 v2, v[7:8]
	s_waitcnt lgkmcnt(0)
	s_barrier
	ds_read_b64 v[5:6], v19
	s_add_i32 s38, s38, -8
	s_add_i32 s36, s36, 8
	s_waitcnt lgkmcnt(0)
	s_barrier
	s_cbranch_execz .LBB177_1
.LBB177_28:                             ;   Parent Loop BB177_2 Depth=1
                                        ; =>  This Inner Loop Header: Depth=2
	s_cmp_lt_u32 s36, 32
	s_cselect_b64 vcc, -1, 0
	s_cmp_gt_u32 s36, 31
	s_cselect_b64 s[28:29], -1, 0
	s_max_i32 s39, s38, 0
	s_max_i32 s40, s36, 32
	s_sub_i32 s41, s40, 32
	s_sub_i32 s40, s40, s39
	;; [unrolled: 1-line block ×3, first 2 shown]
	s_min_i32 s40, s40, 32
	s_sub_i32 s40, s40, s41
	s_lshl_b32 s42, -1, s40
	s_not_b32 s42, s42
	s_cmp_lg_u32 s40, 32
	s_cselect_b32 s40, s42, -1
	v_lshrrev_b32_e32 v7, s41, v3
	v_lshrrev_b32_e32 v2, s36, v4
	v_and_b32_e32 v7, s40, v7
	v_bfe_u32 v2, v2, 0, s38
	v_lshlrev_b32_e32 v7, s39, v7
	v_cndmask_b32_e32 v2, 0, v2, vcc
	v_cndmask_b32_e64 v7, 0, v7, s[28:29]
	v_or_b32_e32 v7, v2, v7
	v_and_b32_e32 v2, 1, v7
	v_add_co_u32_e32 v8, vcc, -1, v2
	v_addc_co_u32_e64 v10, s[28:29], 0, -1, vcc
	v_cmp_ne_u32_e32 vcc, 0, v2
	v_xor_b32_e32 v2, vcc_hi, v10
	v_and_b32_e32 v10, exec_hi, v2
	v_lshlrev_b32_e32 v2, 30, v7
	v_xor_b32_e32 v8, vcc_lo, v8
	v_cmp_gt_i64_e32 vcc, 0, v[1:2]
	v_not_b32_e32 v2, v2
	v_ashrrev_i32_e32 v2, 31, v2
	v_and_b32_e32 v8, exec_lo, v8
	v_xor_b32_e32 v24, vcc_hi, v2
	v_xor_b32_e32 v2, vcc_lo, v2
	v_and_b32_e32 v8, v8, v2
	v_lshlrev_b32_e32 v2, 29, v7
	v_cmp_gt_i64_e32 vcc, 0, v[1:2]
	v_not_b32_e32 v2, v2
	v_ashrrev_i32_e32 v2, 31, v2
	v_and_b32_e32 v10, v10, v24
	v_xor_b32_e32 v24, vcc_hi, v2
	v_xor_b32_e32 v2, vcc_lo, v2
	v_and_b32_e32 v8, v8, v2
	v_lshlrev_b32_e32 v2, 28, v7
	v_cmp_gt_i64_e32 vcc, 0, v[1:2]
	v_not_b32_e32 v2, v2
	v_ashrrev_i32_e32 v2, 31, v2
	v_and_b32_e32 v10, v10, v24
	;; [unrolled: 8-line block ×5, first 2 shown]
	v_xor_b32_e32 v24, vcc_hi, v2
	v_xor_b32_e32 v2, vcc_lo, v2
	v_and_b32_e32 v10, v10, v24
	v_and_b32_e32 v24, v8, v2
	v_lshlrev_b32_e32 v2, 24, v7
	v_cmp_gt_i64_e32 vcc, 0, v[1:2]
	v_not_b32_e32 v2, v2
	v_ashrrev_i32_e32 v2, 31, v2
	v_mul_lo_u32 v9, v7, 20
	v_xor_b32_e32 v7, vcc_hi, v2
	v_xor_b32_e32 v2, vcc_lo, v2
	v_and_b32_e32 v8, v10, v7
	v_and_b32_e32 v7, v24, v2
	v_mbcnt_lo_u32_b32 v2, v7, 0
	v_mbcnt_hi_u32_b32 v2, v8, v2
	v_cmp_ne_u64_e32 vcc, 0, v[7:8]
	v_cmp_eq_u32_e64 s[28:29], 0, v2
	s_and_b64 s[40:41], s[28:29], vcc
	v_add_u32_e32 v24, v23, v9
	ds_write2_b32 v16, v1, v1 offset0:5 offset1:6
	ds_write2_b32 v16, v1, v1 offset0:7 offset1:8
	s_waitcnt lgkmcnt(0)
	s_barrier
	; wave barrier
	s_and_saveexec_b64 s[28:29], s[40:41]
; %bb.29:                               ;   in Loop: Header=BB177_28 Depth=2
	v_bcnt_u32_b32 v7, v7, 0
	v_bcnt_u32_b32 v7, v8, v7
	ds_write_b32 v24, v7 offset:20
; %bb.30:                               ;   in Loop: Header=BB177_28 Depth=2
	s_or_b64 exec, exec, s[28:29]
	; wave barrier
	s_waitcnt lgkmcnt(0)
	s_barrier
	ds_read2_b32 v[9:10], v16 offset0:5 offset1:6
	ds_read2_b32 v[7:8], v16 offset0:7 offset1:8
	s_waitcnt lgkmcnt(1)
	v_add_u32_e32 v25, v10, v9
	s_waitcnt lgkmcnt(0)
	v_add3_u32 v8, v25, v7, v8
	s_nop 1
	v_mov_b32_dpp v25, v8 row_shr:1 row_mask:0xf bank_mask:0xf
	v_cndmask_b32_e64 v25, v25, 0, s[10:11]
	v_add_u32_e32 v8, v25, v8
	s_nop 1
	v_mov_b32_dpp v25, v8 row_shr:2 row_mask:0xf bank_mask:0xf
	v_cndmask_b32_e64 v25, 0, v25, s[12:13]
	v_add_u32_e32 v8, v8, v25
	s_nop 1
	v_mov_b32_dpp v25, v8 row_shr:4 row_mask:0xf bank_mask:0xf
	v_cndmask_b32_e64 v25, 0, v25, s[14:15]
	v_add_u32_e32 v8, v8, v25
	s_nop 1
	v_mov_b32_dpp v25, v8 row_shr:8 row_mask:0xf bank_mask:0xf
	v_cndmask_b32_e64 v25, 0, v25, s[16:17]
	v_add_u32_e32 v8, v8, v25
	s_nop 1
	v_mov_b32_dpp v25, v8 row_bcast:15 row_mask:0xf bank_mask:0xf
	v_cndmask_b32_e64 v25, v25, 0, s[18:19]
	v_add_u32_e32 v8, v8, v25
	s_nop 1
	v_mov_b32_dpp v25, v8 row_bcast:31 row_mask:0xf bank_mask:0xf
	v_cndmask_b32_e64 v25, 0, v25, s[6:7]
	v_add_u32_e32 v8, v8, v25
	s_and_saveexec_b64 s[28:29], s[26:27]
; %bb.31:                               ;   in Loop: Header=BB177_28 Depth=2
	ds_write_b32 v17, v8
; %bb.32:                               ;   in Loop: Header=BB177_28 Depth=2
	s_or_b64 exec, exec, s[28:29]
	s_waitcnt lgkmcnt(0)
	s_barrier
	s_and_saveexec_b64 s[28:29], s[0:1]
	s_cbranch_execz .LBB177_34
; %bb.33:                               ;   in Loop: Header=BB177_28 Depth=2
	ds_read_b32 v25, v18
	s_waitcnt lgkmcnt(0)
	s_nop 0
	v_mov_b32_dpp v26, v25 row_shr:1 row_mask:0xf bank_mask:0xf
	v_cndmask_b32_e64 v26, v26, 0, s[20:21]
	v_add_u32_e32 v25, v26, v25
	s_nop 1
	v_mov_b32_dpp v26, v25 row_shr:2 row_mask:0xf bank_mask:0xf
	v_cndmask_b32_e64 v26, 0, v26, s[22:23]
	v_add_u32_e32 v25, v25, v26
	;; [unrolled: 4-line block ×3, first 2 shown]
	ds_write_b32 v18, v25
.LBB177_34:                             ;   in Loop: Header=BB177_28 Depth=2
	s_or_b64 exec, exec, s[28:29]
	v_mov_b32_e32 v25, 0
	s_waitcnt lgkmcnt(0)
	s_barrier
	s_and_saveexec_b64 s[28:29], s[2:3]
; %bb.35:                               ;   in Loop: Header=BB177_28 Depth=2
	ds_read_b32 v25, v21
; %bb.36:                               ;   in Loop: Header=BB177_28 Depth=2
	s_or_b64 exec, exec, s[28:29]
	s_waitcnt lgkmcnt(0)
	v_add_u32_e32 v8, v25, v8
	ds_bpermute_b32 v8, v22, v8
	v_lshlrev_b32_e32 v2, 3, v2
	s_cmp_gt_u32 s36, 55
	s_waitcnt lgkmcnt(0)
	v_cndmask_b32_e64 v8, v8, v25, s[8:9]
	v_cndmask_b32_e64 v8, v8, 0, s[4:5]
	v_add_u32_e32 v9, v8, v9
	v_add_u32_e32 v10, v9, v10
	;; [unrolled: 1-line block ×3, first 2 shown]
	ds_write2_b32 v16, v8, v9 offset0:5 offset1:6
	ds_write2_b32 v16, v10, v7 offset0:7 offset1:8
	s_waitcnt lgkmcnt(0)
	s_barrier
	ds_read_b32 v7, v24 offset:20
	v_mov_b32_e32 v9, v3
	v_mov_b32_e32 v10, v4
	;; [unrolled: 1-line block ×3, first 2 shown]
	s_waitcnt lgkmcnt(0)
	v_lshl_add_u32 v2, v7, 3, v2
	v_mov_b32_e32 v7, v5
	s_cbranch_scc0 .LBB177_27
; %bb.37:                               ;   in Loop: Header=BB177_2 Depth=1
                                        ; implicit-def: $sgpr36
                                        ; implicit-def: $vgpr5
                                        ; implicit-def: $vgpr3
                                        ; implicit-def: $sgpr38
	s_branch .LBB177_1
.LBB177_38:
	s_brev_b32 s0, 1
	s_waitcnt lgkmcnt(0)
	v_add3_u32 v1, v5, v3, s0
	v_add3_u32 v2, v6, v4, s0
	s_add_u32 s0, s30, s34
	s_addc_u32 s1, s31, s35
	v_lshlrev_b32_e32 v0, 3, v0
	global_store_dwordx2 v0, v[1:2], s[0:1]
	s_endpgm
	.section	.rodata,"a",@progbits
	.p2align	6, 0x0
	.amdhsa_kernel _Z17sort_pairs_kernelI22helper_blocked_blockedN15benchmark_utils11custom_typeIiiEELj320ELj1ELj10EEvPKT0_PS4_
		.amdhsa_group_segment_fixed_size 5152
		.amdhsa_private_segment_fixed_size 0
		.amdhsa_kernarg_size 272
		.amdhsa_user_sgpr_count 6
		.amdhsa_user_sgpr_private_segment_buffer 1
		.amdhsa_user_sgpr_dispatch_ptr 0
		.amdhsa_user_sgpr_queue_ptr 0
		.amdhsa_user_sgpr_kernarg_segment_ptr 1
		.amdhsa_user_sgpr_dispatch_id 0
		.amdhsa_user_sgpr_flat_scratch_init 0
		.amdhsa_user_sgpr_private_segment_size 0
		.amdhsa_uses_dynamic_stack 0
		.amdhsa_system_sgpr_private_segment_wavefront_offset 0
		.amdhsa_system_sgpr_workgroup_id_x 1
		.amdhsa_system_sgpr_workgroup_id_y 0
		.amdhsa_system_sgpr_workgroup_id_z 0
		.amdhsa_system_sgpr_workgroup_info 0
		.amdhsa_system_vgpr_workitem_id 2
		.amdhsa_next_free_vgpr 27
		.amdhsa_next_free_sgpr 43
		.amdhsa_reserve_vcc 1
		.amdhsa_reserve_flat_scratch 0
		.amdhsa_float_round_mode_32 0
		.amdhsa_float_round_mode_16_64 0
		.amdhsa_float_denorm_mode_32 3
		.amdhsa_float_denorm_mode_16_64 3
		.amdhsa_dx10_clamp 1
		.amdhsa_ieee_mode 1
		.amdhsa_fp16_overflow 0
		.amdhsa_exception_fp_ieee_invalid_op 0
		.amdhsa_exception_fp_denorm_src 0
		.amdhsa_exception_fp_ieee_div_zero 0
		.amdhsa_exception_fp_ieee_overflow 0
		.amdhsa_exception_fp_ieee_underflow 0
		.amdhsa_exception_fp_ieee_inexact 0
		.amdhsa_exception_int_div_zero 0
	.end_amdhsa_kernel
	.section	.text._Z17sort_pairs_kernelI22helper_blocked_blockedN15benchmark_utils11custom_typeIiiEELj320ELj1ELj10EEvPKT0_PS4_,"axG",@progbits,_Z17sort_pairs_kernelI22helper_blocked_blockedN15benchmark_utils11custom_typeIiiEELj320ELj1ELj10EEvPKT0_PS4_,comdat
.Lfunc_end177:
	.size	_Z17sort_pairs_kernelI22helper_blocked_blockedN15benchmark_utils11custom_typeIiiEELj320ELj1ELj10EEvPKT0_PS4_, .Lfunc_end177-_Z17sort_pairs_kernelI22helper_blocked_blockedN15benchmark_utils11custom_typeIiiEELj320ELj1ELj10EEvPKT0_PS4_
                                        ; -- End function
	.set _Z17sort_pairs_kernelI22helper_blocked_blockedN15benchmark_utils11custom_typeIiiEELj320ELj1ELj10EEvPKT0_PS4_.num_vgpr, 27
	.set _Z17sort_pairs_kernelI22helper_blocked_blockedN15benchmark_utils11custom_typeIiiEELj320ELj1ELj10EEvPKT0_PS4_.num_agpr, 0
	.set _Z17sort_pairs_kernelI22helper_blocked_blockedN15benchmark_utils11custom_typeIiiEELj320ELj1ELj10EEvPKT0_PS4_.numbered_sgpr, 43
	.set _Z17sort_pairs_kernelI22helper_blocked_blockedN15benchmark_utils11custom_typeIiiEELj320ELj1ELj10EEvPKT0_PS4_.num_named_barrier, 0
	.set _Z17sort_pairs_kernelI22helper_blocked_blockedN15benchmark_utils11custom_typeIiiEELj320ELj1ELj10EEvPKT0_PS4_.private_seg_size, 0
	.set _Z17sort_pairs_kernelI22helper_blocked_blockedN15benchmark_utils11custom_typeIiiEELj320ELj1ELj10EEvPKT0_PS4_.uses_vcc, 1
	.set _Z17sort_pairs_kernelI22helper_blocked_blockedN15benchmark_utils11custom_typeIiiEELj320ELj1ELj10EEvPKT0_PS4_.uses_flat_scratch, 0
	.set _Z17sort_pairs_kernelI22helper_blocked_blockedN15benchmark_utils11custom_typeIiiEELj320ELj1ELj10EEvPKT0_PS4_.has_dyn_sized_stack, 0
	.set _Z17sort_pairs_kernelI22helper_blocked_blockedN15benchmark_utils11custom_typeIiiEELj320ELj1ELj10EEvPKT0_PS4_.has_recursion, 0
	.set _Z17sort_pairs_kernelI22helper_blocked_blockedN15benchmark_utils11custom_typeIiiEELj320ELj1ELj10EEvPKT0_PS4_.has_indirect_call, 0
	.section	.AMDGPU.csdata,"",@progbits
; Kernel info:
; codeLenInByte = 4176
; TotalNumSgprs: 47
; NumVgprs: 27
; ScratchSize: 0
; MemoryBound: 0
; FloatMode: 240
; IeeeMode: 1
; LDSByteSize: 5152 bytes/workgroup (compile time only)
; SGPRBlocks: 5
; VGPRBlocks: 6
; NumSGPRsForWavesPerEU: 47
; NumVGPRsForWavesPerEU: 27
; Occupancy: 9
; WaveLimiterHint : 0
; COMPUTE_PGM_RSRC2:SCRATCH_EN: 0
; COMPUTE_PGM_RSRC2:USER_SGPR: 6
; COMPUTE_PGM_RSRC2:TRAP_HANDLER: 0
; COMPUTE_PGM_RSRC2:TGID_X_EN: 1
; COMPUTE_PGM_RSRC2:TGID_Y_EN: 0
; COMPUTE_PGM_RSRC2:TGID_Z_EN: 0
; COMPUTE_PGM_RSRC2:TIDIG_COMP_CNT: 2
	.section	.text._Z16sort_keys_kernelI22helper_blocked_blockedN15benchmark_utils11custom_typeIiiEELj320ELj3ELj10EEvPKT0_PS4_,"axG",@progbits,_Z16sort_keys_kernelI22helper_blocked_blockedN15benchmark_utils11custom_typeIiiEELj320ELj3ELj10EEvPKT0_PS4_,comdat
	.protected	_Z16sort_keys_kernelI22helper_blocked_blockedN15benchmark_utils11custom_typeIiiEELj320ELj3ELj10EEvPKT0_PS4_ ; -- Begin function _Z16sort_keys_kernelI22helper_blocked_blockedN15benchmark_utils11custom_typeIiiEELj320ELj3ELj10EEvPKT0_PS4_
	.globl	_Z16sort_keys_kernelI22helper_blocked_blockedN15benchmark_utils11custom_typeIiiEELj320ELj3ELj10EEvPKT0_PS4_
	.p2align	8
	.type	_Z16sort_keys_kernelI22helper_blocked_blockedN15benchmark_utils11custom_typeIiiEELj320ELj3ELj10EEvPKT0_PS4_,@function
_Z16sort_keys_kernelI22helper_blocked_blockedN15benchmark_utils11custom_typeIiiEELj320ELj3ELj10EEvPKT0_PS4_: ; @_Z16sort_keys_kernelI22helper_blocked_blockedN15benchmark_utils11custom_typeIiiEELj320ELj3ELj10EEvPKT0_PS4_
; %bb.0:
	s_load_dwordx4 s[36:39], s[4:5], 0x0
	s_load_dword s2, s[4:5], 0x1c
	s_mul_i32 s40, s6, 0x3c0
	s_mov_b32 s41, 0
	s_lshl_b64 s[42:43], s[40:41], 3
	s_waitcnt lgkmcnt(0)
	s_add_u32 s0, s36, s42
	s_addc_u32 s1, s37, s43
	v_lshlrev_b32_e32 v5, 3, v0
	v_mov_b32_e32 v3, s1
	v_add_co_u32_e32 v4, vcc, s0, v5
	v_addc_co_u32_e32 v3, vcc, 0, v3, vcc
	s_movk_i32 s3, 0x1000
	v_add_co_u32_e32 v10, vcc, s3, v4
	v_addc_co_u32_e32 v11, vcc, 0, v3, vcc
	global_load_dwordx2 v[3:4], v5, s[0:1]
	global_load_dwordx2 v[8:9], v5, s[0:1] offset:2560
	global_load_dwordx2 v[6:7], v[10:11], off offset:1024
	s_lshr_b32 s0, s2, 16
	v_mbcnt_lo_u32_b32 v10, -1, 0
	s_and_b32 s1, s2, 0xffff
	v_mad_u32_u24 v1, v2, s0, v1
	v_mbcnt_hi_u32_b32 v10, -1, v10
	v_mad_u64_u32 v[1:2], s[0:1], v1, s1, v[0:1]
	v_lshrrev_b32_e32 v11, 6, v0
	v_and_b32_e32 v2, 15, v10
	v_mul_u32_u24_e32 v12, 0xc0, v11
	v_cmp_eq_u32_e64 s[0:1], 0, v2
	v_cmp_lt_u32_e64 s[2:3], 1, v2
	v_cmp_lt_u32_e64 s[4:5], 3, v2
	;; [unrolled: 1-line block ×3, first 2 shown]
	v_and_b32_e32 v2, 16, v10
	v_lshlrev_b32_e32 v12, 3, v12
	v_lshlrev_b32_e32 v13, 3, v10
	v_cmp_eq_u32_e64 s[8:9], 0, v2
	v_and_b32_e32 v2, 0x1c0, v0
	v_mad_u32_u24 v15, v10, 24, v12
	v_add_u32_e32 v16, v13, v12
	v_min_u32_e32 v12, 0x100, v2
	v_or_b32_e32 v12, 63, v12
	v_cmp_eq_u32_e64 s[10:11], v0, v12
	v_subrev_co_u32_e64 v12, s[12:13], 1, v10
	v_and_b32_e32 v14, 64, v10
	v_cmp_lt_i32_e32 vcc, v12, v14
	v_lshlrev_b32_e32 v17, 4, v0
	v_lshrrev_b32_e32 v1, 4, v1
	v_cmp_lt_u32_e64 s[14:15], 31, v10
	v_cndmask_b32_e32 v12, v12, v10, vcc
	v_and_b32_e32 v10, 7, v10
	v_mad_i32_i24 v20, v0, -12, v17
	v_mul_u32_u24_e32 v2, 24, v2
	v_and_b32_e32 v21, 0xffffffc, v1
	v_mul_u32_u24_e32 v1, 20, v0
	v_mov_b32_e32 v5, 0
	v_cmp_gt_u32_e64 s[16:17], 5, v0
	v_cmp_lt_u32_e64 s[18:19], 63, v0
	v_lshlrev_b32_e32 v18, 2, v12
	v_cmp_eq_u32_e64 s[20:21], 0, v0
	v_lshlrev_b32_e32 v19, 2, v11
	v_cmp_eq_u32_e64 s[22:23], 0, v10
	v_cmp_lt_u32_e64 s[24:25], 1, v10
	v_cmp_lt_u32_e64 s[26:27], 3, v10
	v_add_u32_e32 v22, v13, v2
	v_add_u32_e32 v23, v20, v1
	s_branch .LBB178_2
.LBB178_1:                              ;   in Loop: Header=BB178_2 Depth=1
	s_barrier
	ds_write_b64 v25, v[11:12]
	ds_write_b64 v24, v[9:10]
	;; [unrolled: 1-line block ×3, first 2 shown]
	s_waitcnt lgkmcnt(0)
	s_barrier
	ds_read2_b64 v[6:9], v23 offset1:1
	ds_read_b64 v[1:2], v23 offset:16
	s_add_i32 s41, s41, 1
	s_cmp_eq_u32 s41, 10
	s_waitcnt lgkmcnt(1)
	v_xor_b32_e32 v3, 0x80000000, v6
	v_xor_b32_e32 v4, 0x80000000, v7
	;; [unrolled: 1-line block ×4, first 2 shown]
	s_waitcnt lgkmcnt(0)
	v_xor_b32_e32 v6, 0x80000000, v1
	v_xor_b32_e32 v7, 0x80000000, v2
	s_cbranch_scc1 .LBB178_18
.LBB178_2:                              ; =>This Loop Header: Depth=1
                                        ;     Child Loop BB178_4 Depth 2
	s_waitcnt vmcnt(2)
	v_xor_b32_e32 v2, 0x80000000, v4
	v_xor_b32_e32 v1, 0x80000000, v3
	s_waitcnt vmcnt(1)
	v_xor_b32_e32 v4, 0x80000000, v9
	v_xor_b32_e32 v3, 0x80000000, v8
	;; [unrolled: 3-line block ×3, first 2 shown]
	ds_write2_b64 v15, v[1:2], v[3:4] offset1:1
	ds_write_b64 v15, v[6:7] offset:16
	; wave barrier
	ds_read2st64_b64 v[1:4], v16 offset1:1
	ds_read_b64 v[13:14], v16 offset:1024
	s_mov_b32 s33, 8
	s_mov_b32 s36, 32
	;; [unrolled: 1-line block ×3, first 2 shown]
	s_waitcnt lgkmcnt(0)
	s_barrier
	; wave barrier
	s_barrier
	s_branch .LBB178_4
.LBB178_3:                              ;   in Loop: Header=BB178_4 Depth=2
	s_andn2_b64 vcc, exec, s[28:29]
	s_cbranch_vccz .LBB178_1
.LBB178_4:                              ;   Parent Loop BB178_2 Depth=1
                                        ; =>  This Inner Loop Header: Depth=2
	s_min_i32 s30, s33, 32
	s_cmp_lt_u32 s37, 32
	s_cselect_b64 s[28:29], -1, 0
	s_cmp_gt_u32 s37, 31
	s_cselect_b64 vcc, -1, 0
	s_sub_i32 s30, s30, 32
	s_add_i32 s31, s30, s36
	s_lshl_b32 s31, -1, s31
	s_not_b32 s31, s31
	s_cmp_lg_u32 s30, s37
	s_cselect_b32 s44, s31, -1
	s_max_i32 s40, s36, 0
	s_max_i32 s30, s37, 32
	s_sub_i32 s45, s30, 32
	s_sub_i32 s30, s30, s40
	;; [unrolled: 1-line block ×3, first 2 shown]
	s_min_i32 s30, s30, 32
	s_sub_i32 s30, s30, s45
	s_lshl_b32 s31, -1, s30
	v_mov_b32_e32 v12, v2
	s_not_b32 s31, s31
	v_mov_b32_e32 v11, v1
	s_cmp_lg_u32 s30, 32
	s_cselect_b32 s46, s31, -1
	v_lshrrev_b32_e32 v2, s45, v11
	v_lshrrev_b32_e32 v1, s37, v12
	v_and_b32_e32 v2, s46, v2
	v_and_b32_e32 v1, s44, v1
	v_lshlrev_b32_e32 v2, s40, v2
	v_cndmask_b32_e64 v1, 0, v1, s[28:29]
	v_cndmask_b32_e32 v2, 0, v2, vcc
	v_or_b32_e32 v1, v1, v2
	v_mov_b32_e32 v10, v4
	v_and_b32_e32 v2, 1, v1
	v_mov_b32_e32 v9, v3
	v_add_co_u32_e64 v4, s[30:31], -1, v2
	v_addc_co_u32_e64 v6, s[30:31], 0, -1, s[30:31]
	v_cmp_ne_u32_e64 s[30:31], 0, v2
	v_xor_b32_e32 v2, s31, v6
	v_lshlrev_b32_e32 v6, 30, v1
	v_xor_b32_e32 v4, s30, v4
	v_cmp_gt_i64_e64 s[30:31], 0, v[5:6]
	v_not_b32_e32 v6, v6
	v_mov_b32_e32 v7, v13
	v_ashrrev_i32_e32 v6, 31, v6
	v_mov_b32_e32 v8, v14
	v_and_b32_e32 v4, exec_lo, v4
	v_xor_b32_e32 v13, s31, v6
	v_xor_b32_e32 v6, s30, v6
	v_and_b32_e32 v4, v4, v6
	v_lshlrev_b32_e32 v6, 29, v1
	v_cmp_gt_i64_e64 s[30:31], 0, v[5:6]
	v_not_b32_e32 v6, v6
	v_and_b32_e32 v2, exec_hi, v2
	v_ashrrev_i32_e32 v6, 31, v6
	v_and_b32_e32 v2, v2, v13
	v_xor_b32_e32 v13, s31, v6
	v_xor_b32_e32 v6, s30, v6
	v_and_b32_e32 v4, v4, v6
	v_lshlrev_b32_e32 v6, 28, v1
	v_cmp_gt_i64_e64 s[30:31], 0, v[5:6]
	v_not_b32_e32 v6, v6
	v_ashrrev_i32_e32 v6, 31, v6
	v_and_b32_e32 v2, v2, v13
	v_xor_b32_e32 v13, s31, v6
	v_xor_b32_e32 v6, s30, v6
	v_and_b32_e32 v4, v4, v6
	v_lshlrev_b32_e32 v6, 27, v1
	v_cmp_gt_i64_e64 s[30:31], 0, v[5:6]
	v_not_b32_e32 v6, v6
	;; [unrolled: 8-line block ×4, first 2 shown]
	v_ashrrev_i32_e32 v6, 31, v6
	v_and_b32_e32 v2, v2, v13
	v_xor_b32_e32 v13, s31, v6
	v_xor_b32_e32 v6, s30, v6
	v_and_b32_e32 v4, v4, v6
	v_lshlrev_b32_e32 v6, 24, v1
	v_mul_lo_u32 v3, v1, 20
	v_cmp_gt_i64_e64 s[30:31], 0, v[5:6]
	v_not_b32_e32 v1, v6
	v_ashrrev_i32_e32 v1, 31, v1
	v_xor_b32_e32 v6, s31, v1
	v_xor_b32_e32 v1, s30, v1
	v_and_b32_e32 v2, v2, v13
	v_and_b32_e32 v1, v4, v1
	;; [unrolled: 1-line block ×3, first 2 shown]
	v_mbcnt_lo_u32_b32 v4, v1, 0
	v_mbcnt_hi_u32_b32 v13, v2, v4
	v_cmp_ne_u64_e64 s[30:31], 0, v[1:2]
	v_cmp_eq_u32_e64 s[34:35], 0, v13
	s_and_b64 s[34:35], s[34:35], s[30:31]
	v_add_u32_e32 v14, v21, v3
	ds_write2_b32 v17, v5, v5 offset0:5 offset1:6
	ds_write2_b32 v17, v5, v5 offset0:7 offset1:8
	s_waitcnt lgkmcnt(0)
	s_barrier
	; wave barrier
	s_and_saveexec_b64 s[30:31], s[34:35]
; %bb.5:                                ;   in Loop: Header=BB178_4 Depth=2
	v_bcnt_u32_b32 v1, v1, 0
	v_bcnt_u32_b32 v1, v2, v1
	ds_write_b32 v14, v1 offset:20
; %bb.6:                                ;   in Loop: Header=BB178_4 Depth=2
	s_or_b64 exec, exec, s[30:31]
	v_lshrrev_b32_e32 v2, s45, v9
	v_lshrrev_b32_e32 v1, s37, v10
	v_and_b32_e32 v2, s46, v2
	v_and_b32_e32 v1, s44, v1
	v_lshlrev_b32_e32 v2, s40, v2
	v_cndmask_b32_e64 v1, 0, v1, s[28:29]
	v_cndmask_b32_e32 v2, 0, v2, vcc
	v_or_b32_e32 v1, v1, v2
	v_mul_lo_u32 v2, v1, 20
	v_lshlrev_b32_e32 v6, 30, v1
	; wave barrier
	v_add_u32_e32 v25, v21, v2
	v_and_b32_e32 v2, 1, v1
	v_add_co_u32_e64 v3, s[30:31], -1, v2
	v_addc_co_u32_e64 v4, s[30:31], 0, -1, s[30:31]
	v_cmp_ne_u32_e64 s[30:31], 0, v2
	v_xor_b32_e32 v2, s31, v4
	v_xor_b32_e32 v3, s30, v3
	v_cmp_gt_i64_e64 s[30:31], 0, v[5:6]
	v_not_b32_e32 v4, v6
	v_ashrrev_i32_e32 v4, 31, v4
	v_and_b32_e32 v2, exec_hi, v2
	v_xor_b32_e32 v6, s31, v4
	v_and_b32_e32 v3, exec_lo, v3
	v_xor_b32_e32 v4, s30, v4
	v_and_b32_e32 v2, v2, v6
	v_lshlrev_b32_e32 v6, 29, v1
	v_and_b32_e32 v3, v3, v4
	v_cmp_gt_i64_e64 s[30:31], 0, v[5:6]
	v_not_b32_e32 v4, v6
	v_ashrrev_i32_e32 v4, 31, v4
	v_xor_b32_e32 v6, s31, v4
	v_xor_b32_e32 v4, s30, v4
	v_and_b32_e32 v2, v2, v6
	v_lshlrev_b32_e32 v6, 28, v1
	v_and_b32_e32 v3, v3, v4
	v_cmp_gt_i64_e64 s[30:31], 0, v[5:6]
	v_not_b32_e32 v4, v6
	v_ashrrev_i32_e32 v4, 31, v4
	v_xor_b32_e32 v6, s31, v4
	;; [unrolled: 8-line block ×5, first 2 shown]
	v_and_b32_e32 v2, v2, v6
	v_lshlrev_b32_e32 v6, 24, v1
	v_xor_b32_e32 v4, s30, v4
	v_cmp_gt_i64_e64 s[30:31], 0, v[5:6]
	v_not_b32_e32 v1, v6
	v_ashrrev_i32_e32 v1, 31, v1
	v_and_b32_e32 v3, v3, v4
	v_xor_b32_e32 v4, s31, v1
	v_xor_b32_e32 v1, s30, v1
	ds_read_b32 v24, v25 offset:20
	v_and_b32_e32 v1, v3, v1
	v_and_b32_e32 v2, v2, v4
	v_mbcnt_lo_u32_b32 v3, v1, 0
	v_mbcnt_hi_u32_b32 v26, v2, v3
	v_cmp_ne_u64_e64 s[30:31], 0, v[1:2]
	v_cmp_eq_u32_e64 s[34:35], 0, v26
	s_and_b64 s[34:35], s[34:35], s[30:31]
	; wave barrier
	s_and_saveexec_b64 s[30:31], s[34:35]
	s_cbranch_execz .LBB178_8
; %bb.7:                                ;   in Loop: Header=BB178_4 Depth=2
	v_bcnt_u32_b32 v1, v1, 0
	v_bcnt_u32_b32 v1, v2, v1
	s_waitcnt lgkmcnt(0)
	v_add_u32_e32 v1, v24, v1
	ds_write_b32 v25, v1 offset:20
.LBB178_8:                              ;   in Loop: Header=BB178_4 Depth=2
	s_or_b64 exec, exec, s[30:31]
	v_lshrrev_b32_e32 v2, s45, v7
	v_lshrrev_b32_e32 v1, s37, v8
	v_and_b32_e32 v2, s46, v2
	v_and_b32_e32 v1, s44, v1
	v_lshlrev_b32_e32 v2, s40, v2
	v_cndmask_b32_e64 v1, 0, v1, s[28:29]
	v_cndmask_b32_e32 v2, 0, v2, vcc
	v_or_b32_e32 v1, v1, v2
	v_mul_lo_u32 v2, v1, 20
	v_lshlrev_b32_e32 v6, 30, v1
	; wave barrier
	v_add_u32_e32 v28, v21, v2
	v_and_b32_e32 v2, 1, v1
	v_add_co_u32_e32 v3, vcc, -1, v2
	v_addc_co_u32_e64 v4, s[28:29], 0, -1, vcc
	v_cmp_ne_u32_e32 vcc, 0, v2
	v_xor_b32_e32 v2, vcc_hi, v4
	v_xor_b32_e32 v3, vcc_lo, v3
	v_cmp_gt_i64_e32 vcc, 0, v[5:6]
	v_not_b32_e32 v4, v6
	v_ashrrev_i32_e32 v4, 31, v4
	v_and_b32_e32 v2, exec_hi, v2
	v_xor_b32_e32 v6, vcc_hi, v4
	v_and_b32_e32 v3, exec_lo, v3
	v_xor_b32_e32 v4, vcc_lo, v4
	v_and_b32_e32 v2, v2, v6
	v_lshlrev_b32_e32 v6, 29, v1
	v_and_b32_e32 v3, v3, v4
	v_cmp_gt_i64_e32 vcc, 0, v[5:6]
	v_not_b32_e32 v4, v6
	v_ashrrev_i32_e32 v4, 31, v4
	v_xor_b32_e32 v6, vcc_hi, v4
	v_xor_b32_e32 v4, vcc_lo, v4
	v_and_b32_e32 v2, v2, v6
	v_lshlrev_b32_e32 v6, 28, v1
	v_and_b32_e32 v3, v3, v4
	v_cmp_gt_i64_e32 vcc, 0, v[5:6]
	v_not_b32_e32 v4, v6
	v_ashrrev_i32_e32 v4, 31, v4
	v_xor_b32_e32 v6, vcc_hi, v4
	;; [unrolled: 8-line block ×5, first 2 shown]
	v_and_b32_e32 v2, v2, v6
	v_lshlrev_b32_e32 v6, 24, v1
	v_xor_b32_e32 v4, vcc_lo, v4
	v_cmp_gt_i64_e32 vcc, 0, v[5:6]
	v_not_b32_e32 v1, v6
	v_ashrrev_i32_e32 v1, 31, v1
	v_and_b32_e32 v3, v3, v4
	v_xor_b32_e32 v4, vcc_hi, v1
	v_xor_b32_e32 v1, vcc_lo, v1
	ds_read_b32 v27, v28 offset:20
	v_and_b32_e32 v1, v3, v1
	v_and_b32_e32 v2, v2, v4
	v_mbcnt_lo_u32_b32 v3, v1, 0
	v_mbcnt_hi_u32_b32 v6, v2, v3
	v_cmp_ne_u64_e32 vcc, 0, v[1:2]
	v_cmp_eq_u32_e64 s[28:29], 0, v6
	s_and_b64 s[30:31], s[28:29], vcc
	; wave barrier
	s_and_saveexec_b64 s[28:29], s[30:31]
	s_cbranch_execz .LBB178_10
; %bb.9:                                ;   in Loop: Header=BB178_4 Depth=2
	v_bcnt_u32_b32 v1, v1, 0
	v_bcnt_u32_b32 v1, v2, v1
	s_waitcnt lgkmcnt(0)
	v_add_u32_e32 v1, v27, v1
	ds_write_b32 v28, v1 offset:20
.LBB178_10:                             ;   in Loop: Header=BB178_4 Depth=2
	s_or_b64 exec, exec, s[28:29]
	; wave barrier
	s_waitcnt lgkmcnt(0)
	s_barrier
	ds_read2_b32 v[3:4], v17 offset0:5 offset1:6
	ds_read2_b32 v[1:2], v17 offset0:7 offset1:8
	s_waitcnt lgkmcnt(1)
	v_add_u32_e32 v29, v4, v3
	s_waitcnt lgkmcnt(0)
	v_add3_u32 v2, v29, v1, v2
	s_nop 1
	v_mov_b32_dpp v29, v2 row_shr:1 row_mask:0xf bank_mask:0xf
	v_cndmask_b32_e64 v29, v29, 0, s[0:1]
	v_add_u32_e32 v2, v29, v2
	s_nop 1
	v_mov_b32_dpp v29, v2 row_shr:2 row_mask:0xf bank_mask:0xf
	v_cndmask_b32_e64 v29, 0, v29, s[2:3]
	v_add_u32_e32 v2, v2, v29
	;; [unrolled: 4-line block ×4, first 2 shown]
	s_nop 1
	v_mov_b32_dpp v29, v2 row_bcast:15 row_mask:0xf bank_mask:0xf
	v_cndmask_b32_e64 v29, v29, 0, s[8:9]
	v_add_u32_e32 v2, v2, v29
	s_nop 1
	v_mov_b32_dpp v29, v2 row_bcast:31 row_mask:0xf bank_mask:0xf
	v_cndmask_b32_e64 v29, 0, v29, s[14:15]
	v_add_u32_e32 v2, v2, v29
	s_and_saveexec_b64 s[28:29], s[10:11]
; %bb.11:                               ;   in Loop: Header=BB178_4 Depth=2
	ds_write_b32 v19, v2
; %bb.12:                               ;   in Loop: Header=BB178_4 Depth=2
	s_or_b64 exec, exec, s[28:29]
	s_waitcnt lgkmcnt(0)
	s_barrier
	s_and_saveexec_b64 s[28:29], s[16:17]
	s_cbranch_execz .LBB178_14
; %bb.13:                               ;   in Loop: Header=BB178_4 Depth=2
	ds_read_b32 v29, v20
	s_waitcnt lgkmcnt(0)
	s_nop 0
	v_mov_b32_dpp v30, v29 row_shr:1 row_mask:0xf bank_mask:0xf
	v_cndmask_b32_e64 v30, v30, 0, s[22:23]
	v_add_u32_e32 v29, v30, v29
	s_nop 1
	v_mov_b32_dpp v30, v29 row_shr:2 row_mask:0xf bank_mask:0xf
	v_cndmask_b32_e64 v30, 0, v30, s[24:25]
	v_add_u32_e32 v29, v29, v30
	;; [unrolled: 4-line block ×3, first 2 shown]
	ds_write_b32 v20, v29
.LBB178_14:                             ;   in Loop: Header=BB178_4 Depth=2
	s_or_b64 exec, exec, s[28:29]
	v_mov_b32_e32 v29, 0
	s_waitcnt lgkmcnt(0)
	s_barrier
	s_and_saveexec_b64 s[28:29], s[18:19]
; %bb.15:                               ;   in Loop: Header=BB178_4 Depth=2
	v_add_u32_e32 v29, -4, v19
	ds_read_b32 v29, v29
; %bb.16:                               ;   in Loop: Header=BB178_4 Depth=2
	s_or_b64 exec, exec, s[28:29]
	s_waitcnt lgkmcnt(0)
	v_add_u32_e32 v2, v29, v2
	ds_bpermute_b32 v2, v18, v2
	s_cmp_gt_u32 s37, 55
	s_mov_b64 s[28:29], -1
	s_waitcnt lgkmcnt(0)
	v_cndmask_b32_e64 v2, v2, v29, s[12:13]
	v_cndmask_b32_e64 v2, v2, 0, s[20:21]
	v_add_u32_e32 v3, v2, v3
	v_add_u32_e32 v4, v3, v4
	;; [unrolled: 1-line block ×3, first 2 shown]
	ds_write2_b32 v17, v2, v3 offset0:5 offset1:6
	ds_write2_b32 v17, v4, v1 offset0:7 offset1:8
	s_waitcnt lgkmcnt(0)
	s_barrier
	ds_read_b32 v1, v14 offset:20
	ds_read_b32 v2, v25 offset:20
	;; [unrolled: 1-line block ×3, first 2 shown]
	v_lshlrev_b32_e32 v4, 3, v13
	s_waitcnt lgkmcnt(0)
	v_lshl_add_u32 v25, v1, 3, v4
	v_lshlrev_b32_e32 v1, 3, v26
	v_lshlrev_b32_e32 v4, 3, v24
	;; [unrolled: 1-line block ×3, first 2 shown]
	v_add3_u32 v24, v1, v4, v2
	v_lshlrev_b32_e32 v1, 3, v6
	v_lshlrev_b32_e32 v2, 3, v27
	v_lshlrev_b32_e32 v3, 3, v3
	v_add3_u32 v6, v1, v2, v3
                                        ; implicit-def: $vgpr1_vgpr2
                                        ; implicit-def: $vgpr13_vgpr14
	s_cbranch_scc1 .LBB178_3
; %bb.17:                               ;   in Loop: Header=BB178_4 Depth=2
	s_barrier
	ds_write_b64 v25, v[11:12]
	ds_write_b64 v24, v[9:10]
	;; [unrolled: 1-line block ×3, first 2 shown]
	s_waitcnt lgkmcnt(0)
	s_barrier
	ds_read2st64_b64 v[1:4], v22 offset1:1
	ds_read_b64 v[13:14], v22 offset:1024
	s_add_i32 s36, s36, -8
	s_add_i32 s33, s33, 8
	s_add_i32 s37, s37, 8
	s_mov_b64 s[28:29], 0
	s_waitcnt lgkmcnt(0)
	s_barrier
	s_branch .LBB178_3
.LBB178_18:
	s_add_u32 s0, s38, s42
	s_addc_u32 s1, s39, s43
	v_lshlrev_b32_e32 v0, 3, v0
	v_mov_b32_e32 v1, s1
	v_add_co_u32_e32 v2, vcc, s0, v0
	v_addc_co_u32_e32 v1, vcc, 0, v1, vcc
	global_store_dwordx2 v0, v[3:4], s[0:1]
	global_store_dwordx2 v0, v[8:9], s[0:1] offset:2560
	v_add_co_u32_e32 v0, vcc, 0x1000, v2
	v_addc_co_u32_e32 v1, vcc, 0, v1, vcc
	global_store_dwordx2 v[0:1], v[6:7], off offset:1024
	s_endpgm
	.section	.rodata,"a",@progbits
	.p2align	6, 0x0
	.amdhsa_kernel _Z16sort_keys_kernelI22helper_blocked_blockedN15benchmark_utils11custom_typeIiiEELj320ELj3ELj10EEvPKT0_PS4_
		.amdhsa_group_segment_fixed_size 7680
		.amdhsa_private_segment_fixed_size 0
		.amdhsa_kernarg_size 272
		.amdhsa_user_sgpr_count 6
		.amdhsa_user_sgpr_private_segment_buffer 1
		.amdhsa_user_sgpr_dispatch_ptr 0
		.amdhsa_user_sgpr_queue_ptr 0
		.amdhsa_user_sgpr_kernarg_segment_ptr 1
		.amdhsa_user_sgpr_dispatch_id 0
		.amdhsa_user_sgpr_flat_scratch_init 0
		.amdhsa_user_sgpr_private_segment_size 0
		.amdhsa_uses_dynamic_stack 0
		.amdhsa_system_sgpr_private_segment_wavefront_offset 0
		.amdhsa_system_sgpr_workgroup_id_x 1
		.amdhsa_system_sgpr_workgroup_id_y 0
		.amdhsa_system_sgpr_workgroup_id_z 0
		.amdhsa_system_sgpr_workgroup_info 0
		.amdhsa_system_vgpr_workitem_id 2
		.amdhsa_next_free_vgpr 31
		.amdhsa_next_free_sgpr 47
		.amdhsa_reserve_vcc 1
		.amdhsa_reserve_flat_scratch 0
		.amdhsa_float_round_mode_32 0
		.amdhsa_float_round_mode_16_64 0
		.amdhsa_float_denorm_mode_32 3
		.amdhsa_float_denorm_mode_16_64 3
		.amdhsa_dx10_clamp 1
		.amdhsa_ieee_mode 1
		.amdhsa_fp16_overflow 0
		.amdhsa_exception_fp_ieee_invalid_op 0
		.amdhsa_exception_fp_denorm_src 0
		.amdhsa_exception_fp_ieee_div_zero 0
		.amdhsa_exception_fp_ieee_overflow 0
		.amdhsa_exception_fp_ieee_underflow 0
		.amdhsa_exception_fp_ieee_inexact 0
		.amdhsa_exception_int_div_zero 0
	.end_amdhsa_kernel
	.section	.text._Z16sort_keys_kernelI22helper_blocked_blockedN15benchmark_utils11custom_typeIiiEELj320ELj3ELj10EEvPKT0_PS4_,"axG",@progbits,_Z16sort_keys_kernelI22helper_blocked_blockedN15benchmark_utils11custom_typeIiiEELj320ELj3ELj10EEvPKT0_PS4_,comdat
.Lfunc_end178:
	.size	_Z16sort_keys_kernelI22helper_blocked_blockedN15benchmark_utils11custom_typeIiiEELj320ELj3ELj10EEvPKT0_PS4_, .Lfunc_end178-_Z16sort_keys_kernelI22helper_blocked_blockedN15benchmark_utils11custom_typeIiiEELj320ELj3ELj10EEvPKT0_PS4_
                                        ; -- End function
	.set _Z16sort_keys_kernelI22helper_blocked_blockedN15benchmark_utils11custom_typeIiiEELj320ELj3ELj10EEvPKT0_PS4_.num_vgpr, 31
	.set _Z16sort_keys_kernelI22helper_blocked_blockedN15benchmark_utils11custom_typeIiiEELj320ELj3ELj10EEvPKT0_PS4_.num_agpr, 0
	.set _Z16sort_keys_kernelI22helper_blocked_blockedN15benchmark_utils11custom_typeIiiEELj320ELj3ELj10EEvPKT0_PS4_.numbered_sgpr, 47
	.set _Z16sort_keys_kernelI22helper_blocked_blockedN15benchmark_utils11custom_typeIiiEELj320ELj3ELj10EEvPKT0_PS4_.num_named_barrier, 0
	.set _Z16sort_keys_kernelI22helper_blocked_blockedN15benchmark_utils11custom_typeIiiEELj320ELj3ELj10EEvPKT0_PS4_.private_seg_size, 0
	.set _Z16sort_keys_kernelI22helper_blocked_blockedN15benchmark_utils11custom_typeIiiEELj320ELj3ELj10EEvPKT0_PS4_.uses_vcc, 1
	.set _Z16sort_keys_kernelI22helper_blocked_blockedN15benchmark_utils11custom_typeIiiEELj320ELj3ELj10EEvPKT0_PS4_.uses_flat_scratch, 0
	.set _Z16sort_keys_kernelI22helper_blocked_blockedN15benchmark_utils11custom_typeIiiEELj320ELj3ELj10EEvPKT0_PS4_.has_dyn_sized_stack, 0
	.set _Z16sort_keys_kernelI22helper_blocked_blockedN15benchmark_utils11custom_typeIiiEELj320ELj3ELj10EEvPKT0_PS4_.has_recursion, 0
	.set _Z16sort_keys_kernelI22helper_blocked_blockedN15benchmark_utils11custom_typeIiiEELj320ELj3ELj10EEvPKT0_PS4_.has_indirect_call, 0
	.section	.AMDGPU.csdata,"",@progbits
; Kernel info:
; codeLenInByte = 2660
; TotalNumSgprs: 51
; NumVgprs: 31
; ScratchSize: 0
; MemoryBound: 0
; FloatMode: 240
; IeeeMode: 1
; LDSByteSize: 7680 bytes/workgroup (compile time only)
; SGPRBlocks: 6
; VGPRBlocks: 7
; NumSGPRsForWavesPerEU: 51
; NumVGPRsForWavesPerEU: 31
; Occupancy: 8
; WaveLimiterHint : 1
; COMPUTE_PGM_RSRC2:SCRATCH_EN: 0
; COMPUTE_PGM_RSRC2:USER_SGPR: 6
; COMPUTE_PGM_RSRC2:TRAP_HANDLER: 0
; COMPUTE_PGM_RSRC2:TGID_X_EN: 1
; COMPUTE_PGM_RSRC2:TGID_Y_EN: 0
; COMPUTE_PGM_RSRC2:TGID_Z_EN: 0
; COMPUTE_PGM_RSRC2:TIDIG_COMP_CNT: 2
	.section	.text._Z17sort_pairs_kernelI22helper_blocked_blockedN15benchmark_utils11custom_typeIiiEELj320ELj3ELj10EEvPKT0_PS4_,"axG",@progbits,_Z17sort_pairs_kernelI22helper_blocked_blockedN15benchmark_utils11custom_typeIiiEELj320ELj3ELj10EEvPKT0_PS4_,comdat
	.protected	_Z17sort_pairs_kernelI22helper_blocked_blockedN15benchmark_utils11custom_typeIiiEELj320ELj3ELj10EEvPKT0_PS4_ ; -- Begin function _Z17sort_pairs_kernelI22helper_blocked_blockedN15benchmark_utils11custom_typeIiiEELj320ELj3ELj10EEvPKT0_PS4_
	.globl	_Z17sort_pairs_kernelI22helper_blocked_blockedN15benchmark_utils11custom_typeIiiEELj320ELj3ELj10EEvPKT0_PS4_
	.p2align	8
	.type	_Z17sort_pairs_kernelI22helper_blocked_blockedN15benchmark_utils11custom_typeIiiEELj320ELj3ELj10EEvPKT0_PS4_,@function
_Z17sort_pairs_kernelI22helper_blocked_blockedN15benchmark_utils11custom_typeIiiEELj320ELj3ELj10EEvPKT0_PS4_: ; @_Z17sort_pairs_kernelI22helper_blocked_blockedN15benchmark_utils11custom_typeIiiEELj320ELj3ELj10EEvPKT0_PS4_
; %bb.0:
	s_load_dwordx4 s[36:39], s[4:5], 0x0
	s_load_dword s26, s[4:5], 0x1c
	s_mul_i32 s42, s6, 0x3c0
	s_mov_b32 s43, 0
	s_lshl_b64 s[40:41], s[42:43], 3
	s_waitcnt lgkmcnt(0)
	s_add_u32 s0, s36, s40
	s_addc_u32 s1, s37, s41
	v_lshlrev_b32_e32 v5, 3, v0
	v_mov_b32_e32 v3, s1
	v_add_co_u32_e32 v6, vcc, s0, v5
	v_addc_co_u32_e32 v7, vcc, 0, v3, vcc
	global_load_dwordx2 v[3:4], v5, s[0:1]
	global_load_dwordx2 v[10:11], v5, s[0:1] offset:2560
	s_movk_i32 s0, 0x1000
	v_add_co_u32_e32 v5, vcc, s0, v6
	v_addc_co_u32_e32 v6, vcc, 0, v7, vcc
	global_load_dwordx2 v[12:13], v[5:6], off offset:1024
	s_lshr_b32 s27, s26, 16
	s_and_b32 s26, s26, 0xffff
	v_mad_u32_u24 v1, v2, s27, v1
	v_mbcnt_lo_u32_b32 v5, -1, 0
	v_mad_u64_u32 v[1:2], s[26:27], v1, s26, v[0:1]
	v_mbcnt_hi_u32_b32 v5, -1, v5
	v_lshrrev_b32_e32 v6, 6, v0
	v_and_b32_e32 v7, 0x1c0, v0
	v_subrev_co_u32_e64 v18, s[8:9], 1, v5
	v_and_b32_e32 v19, 64, v5
	v_lshlrev_b32_e32 v27, 4, v0
	v_mul_u32_u24_e32 v9, 0xc0, v6
	v_and_b32_e32 v15, 15, v5
	v_min_u32_e32 v17, 0x100, v7
	v_lshlrev_b32_e32 v28, 2, v6
	v_and_b32_e32 v6, 7, v5
	v_cmp_lt_i32_e32 vcc, v18, v19
	v_mul_u32_u24_e32 v8, 20, v0
	v_lshlrev_b32_e32 v14, 3, v5
	v_and_b32_e32 v16, 16, v5
	v_mad_i32_i24 v29, v0, -12, v27
	v_mul_u32_u24_e32 v7, 24, v7
	v_cmp_eq_u32_e64 s[10:11], 0, v15
	v_cmp_lt_u32_e64 s[12:13], 1, v15
	v_cmp_lt_u32_e64 s[14:15], 3, v15
	;; [unrolled: 1-line block ×3, first 2 shown]
	v_cmp_eq_u32_e64 s[20:21], 0, v6
	v_cmp_lt_u32_e64 s[22:23], 1, v6
	v_cmp_lt_u32_e64 s[24:25], 3, v6
	v_lshlrev_b32_e32 v6, 3, v9
	v_or_b32_e32 v9, 63, v17
	v_cndmask_b32_e32 v15, v18, v5, vcc
	v_lshrrev_b32_e32 v1, 4, v1
	v_cmp_gt_u32_e64 s[0:1], 5, v0
	v_cmp_lt_u32_e64 s[2:3], 63, v0
	v_cmp_eq_u32_e64 s[4:5], 0, v0
	v_cmp_lt_u32_e64 s[6:7], 31, v5
	v_cmp_eq_u32_e64 s[18:19], 0, v16
	v_add_u32_e32 v30, v14, v7
	v_add_u32_e32 v31, v29, v8
	v_add_u32_e32 v32, -4, v28
	v_mad_u32_u24 v33, v5, 24, v6
	v_add_u32_e32 v34, v14, v6
	v_cmp_eq_u32_e64 s[26:27], v0, v9
	v_lshlrev_b32_e32 v35, 2, v15
	v_and_b32_e32 v36, 0xffffffc, v1
	v_mov_b32_e32 v9, 0
	s_waitcnt vmcnt(2)
	v_add_u32_e32 v6, 1, v4
	v_add_u32_e32 v5, 1, v3
	s_waitcnt vmcnt(1)
	v_add_u32_e32 v8, 1, v11
	v_add_u32_e32 v7, 1, v10
	;; [unrolled: 3-line block ×3, first 2 shown]
	s_branch .LBB179_2
.LBB179_1:                              ;   in Loop: Header=BB179_2 Depth=1
	s_barrier
	ds_write_b64 v37, v[21:22]
	ds_write_b64 v38, v[19:20]
	;; [unrolled: 1-line block ×3, first 2 shown]
	s_waitcnt lgkmcnt(0)
	s_barrier
	ds_read2_b64 v[17:20], v31 offset1:1
	ds_read_b64 v[1:2], v31 offset:16
	s_waitcnt lgkmcnt(0)
	s_barrier
	ds_write_b64 v37, v[15:16]
	ds_write_b64 v38, v[13:14]
	;; [unrolled: 1-line block ×3, first 2 shown]
	s_waitcnt lgkmcnt(0)
	s_barrier
	ds_read2_b64 v[5:8], v31 offset1:1
	ds_read_b64 v[14:15], v31 offset:16
	s_add_i32 s43, s43, 1
	v_xor_b32_e32 v3, 0x80000000, v17
	v_xor_b32_e32 v4, 0x80000000, v18
	;; [unrolled: 1-line block ×5, first 2 shown]
	s_cmp_lg_u32 s43, 10
	v_xor_b32_e32 v13, 0x80000000, v2
	s_cbranch_scc0 .LBB179_18
.LBB179_2:                              ; =>This Loop Header: Depth=1
                                        ;     Child Loop BB179_4 Depth 2
	v_xor_b32_e32 v2, 0x80000000, v4
	v_xor_b32_e32 v1, 0x80000000, v3
	;; [unrolled: 1-line block ×6, first 2 shown]
	ds_write2_b64 v33, v[1:2], v[3:4] offset1:1
	ds_write_b64 v33, v[10:11] offset:16
	; wave barrier
	ds_read2st64_b64 v[1:4], v34 offset1:1
	ds_read_b64 v[23:24], v34 offset:1024
	; wave barrier
	s_waitcnt lgkmcnt(5)
	ds_write2_b64 v33, v[5:6], v[7:8] offset1:1
	s_waitcnt lgkmcnt(5)
	ds_write_b64 v33, v[14:15] offset:16
	; wave barrier
	ds_read2st64_b64 v[5:8], v34 offset1:1
	ds_read_b64 v[25:26], v34 offset:1024
	s_mov_b32 s33, 8
	s_mov_b32 s36, 32
	;; [unrolled: 1-line block ×3, first 2 shown]
	s_waitcnt lgkmcnt(0)
	s_barrier
	s_branch .LBB179_4
.LBB179_3:                              ;   in Loop: Header=BB179_4 Depth=2
	s_andn2_b64 vcc, exec, s[28:29]
	s_cbranch_vccz .LBB179_1
.LBB179_4:                              ;   Parent Loop BB179_2 Depth=1
                                        ; =>  This Inner Loop Header: Depth=2
	s_min_i32 s30, s33, 32
	s_cmp_lt_u32 s37, 32
	s_cselect_b64 s[28:29], -1, 0
	s_cmp_gt_u32 s37, 31
	s_cselect_b64 vcc, -1, 0
	s_sub_i32 s30, s30, 32
	s_add_i32 s31, s30, s36
	s_lshl_b32 s31, -1, s31
	s_not_b32 s31, s31
	s_cmp_lg_u32 s30, s37
	s_cselect_b32 s44, s31, -1
	s_max_i32 s42, s36, 0
	s_max_i32 s30, s37, 32
	s_sub_i32 s45, s30, 32
	s_sub_i32 s30, s30, s42
	;; [unrolled: 1-line block ×3, first 2 shown]
	s_min_i32 s30, s30, 32
	s_sub_i32 s30, s30, s45
	s_lshl_b32 s31, -1, s30
	v_mov_b32_e32 v22, v2
	s_not_b32 s31, s31
	v_mov_b32_e32 v21, v1
	s_cmp_lg_u32 s30, 32
	s_cselect_b32 s46, s31, -1
	v_lshrrev_b32_e32 v2, s45, v21
	v_lshrrev_b32_e32 v1, s37, v22
	v_and_b32_e32 v2, s46, v2
	v_and_b32_e32 v1, s44, v1
	v_lshlrev_b32_e32 v2, s42, v2
	v_cndmask_b32_e64 v1, 0, v1, s[28:29]
	v_cndmask_b32_e32 v2, 0, v2, vcc
	v_or_b32_e32 v1, v1, v2
	v_mov_b32_e32 v20, v4
	v_and_b32_e32 v2, 1, v1
	v_mov_b32_e32 v16, v6
	v_mov_b32_e32 v19, v3
	v_add_co_u32_e64 v4, s[30:31], -1, v2
	v_mov_b32_e32 v15, v5
	v_addc_co_u32_e64 v5, s[30:31], 0, -1, s[30:31]
	v_cmp_ne_u32_e64 s[30:31], 0, v2
	v_lshlrev_b32_e32 v10, 30, v1
	v_xor_b32_e32 v2, s31, v5
	v_xor_b32_e32 v4, s30, v4
	v_cmp_gt_i64_e64 s[30:31], 0, v[9:10]
	v_not_b32_e32 v5, v10
	v_ashrrev_i32_e32 v5, 31, v5
	v_and_b32_e32 v4, exec_lo, v4
	v_xor_b32_e32 v6, s31, v5
	v_xor_b32_e32 v5, s30, v5
	v_lshlrev_b32_e32 v10, 29, v1
	v_and_b32_e32 v4, v4, v5
	v_cmp_gt_i64_e64 s[30:31], 0, v[9:10]
	v_not_b32_e32 v5, v10
	v_and_b32_e32 v2, exec_hi, v2
	v_ashrrev_i32_e32 v5, 31, v5
	v_and_b32_e32 v2, v2, v6
	v_xor_b32_e32 v6, s31, v5
	v_xor_b32_e32 v5, s30, v5
	v_lshlrev_b32_e32 v10, 28, v1
	v_and_b32_e32 v4, v4, v5
	v_cmp_gt_i64_e64 s[30:31], 0, v[9:10]
	v_not_b32_e32 v5, v10
	v_ashrrev_i32_e32 v5, 31, v5
	v_and_b32_e32 v2, v2, v6
	v_xor_b32_e32 v6, s31, v5
	v_xor_b32_e32 v5, s30, v5
	v_lshlrev_b32_e32 v10, 27, v1
	v_and_b32_e32 v4, v4, v5
	v_cmp_gt_i64_e64 s[30:31], 0, v[9:10]
	v_not_b32_e32 v5, v10
	;; [unrolled: 8-line block ×4, first 2 shown]
	v_ashrrev_i32_e32 v5, 31, v5
	v_lshlrev_b32_e32 v10, 24, v1
	v_mul_lo_u32 v3, v1, 20
	v_and_b32_e32 v2, v2, v6
	v_xor_b32_e32 v6, s31, v5
	v_xor_b32_e32 v5, s30, v5
	v_cmp_gt_i64_e64 s[30:31], 0, v[9:10]
	v_not_b32_e32 v1, v10
	v_ashrrev_i32_e32 v1, 31, v1
	v_and_b32_e32 v4, v4, v5
	v_xor_b32_e32 v5, s31, v1
	v_xor_b32_e32 v1, s30, v1
	v_and_b32_e32 v2, v2, v6
	v_and_b32_e32 v1, v4, v1
	;; [unrolled: 1-line block ×3, first 2 shown]
	v_mbcnt_lo_u32_b32 v4, v1, 0
	v_mbcnt_hi_u32_b32 v5, v2, v4
	v_cmp_ne_u64_e64 s[30:31], 0, v[1:2]
	v_mov_b32_e32 v14, v8
	v_mov_b32_e32 v11, v25
	v_mov_b32_e32 v17, v23
	v_cmp_eq_u32_e64 s[34:35], 0, v5
	v_mov_b32_e32 v13, v7
	v_mov_b32_e32 v12, v26
	;; [unrolled: 1-line block ×3, first 2 shown]
	s_and_b64 s[34:35], s[34:35], s[30:31]
	v_add_u32_e32 v6, v36, v3
	ds_write2_b32 v27, v9, v9 offset0:5 offset1:6
	ds_write2_b32 v27, v9, v9 offset0:7 offset1:8
	s_waitcnt lgkmcnt(0)
	s_barrier
	; wave barrier
	s_and_saveexec_b64 s[30:31], s[34:35]
; %bb.5:                                ;   in Loop: Header=BB179_4 Depth=2
	v_bcnt_u32_b32 v1, v1, 0
	v_bcnt_u32_b32 v1, v2, v1
	ds_write_b32 v6, v1 offset:20
; %bb.6:                                ;   in Loop: Header=BB179_4 Depth=2
	s_or_b64 exec, exec, s[30:31]
	v_lshrrev_b32_e32 v2, s45, v19
	v_lshrrev_b32_e32 v1, s37, v20
	v_and_b32_e32 v2, s46, v2
	v_and_b32_e32 v1, s44, v1
	v_lshlrev_b32_e32 v2, s42, v2
	v_cndmask_b32_e64 v1, 0, v1, s[28:29]
	v_cndmask_b32_e32 v2, 0, v2, vcc
	v_or_b32_e32 v1, v1, v2
	v_mul_lo_u32 v2, v1, 20
	v_lshlrev_b32_e32 v10, 30, v1
	; wave barrier
	v_add_u32_e32 v8, v36, v2
	v_and_b32_e32 v2, 1, v1
	v_add_co_u32_e64 v3, s[30:31], -1, v2
	v_addc_co_u32_e64 v4, s[30:31], 0, -1, s[30:31]
	v_cmp_ne_u32_e64 s[30:31], 0, v2
	v_xor_b32_e32 v2, s31, v4
	v_xor_b32_e32 v3, s30, v3
	v_cmp_gt_i64_e64 s[30:31], 0, v[9:10]
	v_not_b32_e32 v4, v10
	v_ashrrev_i32_e32 v4, 31, v4
	v_and_b32_e32 v2, exec_hi, v2
	v_xor_b32_e32 v10, s31, v4
	v_and_b32_e32 v3, exec_lo, v3
	v_xor_b32_e32 v4, s30, v4
	v_and_b32_e32 v2, v2, v10
	v_lshlrev_b32_e32 v10, 29, v1
	v_and_b32_e32 v3, v3, v4
	v_cmp_gt_i64_e64 s[30:31], 0, v[9:10]
	v_not_b32_e32 v4, v10
	v_ashrrev_i32_e32 v4, 31, v4
	v_xor_b32_e32 v10, s31, v4
	v_xor_b32_e32 v4, s30, v4
	v_and_b32_e32 v2, v2, v10
	v_lshlrev_b32_e32 v10, 28, v1
	v_and_b32_e32 v3, v3, v4
	v_cmp_gt_i64_e64 s[30:31], 0, v[9:10]
	v_not_b32_e32 v4, v10
	v_ashrrev_i32_e32 v4, 31, v4
	v_xor_b32_e32 v10, s31, v4
	;; [unrolled: 8-line block ×5, first 2 shown]
	v_and_b32_e32 v2, v2, v10
	v_lshlrev_b32_e32 v10, 24, v1
	v_xor_b32_e32 v4, s30, v4
	v_cmp_gt_i64_e64 s[30:31], 0, v[9:10]
	v_not_b32_e32 v1, v10
	v_ashrrev_i32_e32 v1, 31, v1
	v_and_b32_e32 v3, v3, v4
	v_xor_b32_e32 v4, s31, v1
	v_xor_b32_e32 v1, s30, v1
	ds_read_b32 v7, v8 offset:20
	v_and_b32_e32 v1, v3, v1
	v_and_b32_e32 v2, v2, v4
	v_mbcnt_lo_u32_b32 v3, v1, 0
	v_mbcnt_hi_u32_b32 v23, v2, v3
	v_cmp_ne_u64_e64 s[30:31], 0, v[1:2]
	v_cmp_eq_u32_e64 s[34:35], 0, v23
	s_and_b64 s[34:35], s[34:35], s[30:31]
	; wave barrier
	s_and_saveexec_b64 s[30:31], s[34:35]
	s_cbranch_execz .LBB179_8
; %bb.7:                                ;   in Loop: Header=BB179_4 Depth=2
	v_bcnt_u32_b32 v1, v1, 0
	v_bcnt_u32_b32 v1, v2, v1
	s_waitcnt lgkmcnt(0)
	v_add_u32_e32 v1, v7, v1
	ds_write_b32 v8, v1 offset:20
.LBB179_8:                              ;   in Loop: Header=BB179_4 Depth=2
	s_or_b64 exec, exec, s[30:31]
	v_lshrrev_b32_e32 v2, s45, v17
	v_lshrrev_b32_e32 v1, s37, v18
	v_and_b32_e32 v2, s46, v2
	v_and_b32_e32 v1, s44, v1
	v_lshlrev_b32_e32 v2, s42, v2
	v_cndmask_b32_e64 v1, 0, v1, s[28:29]
	v_cndmask_b32_e32 v2, 0, v2, vcc
	v_or_b32_e32 v1, v1, v2
	v_mul_lo_u32 v2, v1, 20
	v_lshlrev_b32_e32 v10, 30, v1
	; wave barrier
	v_add_u32_e32 v25, v36, v2
	v_and_b32_e32 v2, 1, v1
	v_add_co_u32_e32 v3, vcc, -1, v2
	v_addc_co_u32_e64 v4, s[28:29], 0, -1, vcc
	v_cmp_ne_u32_e32 vcc, 0, v2
	v_xor_b32_e32 v2, vcc_hi, v4
	v_xor_b32_e32 v3, vcc_lo, v3
	v_cmp_gt_i64_e32 vcc, 0, v[9:10]
	v_not_b32_e32 v4, v10
	v_ashrrev_i32_e32 v4, 31, v4
	v_and_b32_e32 v2, exec_hi, v2
	v_xor_b32_e32 v10, vcc_hi, v4
	v_and_b32_e32 v3, exec_lo, v3
	v_xor_b32_e32 v4, vcc_lo, v4
	v_and_b32_e32 v2, v2, v10
	v_lshlrev_b32_e32 v10, 29, v1
	v_and_b32_e32 v3, v3, v4
	v_cmp_gt_i64_e32 vcc, 0, v[9:10]
	v_not_b32_e32 v4, v10
	v_ashrrev_i32_e32 v4, 31, v4
	v_xor_b32_e32 v10, vcc_hi, v4
	v_xor_b32_e32 v4, vcc_lo, v4
	v_and_b32_e32 v2, v2, v10
	v_lshlrev_b32_e32 v10, 28, v1
	v_and_b32_e32 v3, v3, v4
	v_cmp_gt_i64_e32 vcc, 0, v[9:10]
	v_not_b32_e32 v4, v10
	v_ashrrev_i32_e32 v4, 31, v4
	v_xor_b32_e32 v10, vcc_hi, v4
	;; [unrolled: 8-line block ×5, first 2 shown]
	v_and_b32_e32 v2, v2, v10
	v_lshlrev_b32_e32 v10, 24, v1
	v_xor_b32_e32 v4, vcc_lo, v4
	v_cmp_gt_i64_e32 vcc, 0, v[9:10]
	v_not_b32_e32 v1, v10
	v_ashrrev_i32_e32 v1, 31, v1
	v_and_b32_e32 v3, v3, v4
	v_xor_b32_e32 v4, vcc_hi, v1
	v_xor_b32_e32 v1, vcc_lo, v1
	ds_read_b32 v24, v25 offset:20
	v_and_b32_e32 v1, v3, v1
	v_and_b32_e32 v2, v2, v4
	v_mbcnt_lo_u32_b32 v3, v1, 0
	v_mbcnt_hi_u32_b32 v10, v2, v3
	v_cmp_ne_u64_e32 vcc, 0, v[1:2]
	v_cmp_eq_u32_e64 s[28:29], 0, v10
	s_and_b64 s[30:31], s[28:29], vcc
	; wave barrier
	s_and_saveexec_b64 s[28:29], s[30:31]
	s_cbranch_execz .LBB179_10
; %bb.9:                                ;   in Loop: Header=BB179_4 Depth=2
	v_bcnt_u32_b32 v1, v1, 0
	v_bcnt_u32_b32 v1, v2, v1
	s_waitcnt lgkmcnt(0)
	v_add_u32_e32 v1, v24, v1
	ds_write_b32 v25, v1 offset:20
.LBB179_10:                             ;   in Loop: Header=BB179_4 Depth=2
	s_or_b64 exec, exec, s[28:29]
	; wave barrier
	s_waitcnt lgkmcnt(0)
	s_barrier
	ds_read2_b32 v[3:4], v27 offset0:5 offset1:6
	ds_read2_b32 v[1:2], v27 offset0:7 offset1:8
	s_waitcnt lgkmcnt(1)
	v_add_u32_e32 v26, v4, v3
	s_waitcnt lgkmcnt(0)
	v_add3_u32 v2, v26, v1, v2
	s_nop 1
	v_mov_b32_dpp v26, v2 row_shr:1 row_mask:0xf bank_mask:0xf
	v_cndmask_b32_e64 v26, v26, 0, s[10:11]
	v_add_u32_e32 v2, v26, v2
	s_nop 1
	v_mov_b32_dpp v26, v2 row_shr:2 row_mask:0xf bank_mask:0xf
	v_cndmask_b32_e64 v26, 0, v26, s[12:13]
	v_add_u32_e32 v2, v2, v26
	;; [unrolled: 4-line block ×4, first 2 shown]
	s_nop 1
	v_mov_b32_dpp v26, v2 row_bcast:15 row_mask:0xf bank_mask:0xf
	v_cndmask_b32_e64 v26, v26, 0, s[18:19]
	v_add_u32_e32 v2, v2, v26
	s_nop 1
	v_mov_b32_dpp v26, v2 row_bcast:31 row_mask:0xf bank_mask:0xf
	v_cndmask_b32_e64 v26, 0, v26, s[6:7]
	v_add_u32_e32 v2, v2, v26
	s_and_saveexec_b64 s[28:29], s[26:27]
; %bb.11:                               ;   in Loop: Header=BB179_4 Depth=2
	ds_write_b32 v28, v2
; %bb.12:                               ;   in Loop: Header=BB179_4 Depth=2
	s_or_b64 exec, exec, s[28:29]
	s_waitcnt lgkmcnt(0)
	s_barrier
	s_and_saveexec_b64 s[28:29], s[0:1]
	s_cbranch_execz .LBB179_14
; %bb.13:                               ;   in Loop: Header=BB179_4 Depth=2
	ds_read_b32 v26, v29
	s_waitcnt lgkmcnt(0)
	s_nop 0
	v_mov_b32_dpp v37, v26 row_shr:1 row_mask:0xf bank_mask:0xf
	v_cndmask_b32_e64 v37, v37, 0, s[20:21]
	v_add_u32_e32 v26, v37, v26
	s_nop 1
	v_mov_b32_dpp v37, v26 row_shr:2 row_mask:0xf bank_mask:0xf
	v_cndmask_b32_e64 v37, 0, v37, s[22:23]
	v_add_u32_e32 v26, v26, v37
	;; [unrolled: 4-line block ×3, first 2 shown]
	ds_write_b32 v29, v26
.LBB179_14:                             ;   in Loop: Header=BB179_4 Depth=2
	s_or_b64 exec, exec, s[28:29]
	v_mov_b32_e32 v26, 0
	s_waitcnt lgkmcnt(0)
	s_barrier
	s_and_saveexec_b64 s[28:29], s[2:3]
; %bb.15:                               ;   in Loop: Header=BB179_4 Depth=2
	ds_read_b32 v26, v32
; %bb.16:                               ;   in Loop: Header=BB179_4 Depth=2
	s_or_b64 exec, exec, s[28:29]
	s_waitcnt lgkmcnt(0)
	v_add_u32_e32 v2, v26, v2
	ds_bpermute_b32 v2, v35, v2
	s_cmp_gt_u32 s37, 55
	s_mov_b64 s[28:29], -1
	s_waitcnt lgkmcnt(0)
	v_cndmask_b32_e64 v2, v2, v26, s[8:9]
	v_cndmask_b32_e64 v2, v2, 0, s[4:5]
	v_add_u32_e32 v3, v2, v3
	v_add_u32_e32 v4, v3, v4
	;; [unrolled: 1-line block ×3, first 2 shown]
	ds_write2_b32 v27, v2, v3 offset0:5 offset1:6
	ds_write2_b32 v27, v4, v1 offset0:7 offset1:8
	s_waitcnt lgkmcnt(0)
	s_barrier
	ds_read_b32 v1, v6 offset:20
	ds_read_b32 v2, v8 offset:20
	;; [unrolled: 1-line block ×3, first 2 shown]
	v_lshlrev_b32_e32 v4, 3, v5
	s_waitcnt lgkmcnt(0)
	v_lshl_add_u32 v37, v1, 3, v4
	v_lshlrev_b32_e32 v1, 3, v23
	v_lshlrev_b32_e32 v4, 3, v7
	;; [unrolled: 1-line block ×3, first 2 shown]
	v_add3_u32 v38, v1, v4, v2
	v_lshlrev_b32_e32 v1, 3, v10
	v_lshlrev_b32_e32 v2, 3, v24
	;; [unrolled: 1-line block ×3, first 2 shown]
	v_add3_u32 v10, v1, v2, v3
                                        ; implicit-def: $vgpr5_vgpr6
                                        ; implicit-def: $vgpr25_vgpr26
                                        ; implicit-def: $vgpr1_vgpr2
                                        ; implicit-def: $vgpr23_vgpr24
	s_cbranch_scc1 .LBB179_3
; %bb.17:                               ;   in Loop: Header=BB179_4 Depth=2
	s_barrier
	ds_write_b64 v37, v[21:22]
	ds_write_b64 v38, v[19:20]
	;; [unrolled: 1-line block ×3, first 2 shown]
	s_waitcnt lgkmcnt(0)
	s_barrier
	ds_read2st64_b64 v[1:4], v30 offset1:1
	ds_read_b64 v[23:24], v30 offset:1024
	s_waitcnt lgkmcnt(0)
	s_barrier
	ds_write_b64 v37, v[15:16]
	ds_write_b64 v38, v[13:14]
	ds_write_b64 v10, v[11:12]
	s_waitcnt lgkmcnt(0)
	s_barrier
	ds_read2st64_b64 v[5:8], v30 offset1:1
	ds_read_b64 v[25:26], v30 offset:1024
	s_add_i32 s36, s36, -8
	s_add_i32 s33, s33, 8
	s_add_i32 s37, s37, 8
	s_mov_b64 s[28:29], 0
	s_waitcnt lgkmcnt(0)
	s_barrier
	s_branch .LBB179_3
.LBB179_18:
	s_add_u32 s0, s38, s40
	s_addc_u32 s1, s39, s41
	v_lshlrev_b32_e32 v0, 3, v0
	s_waitcnt lgkmcnt(1)
	v_add_u32_e32 v1, v3, v5
	v_add_u32_e32 v2, v4, v6
	v_add_u32_e32 v3, v10, v7
	v_add_u32_e32 v4, v11, v8
	v_mov_b32_e32 v7, s1
	v_add_co_u32_e32 v8, vcc, s0, v0
	v_addc_co_u32_e32 v7, vcc, 0, v7, vcc
	global_store_dwordx2 v0, v[1:2], s[0:1]
	global_store_dwordx2 v0, v[3:4], s[0:1] offset:2560
	v_add_co_u32_e32 v0, vcc, 0x1000, v8
	s_waitcnt lgkmcnt(0)
	v_add_u32_e32 v5, v12, v14
	v_add_u32_e32 v6, v13, v15
	v_addc_co_u32_e32 v1, vcc, 0, v7, vcc
	global_store_dwordx2 v[0:1], v[5:6], off offset:1024
	s_endpgm
	.section	.rodata,"a",@progbits
	.p2align	6, 0x0
	.amdhsa_kernel _Z17sort_pairs_kernelI22helper_blocked_blockedN15benchmark_utils11custom_typeIiiEELj320ELj3ELj10EEvPKT0_PS4_
		.amdhsa_group_segment_fixed_size 7680
		.amdhsa_private_segment_fixed_size 0
		.amdhsa_kernarg_size 272
		.amdhsa_user_sgpr_count 6
		.amdhsa_user_sgpr_private_segment_buffer 1
		.amdhsa_user_sgpr_dispatch_ptr 0
		.amdhsa_user_sgpr_queue_ptr 0
		.amdhsa_user_sgpr_kernarg_segment_ptr 1
		.amdhsa_user_sgpr_dispatch_id 0
		.amdhsa_user_sgpr_flat_scratch_init 0
		.amdhsa_user_sgpr_private_segment_size 0
		.amdhsa_uses_dynamic_stack 0
		.amdhsa_system_sgpr_private_segment_wavefront_offset 0
		.amdhsa_system_sgpr_workgroup_id_x 1
		.amdhsa_system_sgpr_workgroup_id_y 0
		.amdhsa_system_sgpr_workgroup_id_z 0
		.amdhsa_system_sgpr_workgroup_info 0
		.amdhsa_system_vgpr_workitem_id 2
		.amdhsa_next_free_vgpr 39
		.amdhsa_next_free_sgpr 47
		.amdhsa_reserve_vcc 1
		.amdhsa_reserve_flat_scratch 0
		.amdhsa_float_round_mode_32 0
		.amdhsa_float_round_mode_16_64 0
		.amdhsa_float_denorm_mode_32 3
		.amdhsa_float_denorm_mode_16_64 3
		.amdhsa_dx10_clamp 1
		.amdhsa_ieee_mode 1
		.amdhsa_fp16_overflow 0
		.amdhsa_exception_fp_ieee_invalid_op 0
		.amdhsa_exception_fp_denorm_src 0
		.amdhsa_exception_fp_ieee_div_zero 0
		.amdhsa_exception_fp_ieee_overflow 0
		.amdhsa_exception_fp_ieee_underflow 0
		.amdhsa_exception_fp_ieee_inexact 0
		.amdhsa_exception_int_div_zero 0
	.end_amdhsa_kernel
	.section	.text._Z17sort_pairs_kernelI22helper_blocked_blockedN15benchmark_utils11custom_typeIiiEELj320ELj3ELj10EEvPKT0_PS4_,"axG",@progbits,_Z17sort_pairs_kernelI22helper_blocked_blockedN15benchmark_utils11custom_typeIiiEELj320ELj3ELj10EEvPKT0_PS4_,comdat
.Lfunc_end179:
	.size	_Z17sort_pairs_kernelI22helper_blocked_blockedN15benchmark_utils11custom_typeIiiEELj320ELj3ELj10EEvPKT0_PS4_, .Lfunc_end179-_Z17sort_pairs_kernelI22helper_blocked_blockedN15benchmark_utils11custom_typeIiiEELj320ELj3ELj10EEvPKT0_PS4_
                                        ; -- End function
	.set _Z17sort_pairs_kernelI22helper_blocked_blockedN15benchmark_utils11custom_typeIiiEELj320ELj3ELj10EEvPKT0_PS4_.num_vgpr, 39
	.set _Z17sort_pairs_kernelI22helper_blocked_blockedN15benchmark_utils11custom_typeIiiEELj320ELj3ELj10EEvPKT0_PS4_.num_agpr, 0
	.set _Z17sort_pairs_kernelI22helper_blocked_blockedN15benchmark_utils11custom_typeIiiEELj320ELj3ELj10EEvPKT0_PS4_.numbered_sgpr, 47
	.set _Z17sort_pairs_kernelI22helper_blocked_blockedN15benchmark_utils11custom_typeIiiEELj320ELj3ELj10EEvPKT0_PS4_.num_named_barrier, 0
	.set _Z17sort_pairs_kernelI22helper_blocked_blockedN15benchmark_utils11custom_typeIiiEELj320ELj3ELj10EEvPKT0_PS4_.private_seg_size, 0
	.set _Z17sort_pairs_kernelI22helper_blocked_blockedN15benchmark_utils11custom_typeIiiEELj320ELj3ELj10EEvPKT0_PS4_.uses_vcc, 1
	.set _Z17sort_pairs_kernelI22helper_blocked_blockedN15benchmark_utils11custom_typeIiiEELj320ELj3ELj10EEvPKT0_PS4_.uses_flat_scratch, 0
	.set _Z17sort_pairs_kernelI22helper_blocked_blockedN15benchmark_utils11custom_typeIiiEELj320ELj3ELj10EEvPKT0_PS4_.has_dyn_sized_stack, 0
	.set _Z17sort_pairs_kernelI22helper_blocked_blockedN15benchmark_utils11custom_typeIiiEELj320ELj3ELj10EEvPKT0_PS4_.has_recursion, 0
	.set _Z17sort_pairs_kernelI22helper_blocked_blockedN15benchmark_utils11custom_typeIiiEELj320ELj3ELj10EEvPKT0_PS4_.has_indirect_call, 0
	.section	.AMDGPU.csdata,"",@progbits
; Kernel info:
; codeLenInByte = 2880
; TotalNumSgprs: 51
; NumVgprs: 39
; ScratchSize: 0
; MemoryBound: 0
; FloatMode: 240
; IeeeMode: 1
; LDSByteSize: 7680 bytes/workgroup (compile time only)
; SGPRBlocks: 6
; VGPRBlocks: 9
; NumSGPRsForWavesPerEU: 51
; NumVGPRsForWavesPerEU: 39
; Occupancy: 6
; WaveLimiterHint : 1
; COMPUTE_PGM_RSRC2:SCRATCH_EN: 0
; COMPUTE_PGM_RSRC2:USER_SGPR: 6
; COMPUTE_PGM_RSRC2:TRAP_HANDLER: 0
; COMPUTE_PGM_RSRC2:TGID_X_EN: 1
; COMPUTE_PGM_RSRC2:TGID_Y_EN: 0
; COMPUTE_PGM_RSRC2:TGID_Z_EN: 0
; COMPUTE_PGM_RSRC2:TIDIG_COMP_CNT: 2
	.section	.text._Z16sort_keys_kernelI22helper_blocked_blockedN15benchmark_utils11custom_typeIiiEELj320ELj4ELj10EEvPKT0_PS4_,"axG",@progbits,_Z16sort_keys_kernelI22helper_blocked_blockedN15benchmark_utils11custom_typeIiiEELj320ELj4ELj10EEvPKT0_PS4_,comdat
	.protected	_Z16sort_keys_kernelI22helper_blocked_blockedN15benchmark_utils11custom_typeIiiEELj320ELj4ELj10EEvPKT0_PS4_ ; -- Begin function _Z16sort_keys_kernelI22helper_blocked_blockedN15benchmark_utils11custom_typeIiiEELj320ELj4ELj10EEvPKT0_PS4_
	.globl	_Z16sort_keys_kernelI22helper_blocked_blockedN15benchmark_utils11custom_typeIiiEELj320ELj4ELj10EEvPKT0_PS4_
	.p2align	8
	.type	_Z16sort_keys_kernelI22helper_blocked_blockedN15benchmark_utils11custom_typeIiiEELj320ELj4ELj10EEvPKT0_PS4_,@function
_Z16sort_keys_kernelI22helper_blocked_blockedN15benchmark_utils11custom_typeIiiEELj320ELj4ELj10EEvPKT0_PS4_: ; @_Z16sort_keys_kernelI22helper_blocked_blockedN15benchmark_utils11custom_typeIiiEELj320ELj4ELj10EEvPKT0_PS4_
; %bb.0:
	s_load_dwordx4 s[44:47], s[4:5], 0x0
	s_load_dword s8, s[4:5], 0x1c
	s_mul_i32 s48, s6, 0x500
	s_mov_b32 s49, 0
	s_lshl_b64 s[50:51], s[48:49], 3
	s_waitcnt lgkmcnt(0)
	s_add_u32 s0, s44, s50
	s_addc_u32 s1, s45, s51
	v_lshlrev_b32_e32 v3, 3, v0
	v_mov_b32_e32 v4, s1
	v_add_co_u32_e32 v5, vcc, s0, v3
	v_addc_co_u32_e32 v4, vcc, 0, v4, vcc
	s_movk_i32 s2, 0x1000
	v_add_co_u32_e32 v12, vcc, s2, v5
	v_addc_co_u32_e32 v13, vcc, 0, v4, vcc
	global_load_dwordx2 v[8:9], v3, s[0:1]
	global_load_dwordx2 v[10:11], v3, s[0:1] offset:2560
	global_load_dwordx2 v[4:5], v[12:13], off offset:1024
	global_load_dwordx2 v[6:7], v[12:13], off offset:3584
	v_mbcnt_lo_u32_b32 v12, -1, 0
	v_mbcnt_hi_u32_b32 v12, -1, v12
	v_lshrrev_b32_e32 v13, 2, v12
	v_and_b32_e32 v15, 64, v12
	v_or_b32_e32 v16, v13, v15
	v_add_u32_e32 v13, 48, v13
	s_lshr_b32 s9, s8, 16
	v_and_or_b32 v13, v13, 63, v15
	s_and_b32 s8, s8, 0xffff
	v_mad_u32_u24 v1, v2, s9, v1
	v_lshlrev_b32_e32 v22, 2, v13
	v_mad_u64_u32 v[1:2], s[8:9], v1, s8, v[0:1]
	v_and_b32_e32 v13, 15, v12
	v_cmp_eq_u32_e64 s[8:9], 0, v13
	v_cmp_lt_u32_e64 s[10:11], 1, v13
	v_cmp_lt_u32_e64 s[12:13], 3, v13
	;; [unrolled: 1-line block ×3, first 2 shown]
	v_and_b32_e32 v13, 16, v12
	v_cmp_eq_u32_e64 s[16:17], 0, v13
	v_and_b32_e32 v13, 0x1c0, v0
	v_min_u32_e32 v13, 0x100, v13
	v_or_b32_e32 v13, 63, v13
	v_lshlrev_b32_e32 v2, 2, v0
	v_cmp_eq_u32_e64 s[20:21], v0, v13
	v_subrev_co_u32_e64 v13, s[26:27], 1, v12
	s_movk_i32 s33, 0x700
	v_and_b32_e32 v14, 3, v12
	v_cmp_lt_i32_e32 vcc, v13, v15
	v_and_or_b32 v2, v2, s33, v12
	v_cmp_eq_u32_e64 s[0:1], 0, v14
	v_cmp_eq_u32_e64 s[2:3], 1, v14
	;; [unrolled: 1-line block ×4, first 2 shown]
	v_cmp_lt_u32_e64 s[18:19], 31, v12
	v_cndmask_b32_e32 v13, v13, v12, vcc
	v_and_b32_e32 v14, 7, v12
	v_lshrrev_b32_e32 v12, 2, v2
	v_cmp_eq_u32_e64 s[30:31], 0, v14
	v_cmp_lt_u32_e64 s[34:35], 1, v14
	v_cmp_lt_u32_e64 s[36:37], 3, v14
	v_and_b32_e32 v12, 0x1d8, v12
	v_lshlrev_b32_e32 v14, 3, v2
	v_add_u32_e32 v27, v12, v14
	v_add_u32_e32 v12, 64, v2
	v_lshrrev_b32_e32 v12, 2, v12
	v_and_b32_e32 v12, 0x1f8, v12
	v_add_u32_e32 v28, v12, v14
	v_or_b32_e32 v12, 0x80, v2
	v_add_u32_e32 v2, 0xc0, v2
	v_lshlrev_b32_e32 v24, 2, v13
	v_lshrrev_b32_e32 v13, 4, v0
	v_lshrrev_b32_e32 v12, 2, v12
	;; [unrolled: 1-line block ×4, first 2 shown]
	v_lshlrev_b32_e32 v19, 2, v16
	v_lshlrev_b32_e32 v23, 4, v0
	v_and_b32_e32 v25, 28, v13
	v_mul_i32_i24_e32 v13, -12, v0
	v_and_b32_e32 v12, 0x1f8, v12
	v_and_b32_e32 v2, 0x3f8, v2
	;; [unrolled: 1-line block ×4, first 2 shown]
	v_mov_b32_e32 v3, 0
	v_add_u32_e32 v20, 64, v19
	v_or_b32_e32 v21, 0x80, v19
	v_cmp_gt_u32_e64 s[22:23], 5, v0
	v_cmp_lt_u32_e64 s[24:25], 63, v0
	v_cmp_eq_u32_e64 s[28:29], 0, v0
	v_add_u32_e32 v26, -4, v25
	v_add_u32_e32 v29, v12, v14
	v_add_u32_e32 v30, v2, v14
	v_lshl_add_u32 v32, v0, 5, v1
	v_add_u32_e32 v33, v23, v13
	s_branch .LBB180_2
.LBB180_1:                              ;   in Loop: Header=BB180_2 Depth=1
	s_barrier
	ds_write_b64 v4, v[9:10]
	ds_write_b64 v34, v[7:8]
	;; [unrolled: 1-line block ×4, first 2 shown]
	s_waitcnt lgkmcnt(0)
	s_barrier
	ds_read2_b64 v[4:7], v32 offset1:1
	ds_read2_b64 v[12:15], v32 offset0:2 offset1:3
	s_add_i32 s49, s49, 1
	s_cmp_eq_u32 s49, 10
	s_waitcnt lgkmcnt(1)
	v_xor_b32_e32 v8, 0x80000000, v4
	v_xor_b32_e32 v9, 0x80000000, v5
	;; [unrolled: 1-line block ×4, first 2 shown]
	s_waitcnt lgkmcnt(0)
	v_xor_b32_e32 v4, 0x80000000, v12
	v_xor_b32_e32 v5, 0x80000000, v13
	;; [unrolled: 1-line block ×4, first 2 shown]
	s_cbranch_scc1 .LBB180_20
.LBB180_2:                              ; =>This Loop Header: Depth=1
                                        ;     Child Loop BB180_4 Depth 2
	s_waitcnt vmcnt(3)
	v_xor_b32_e32 v2, 0x80000000, v9
	v_xor_b32_e32 v1, 0x80000000, v8
	s_waitcnt vmcnt(2)
	v_xor_b32_e32 v8, 0x80000000, v10
	v_xor_b32_e32 v9, 0x80000000, v11
	ds_bpermute_b32 v10, v19, v2
	ds_bpermute_b32 v12, v19, v9
	;; [unrolled: 1-line block ×4, first 2 shown]
	s_waitcnt vmcnt(1)
	v_xor_b32_e32 v5, 0x80000000, v5
	s_waitcnt vmcnt(0)
	v_xor_b32_e32 v7, 0x80000000, v7
	s_waitcnt lgkmcnt(3)
	v_cndmask_b32_e64 v10, 0, v10, s[0:1]
	ds_bpermute_b32 v14, v19, v5
	v_xor_b32_e32 v4, 0x80000000, v4
	s_waitcnt lgkmcnt(3)
	v_cndmask_b32_e64 v10, v10, v12, s[2:3]
	ds_bpermute_b32 v12, v19, v7
	;; [unrolled: 4-line block ×3, first 2 shown]
	s_waitcnt lgkmcnt(3)
	v_cndmask_b32_e64 v11, v11, v13, s[2:3]
	ds_bpermute_b32 v13, v19, v6
	s_waitcnt lgkmcnt(3)
	v_cndmask_b32_e64 v10, v10, v14, s[4:5]
	s_waitcnt lgkmcnt(2)
	v_cndmask_b32_e64 v12, v10, v12, s[6:7]
	ds_bpermute_b32 v10, v20, v2
	s_waitcnt lgkmcnt(2)
	v_cndmask_b32_e64 v11, v11, v15, s[4:5]
	ds_bpermute_b32 v14, v20, v1
	ds_bpermute_b32 v15, v20, v9
	s_waitcnt lgkmcnt(3)
	v_cndmask_b32_e64 v11, v11, v13, s[6:7]
	ds_bpermute_b32 v13, v20, v8
	s_waitcnt lgkmcnt(3)
	v_cndmask_b32_e64 v10, 0, v10, s[0:1]
	s_waitcnt lgkmcnt(2)
	v_cndmask_b32_e64 v14, 0, v14, s[0:1]
	;; [unrolled: 2-line block ×3, first 2 shown]
	ds_bpermute_b32 v15, v20, v5
	s_waitcnt lgkmcnt(1)
	v_cndmask_b32_e64 v13, v14, v13, s[2:3]
	ds_bpermute_b32 v14, v20, v4
	ds_bpermute_b32 v16, v20, v7
	;; [unrolled: 1-line block ×3, first 2 shown]
	s_waitcnt lgkmcnt(3)
	v_cndmask_b32_e64 v10, v10, v15, s[4:5]
	ds_bpermute_b32 v15, v21, v2
	s_waitcnt lgkmcnt(3)
	v_cndmask_b32_e64 v13, v13, v14, s[4:5]
	s_waitcnt lgkmcnt(2)
	v_cndmask_b32_e64 v14, v10, v16, s[6:7]
	ds_bpermute_b32 v10, v21, v1
	s_waitcnt lgkmcnt(2)
	v_cndmask_b32_e64 v13, v13, v17, s[6:7]
	ds_bpermute_b32 v16, v21, v9
	ds_bpermute_b32 v17, v21, v8
	;; [unrolled: 1-line block ×6, first 2 shown]
	s_waitcnt lgkmcnt(7)
	v_cndmask_b32_e64 v15, 0, v15, s[0:1]
	ds_bpermute_b32 v18, v21, v5
	s_waitcnt lgkmcnt(7)
	v_cndmask_b32_e64 v10, 0, v10, s[0:1]
	ds_bpermute_b32 v34, v21, v4
	ds_bpermute_b32 v5, v22, v5
	;; [unrolled: 1-line block ×3, first 2 shown]
	s_waitcnt lgkmcnt(9)
	v_cndmask_b32_e64 v15, v15, v16, s[2:3]
	s_waitcnt lgkmcnt(8)
	v_cndmask_b32_e64 v10, v10, v17, s[2:3]
	ds_bpermute_b32 v16, v21, v7
	ds_bpermute_b32 v17, v21, v6
	;; [unrolled: 1-line block ×4, first 2 shown]
	s_waitcnt lgkmcnt(11)
	v_cndmask_b32_e64 v2, 0, v2, s[0:1]
	s_waitcnt lgkmcnt(10)
	v_cndmask_b32_e64 v1, 0, v1, s[0:1]
	;; [unrolled: 2-line block ×12, first 2 shown]
	s_mov_b32 s33, 8
	s_mov_b32 s44, 32
	;; [unrolled: 1-line block ×3, first 2 shown]
	s_barrier
	s_branch .LBB180_4
.LBB180_3:                              ;   in Loop: Header=BB180_4 Depth=2
	s_andn2_b64 vcc, exec, s[38:39]
	s_cbranch_vccz .LBB180_1
.LBB180_4:                              ;   Parent Loop BB180_2 Depth=1
                                        ; =>  This Inner Loop Header: Depth=2
	s_min_i32 s40, s33, 32
	s_cmp_lt_u32 s45, 32
	s_cselect_b64 s[38:39], -1, 0
	s_cmp_gt_u32 s45, 31
	s_cselect_b64 vcc, -1, 0
	s_sub_i32 s40, s40, 32
	s_add_i32 s41, s40, s44
	s_lshl_b32 s41, -1, s41
	s_not_b32 s41, s41
	s_cmp_lg_u32 s40, s45
	s_cselect_b32 s52, s41, -1
	s_max_i32 s48, s44, 0
	s_max_i32 s40, s45, 32
	s_sub_i32 s53, s40, 32
	s_sub_i32 s40, s40, s48
	;; [unrolled: 1-line block ×3, first 2 shown]
	s_min_i32 s40, s40, 32
	s_sub_i32 s40, s40, s53
	s_lshl_b32 s41, -1, s40
	s_not_b32 s41, s41
	v_mov_b32_e32 v9, v11
	s_cmp_lg_u32 s40, 32
	v_mov_b32_e32 v10, v12
	s_cselect_b32 s54, s41, -1
	v_lshrrev_b32_e32 v11, s53, v9
	v_lshrrev_b32_e32 v4, s45, v10
	v_and_b32_e32 v11, s54, v11
	v_and_b32_e32 v4, s52, v4
	v_lshlrev_b32_e32 v11, s48, v11
	v_cndmask_b32_e64 v4, 0, v4, s[38:39]
	v_cndmask_b32_e32 v11, 0, v11, vcc
	v_or_b32_e32 v11, v4, v11
	v_and_b32_e32 v4, 1, v11
	v_mov_b32_e32 v7, v13
	v_add_co_u32_e64 v12, s[40:41], -1, v4
	v_mov_b32_e32 v8, v14
	v_addc_co_u32_e64 v14, s[40:41], 0, -1, s[40:41]
	v_cmp_ne_u32_e64 s[40:41], 0, v4
	v_xor_b32_e32 v4, s41, v14
	v_and_b32_e32 v14, exec_hi, v4
	v_lshlrev_b32_e32 v4, 30, v11
	v_xor_b32_e32 v12, s40, v12
	v_cmp_gt_i64_e64 s[40:41], 0, v[3:4]
	v_not_b32_e32 v4, v4
	v_mov_b32_e32 v5, v15
	v_ashrrev_i32_e32 v4, 31, v4
	v_mov_b32_e32 v6, v16
	v_and_b32_e32 v12, exec_lo, v12
	v_xor_b32_e32 v15, s41, v4
	v_xor_b32_e32 v4, s40, v4
	v_and_b32_e32 v12, v12, v4
	v_lshlrev_b32_e32 v4, 29, v11
	v_cmp_gt_i64_e64 s[40:41], 0, v[3:4]
	v_not_b32_e32 v4, v4
	v_ashrrev_i32_e32 v4, 31, v4
	v_and_b32_e32 v14, v14, v15
	v_xor_b32_e32 v15, s41, v4
	v_xor_b32_e32 v4, s40, v4
	v_and_b32_e32 v12, v12, v4
	v_lshlrev_b32_e32 v4, 28, v11
	v_cmp_gt_i64_e64 s[40:41], 0, v[3:4]
	v_not_b32_e32 v4, v4
	v_ashrrev_i32_e32 v4, 31, v4
	v_and_b32_e32 v14, v14, v15
	;; [unrolled: 8-line block ×5, first 2 shown]
	v_xor_b32_e32 v15, s41, v4
	v_xor_b32_e32 v4, s40, v4
	v_and_b32_e32 v14, v14, v15
	v_and_b32_e32 v15, v12, v4
	v_lshlrev_b32_e32 v4, 24, v11
	v_cmp_gt_i64_e64 s[40:41], 0, v[3:4]
	v_not_b32_e32 v4, v4
	v_ashrrev_i32_e32 v4, 31, v4
	v_mul_lo_u32 v13, v11, 20
	v_xor_b32_e32 v11, s41, v4
	v_xor_b32_e32 v4, s40, v4
	v_and_b32_e32 v12, v14, v11
	v_and_b32_e32 v11, v15, v4
	v_mbcnt_lo_u32_b32 v4, v11, 0
	v_mbcnt_hi_u32_b32 v15, v12, v4
	v_cmp_ne_u64_e64 s[40:41], 0, v[11:12]
	v_mov_b32_e32 v1, v17
	v_cmp_eq_u32_e64 s[42:43], 0, v15
	v_mov_b32_e32 v2, v18
	s_and_b64 s[42:43], s[42:43], s[40:41]
	v_add_u32_e32 v16, v31, v13
	ds_write2_b32 v23, v3, v3 offset0:5 offset1:6
	ds_write2_b32 v23, v3, v3 offset0:7 offset1:8
	s_waitcnt lgkmcnt(0)
	s_barrier
	; wave barrier
	s_and_saveexec_b64 s[40:41], s[42:43]
; %bb.5:                                ;   in Loop: Header=BB180_4 Depth=2
	v_bcnt_u32_b32 v4, v11, 0
	v_bcnt_u32_b32 v4, v12, v4
	ds_write_b32 v16, v4 offset:20
; %bb.6:                                ;   in Loop: Header=BB180_4 Depth=2
	s_or_b64 exec, exec, s[40:41]
	v_lshrrev_b32_e32 v11, s53, v7
	v_lshrrev_b32_e32 v4, s45, v8
	v_and_b32_e32 v11, s54, v11
	v_and_b32_e32 v4, s52, v4
	v_lshlrev_b32_e32 v11, s48, v11
	v_cndmask_b32_e64 v4, 0, v4, s[38:39]
	v_cndmask_b32_e32 v11, 0, v11, vcc
	v_or_b32_e32 v11, v4, v11
	v_mul_lo_u32 v4, v11, 20
	; wave barrier
	v_add_u32_e32 v18, v31, v4
	v_and_b32_e32 v4, 1, v11
	v_add_co_u32_e64 v12, s[40:41], -1, v4
	v_addc_co_u32_e64 v13, s[40:41], 0, -1, s[40:41]
	v_cmp_ne_u32_e64 s[40:41], 0, v4
	v_xor_b32_e32 v4, s41, v13
	v_and_b32_e32 v13, exec_hi, v4
	v_lshlrev_b32_e32 v4, 30, v11
	v_xor_b32_e32 v12, s40, v12
	v_cmp_gt_i64_e64 s[40:41], 0, v[3:4]
	v_not_b32_e32 v4, v4
	v_ashrrev_i32_e32 v4, 31, v4
	v_and_b32_e32 v12, exec_lo, v12
	v_xor_b32_e32 v14, s41, v4
	v_xor_b32_e32 v4, s40, v4
	v_and_b32_e32 v12, v12, v4
	v_lshlrev_b32_e32 v4, 29, v11
	v_cmp_gt_i64_e64 s[40:41], 0, v[3:4]
	v_not_b32_e32 v4, v4
	v_ashrrev_i32_e32 v4, 31, v4
	v_and_b32_e32 v13, v13, v14
	v_xor_b32_e32 v14, s41, v4
	v_xor_b32_e32 v4, s40, v4
	v_and_b32_e32 v12, v12, v4
	v_lshlrev_b32_e32 v4, 28, v11
	v_cmp_gt_i64_e64 s[40:41], 0, v[3:4]
	v_not_b32_e32 v4, v4
	v_ashrrev_i32_e32 v4, 31, v4
	v_and_b32_e32 v13, v13, v14
	;; [unrolled: 8-line block ×5, first 2 shown]
	v_xor_b32_e32 v14, s41, v4
	v_xor_b32_e32 v4, s40, v4
	v_and_b32_e32 v13, v13, v14
	v_and_b32_e32 v14, v12, v4
	v_lshlrev_b32_e32 v4, 24, v11
	v_cmp_gt_i64_e64 s[40:41], 0, v[3:4]
	v_not_b32_e32 v4, v4
	v_ashrrev_i32_e32 v4, 31, v4
	v_xor_b32_e32 v11, s41, v4
	v_xor_b32_e32 v4, s40, v4
	ds_read_b32 v17, v18 offset:20
	v_and_b32_e32 v12, v13, v11
	v_and_b32_e32 v11, v14, v4
	v_mbcnt_lo_u32_b32 v4, v11, 0
	v_mbcnt_hi_u32_b32 v34, v12, v4
	v_cmp_ne_u64_e64 s[40:41], 0, v[11:12]
	v_cmp_eq_u32_e64 s[42:43], 0, v34
	s_and_b64 s[42:43], s[42:43], s[40:41]
	; wave barrier
	s_and_saveexec_b64 s[40:41], s[42:43]
	s_cbranch_execz .LBB180_8
; %bb.7:                                ;   in Loop: Header=BB180_4 Depth=2
	v_bcnt_u32_b32 v4, v11, 0
	v_bcnt_u32_b32 v4, v12, v4
	s_waitcnt lgkmcnt(0)
	v_add_u32_e32 v4, v17, v4
	ds_write_b32 v18, v4 offset:20
.LBB180_8:                              ;   in Loop: Header=BB180_4 Depth=2
	s_or_b64 exec, exec, s[40:41]
	v_lshrrev_b32_e32 v11, s53, v5
	v_lshrrev_b32_e32 v4, s45, v6
	v_and_b32_e32 v11, s54, v11
	v_and_b32_e32 v4, s52, v4
	v_lshlrev_b32_e32 v11, s48, v11
	v_cndmask_b32_e64 v4, 0, v4, s[38:39]
	v_cndmask_b32_e32 v11, 0, v11, vcc
	v_or_b32_e32 v11, v4, v11
	v_mul_lo_u32 v4, v11, 20
	; wave barrier
	v_add_u32_e32 v36, v31, v4
	v_and_b32_e32 v4, 1, v11
	v_add_co_u32_e64 v12, s[40:41], -1, v4
	v_addc_co_u32_e64 v13, s[40:41], 0, -1, s[40:41]
	v_cmp_ne_u32_e64 s[40:41], 0, v4
	v_xor_b32_e32 v4, s41, v13
	v_and_b32_e32 v13, exec_hi, v4
	v_lshlrev_b32_e32 v4, 30, v11
	v_xor_b32_e32 v12, s40, v12
	v_cmp_gt_i64_e64 s[40:41], 0, v[3:4]
	v_not_b32_e32 v4, v4
	v_ashrrev_i32_e32 v4, 31, v4
	v_and_b32_e32 v12, exec_lo, v12
	v_xor_b32_e32 v14, s41, v4
	v_xor_b32_e32 v4, s40, v4
	v_and_b32_e32 v12, v12, v4
	v_lshlrev_b32_e32 v4, 29, v11
	v_cmp_gt_i64_e64 s[40:41], 0, v[3:4]
	v_not_b32_e32 v4, v4
	v_ashrrev_i32_e32 v4, 31, v4
	v_and_b32_e32 v13, v13, v14
	v_xor_b32_e32 v14, s41, v4
	v_xor_b32_e32 v4, s40, v4
	v_and_b32_e32 v12, v12, v4
	v_lshlrev_b32_e32 v4, 28, v11
	v_cmp_gt_i64_e64 s[40:41], 0, v[3:4]
	v_not_b32_e32 v4, v4
	v_ashrrev_i32_e32 v4, 31, v4
	v_and_b32_e32 v13, v13, v14
	;; [unrolled: 8-line block ×5, first 2 shown]
	v_xor_b32_e32 v14, s41, v4
	v_xor_b32_e32 v4, s40, v4
	v_and_b32_e32 v13, v13, v14
	v_and_b32_e32 v14, v12, v4
	v_lshlrev_b32_e32 v4, 24, v11
	v_cmp_gt_i64_e64 s[40:41], 0, v[3:4]
	v_not_b32_e32 v4, v4
	v_ashrrev_i32_e32 v4, 31, v4
	v_xor_b32_e32 v11, s41, v4
	v_xor_b32_e32 v4, s40, v4
	ds_read_b32 v35, v36 offset:20
	v_and_b32_e32 v12, v13, v11
	v_and_b32_e32 v11, v14, v4
	v_mbcnt_lo_u32_b32 v4, v11, 0
	v_mbcnt_hi_u32_b32 v37, v12, v4
	v_cmp_ne_u64_e64 s[40:41], 0, v[11:12]
	v_cmp_eq_u32_e64 s[42:43], 0, v37
	s_and_b64 s[42:43], s[42:43], s[40:41]
	; wave barrier
	s_and_saveexec_b64 s[40:41], s[42:43]
	s_cbranch_execz .LBB180_10
; %bb.9:                                ;   in Loop: Header=BB180_4 Depth=2
	v_bcnt_u32_b32 v4, v11, 0
	v_bcnt_u32_b32 v4, v12, v4
	s_waitcnt lgkmcnt(0)
	v_add_u32_e32 v4, v35, v4
	ds_write_b32 v36, v4 offset:20
.LBB180_10:                             ;   in Loop: Header=BB180_4 Depth=2
	s_or_b64 exec, exec, s[40:41]
	v_lshrrev_b32_e32 v11, s53, v1
	v_lshrrev_b32_e32 v4, s45, v2
	v_and_b32_e32 v11, s54, v11
	v_and_b32_e32 v4, s52, v4
	v_lshlrev_b32_e32 v11, s48, v11
	v_cndmask_b32_e64 v4, 0, v4, s[38:39]
	v_cndmask_b32_e32 v11, 0, v11, vcc
	v_or_b32_e32 v11, v4, v11
	v_mul_lo_u32 v4, v11, 20
	; wave barrier
	v_add_u32_e32 v39, v31, v4
	v_and_b32_e32 v4, 1, v11
	v_add_co_u32_e32 v12, vcc, -1, v4
	v_addc_co_u32_e64 v13, s[38:39], 0, -1, vcc
	v_cmp_ne_u32_e32 vcc, 0, v4
	v_xor_b32_e32 v4, vcc_hi, v13
	v_and_b32_e32 v13, exec_hi, v4
	v_lshlrev_b32_e32 v4, 30, v11
	v_xor_b32_e32 v12, vcc_lo, v12
	v_cmp_gt_i64_e32 vcc, 0, v[3:4]
	v_not_b32_e32 v4, v4
	v_ashrrev_i32_e32 v4, 31, v4
	v_and_b32_e32 v12, exec_lo, v12
	v_xor_b32_e32 v14, vcc_hi, v4
	v_xor_b32_e32 v4, vcc_lo, v4
	v_and_b32_e32 v12, v12, v4
	v_lshlrev_b32_e32 v4, 29, v11
	v_cmp_gt_i64_e32 vcc, 0, v[3:4]
	v_not_b32_e32 v4, v4
	v_ashrrev_i32_e32 v4, 31, v4
	v_and_b32_e32 v13, v13, v14
	v_xor_b32_e32 v14, vcc_hi, v4
	v_xor_b32_e32 v4, vcc_lo, v4
	v_and_b32_e32 v12, v12, v4
	v_lshlrev_b32_e32 v4, 28, v11
	v_cmp_gt_i64_e32 vcc, 0, v[3:4]
	v_not_b32_e32 v4, v4
	v_ashrrev_i32_e32 v4, 31, v4
	v_and_b32_e32 v13, v13, v14
	;; [unrolled: 8-line block ×5, first 2 shown]
	v_xor_b32_e32 v14, vcc_hi, v4
	v_xor_b32_e32 v4, vcc_lo, v4
	v_and_b32_e32 v13, v13, v14
	v_and_b32_e32 v14, v12, v4
	v_lshlrev_b32_e32 v4, 24, v11
	v_cmp_gt_i64_e32 vcc, 0, v[3:4]
	v_not_b32_e32 v4, v4
	v_ashrrev_i32_e32 v4, 31, v4
	v_xor_b32_e32 v11, vcc_hi, v4
	v_xor_b32_e32 v4, vcc_lo, v4
	ds_read_b32 v38, v39 offset:20
	v_and_b32_e32 v12, v13, v11
	v_and_b32_e32 v11, v14, v4
	v_mbcnt_lo_u32_b32 v4, v11, 0
	v_mbcnt_hi_u32_b32 v4, v12, v4
	v_cmp_ne_u64_e32 vcc, 0, v[11:12]
	v_cmp_eq_u32_e64 s[38:39], 0, v4
	s_and_b64 s[40:41], s[38:39], vcc
	; wave barrier
	s_and_saveexec_b64 s[38:39], s[40:41]
	s_cbranch_execz .LBB180_12
; %bb.11:                               ;   in Loop: Header=BB180_4 Depth=2
	v_bcnt_u32_b32 v11, v11, 0
	v_bcnt_u32_b32 v11, v12, v11
	s_waitcnt lgkmcnt(0)
	v_add_u32_e32 v11, v38, v11
	ds_write_b32 v39, v11 offset:20
.LBB180_12:                             ;   in Loop: Header=BB180_4 Depth=2
	s_or_b64 exec, exec, s[38:39]
	; wave barrier
	s_waitcnt lgkmcnt(0)
	s_barrier
	ds_read2_b32 v[13:14], v23 offset0:5 offset1:6
	ds_read2_b32 v[11:12], v23 offset0:7 offset1:8
	s_waitcnt lgkmcnt(1)
	v_add_u32_e32 v40, v14, v13
	s_waitcnt lgkmcnt(0)
	v_add3_u32 v12, v40, v11, v12
	s_nop 1
	v_mov_b32_dpp v40, v12 row_shr:1 row_mask:0xf bank_mask:0xf
	v_cndmask_b32_e64 v40, v40, 0, s[8:9]
	v_add_u32_e32 v12, v40, v12
	s_nop 1
	v_mov_b32_dpp v40, v12 row_shr:2 row_mask:0xf bank_mask:0xf
	v_cndmask_b32_e64 v40, 0, v40, s[10:11]
	v_add_u32_e32 v12, v12, v40
	;; [unrolled: 4-line block ×4, first 2 shown]
	s_nop 1
	v_mov_b32_dpp v40, v12 row_bcast:15 row_mask:0xf bank_mask:0xf
	v_cndmask_b32_e64 v40, v40, 0, s[16:17]
	v_add_u32_e32 v12, v12, v40
	s_nop 1
	v_mov_b32_dpp v40, v12 row_bcast:31 row_mask:0xf bank_mask:0xf
	v_cndmask_b32_e64 v40, 0, v40, s[18:19]
	v_add_u32_e32 v12, v12, v40
	s_and_saveexec_b64 s[38:39], s[20:21]
; %bb.13:                               ;   in Loop: Header=BB180_4 Depth=2
	ds_write_b32 v25, v12
; %bb.14:                               ;   in Loop: Header=BB180_4 Depth=2
	s_or_b64 exec, exec, s[38:39]
	s_waitcnt lgkmcnt(0)
	s_barrier
	s_and_saveexec_b64 s[38:39], s[22:23]
	s_cbranch_execz .LBB180_16
; %bb.15:                               ;   in Loop: Header=BB180_4 Depth=2
	ds_read_b32 v40, v33
	s_waitcnt lgkmcnt(0)
	s_nop 0
	v_mov_b32_dpp v41, v40 row_shr:1 row_mask:0xf bank_mask:0xf
	v_cndmask_b32_e64 v41, v41, 0, s[30:31]
	v_add_u32_e32 v40, v41, v40
	s_nop 1
	v_mov_b32_dpp v41, v40 row_shr:2 row_mask:0xf bank_mask:0xf
	v_cndmask_b32_e64 v41, 0, v41, s[34:35]
	v_add_u32_e32 v40, v40, v41
	;; [unrolled: 4-line block ×3, first 2 shown]
	ds_write_b32 v33, v40
.LBB180_16:                             ;   in Loop: Header=BB180_4 Depth=2
	s_or_b64 exec, exec, s[38:39]
	v_mov_b32_e32 v40, 0
	s_waitcnt lgkmcnt(0)
	s_barrier
	s_and_saveexec_b64 s[38:39], s[24:25]
; %bb.17:                               ;   in Loop: Header=BB180_4 Depth=2
	ds_read_b32 v40, v26
; %bb.18:                               ;   in Loop: Header=BB180_4 Depth=2
	s_or_b64 exec, exec, s[38:39]
	s_waitcnt lgkmcnt(0)
	v_add_u32_e32 v12, v40, v12
	ds_bpermute_b32 v12, v24, v12
	s_cmp_gt_u32 s45, 55
	s_mov_b64 s[38:39], -1
	s_waitcnt lgkmcnt(0)
	v_cndmask_b32_e64 v12, v12, v40, s[26:27]
	v_cndmask_b32_e64 v12, v12, 0, s[28:29]
	v_add_u32_e32 v13, v12, v13
	v_add_u32_e32 v14, v13, v14
	;; [unrolled: 1-line block ×3, first 2 shown]
	ds_write2_b32 v23, v12, v13 offset0:5 offset1:6
	ds_write2_b32 v23, v14, v11 offset0:7 offset1:8
	s_waitcnt lgkmcnt(0)
	s_barrier
	ds_read_b32 v11, v16 offset:20
	ds_read_b32 v12, v18 offset:20
	;; [unrolled: 1-line block ×4, first 2 shown]
	s_waitcnt lgkmcnt(0)
	v_add_u32_e32 v11, v11, v15
	v_add3_u32 v12, v34, v17, v12
	v_add3_u32 v13, v37, v35, v13
	;; [unrolled: 1-line block ×3, first 2 shown]
	v_lshrrev_b32_e32 v4, 2, v11
	v_and_b32_e32 v4, 0x3ffffff8, v4
	v_lshl_add_u32 v4, v11, 3, v4
	v_lshrrev_b32_e32 v11, 2, v12
	v_and_b32_e32 v11, 0x3ffffff8, v11
	v_lshl_add_u32 v34, v12, 3, v11
	;; [unrolled: 3-line block ×4, first 2 shown]
                                        ; implicit-def: $vgpr11_vgpr12
                                        ; implicit-def: $vgpr13_vgpr14
                                        ; implicit-def: $vgpr15_vgpr16
                                        ; implicit-def: $vgpr17_vgpr18
	s_cbranch_scc1 .LBB180_3
; %bb.19:                               ;   in Loop: Header=BB180_4 Depth=2
	s_barrier
	ds_write_b64 v4, v[9:10]
	ds_write_b64 v34, v[7:8]
	;; [unrolled: 1-line block ×4, first 2 shown]
	s_waitcnt lgkmcnt(0)
	s_barrier
	ds_read_b64 v[11:12], v27
	ds_read_b64 v[13:14], v28 offset:512
	ds_read_b64 v[15:16], v29 offset:1024
	;; [unrolled: 1-line block ×3, first 2 shown]
	s_add_i32 s44, s44, -8
	s_add_i32 s33, s33, 8
	s_add_i32 s45, s45, 8
	s_mov_b64 s[38:39], 0
	s_waitcnt lgkmcnt(0)
	s_barrier
	s_branch .LBB180_3
.LBB180_20:
	s_add_u32 s0, s46, s50
	s_addc_u32 s1, s47, s51
	v_lshlrev_b32_e32 v0, 3, v0
	v_mov_b32_e32 v1, s1
	v_add_co_u32_e32 v2, vcc, s0, v0
	v_addc_co_u32_e32 v1, vcc, 0, v1, vcc
	global_store_dwordx2 v0, v[8:9], s[0:1]
	global_store_dwordx2 v0, v[10:11], s[0:1] offset:2560
	v_add_co_u32_e32 v0, vcc, 0x1000, v2
	v_addc_co_u32_e32 v1, vcc, 0, v1, vcc
	global_store_dwordx2 v[0:1], v[4:5], off offset:1024
	global_store_dwordx2 v[0:1], v[6:7], off offset:3584
	s_endpgm
	.section	.rodata,"a",@progbits
	.p2align	6, 0x0
	.amdhsa_kernel _Z16sort_keys_kernelI22helper_blocked_blockedN15benchmark_utils11custom_typeIiiEELj320ELj4ELj10EEvPKT0_PS4_
		.amdhsa_group_segment_fixed_size 10560
		.amdhsa_private_segment_fixed_size 0
		.amdhsa_kernarg_size 272
		.amdhsa_user_sgpr_count 6
		.amdhsa_user_sgpr_private_segment_buffer 1
		.amdhsa_user_sgpr_dispatch_ptr 0
		.amdhsa_user_sgpr_queue_ptr 0
		.amdhsa_user_sgpr_kernarg_segment_ptr 1
		.amdhsa_user_sgpr_dispatch_id 0
		.amdhsa_user_sgpr_flat_scratch_init 0
		.amdhsa_user_sgpr_private_segment_size 0
		.amdhsa_uses_dynamic_stack 0
		.amdhsa_system_sgpr_private_segment_wavefront_offset 0
		.amdhsa_system_sgpr_workgroup_id_x 1
		.amdhsa_system_sgpr_workgroup_id_y 0
		.amdhsa_system_sgpr_workgroup_id_z 0
		.amdhsa_system_sgpr_workgroup_info 0
		.amdhsa_system_vgpr_workitem_id 2
		.amdhsa_next_free_vgpr 42
		.amdhsa_next_free_sgpr 61
		.amdhsa_reserve_vcc 1
		.amdhsa_reserve_flat_scratch 0
		.amdhsa_float_round_mode_32 0
		.amdhsa_float_round_mode_16_64 0
		.amdhsa_float_denorm_mode_32 3
		.amdhsa_float_denorm_mode_16_64 3
		.amdhsa_dx10_clamp 1
		.amdhsa_ieee_mode 1
		.amdhsa_fp16_overflow 0
		.amdhsa_exception_fp_ieee_invalid_op 0
		.amdhsa_exception_fp_denorm_src 0
		.amdhsa_exception_fp_ieee_div_zero 0
		.amdhsa_exception_fp_ieee_overflow 0
		.amdhsa_exception_fp_ieee_underflow 0
		.amdhsa_exception_fp_ieee_inexact 0
		.amdhsa_exception_int_div_zero 0
	.end_amdhsa_kernel
	.section	.text._Z16sort_keys_kernelI22helper_blocked_blockedN15benchmark_utils11custom_typeIiiEELj320ELj4ELj10EEvPKT0_PS4_,"axG",@progbits,_Z16sort_keys_kernelI22helper_blocked_blockedN15benchmark_utils11custom_typeIiiEELj320ELj4ELj10EEvPKT0_PS4_,comdat
.Lfunc_end180:
	.size	_Z16sort_keys_kernelI22helper_blocked_blockedN15benchmark_utils11custom_typeIiiEELj320ELj4ELj10EEvPKT0_PS4_, .Lfunc_end180-_Z16sort_keys_kernelI22helper_blocked_blockedN15benchmark_utils11custom_typeIiiEELj320ELj4ELj10EEvPKT0_PS4_
                                        ; -- End function
	.set _Z16sort_keys_kernelI22helper_blocked_blockedN15benchmark_utils11custom_typeIiiEELj320ELj4ELj10EEvPKT0_PS4_.num_vgpr, 42
	.set _Z16sort_keys_kernelI22helper_blocked_blockedN15benchmark_utils11custom_typeIiiEELj320ELj4ELj10EEvPKT0_PS4_.num_agpr, 0
	.set _Z16sort_keys_kernelI22helper_blocked_blockedN15benchmark_utils11custom_typeIiiEELj320ELj4ELj10EEvPKT0_PS4_.numbered_sgpr, 55
	.set _Z16sort_keys_kernelI22helper_blocked_blockedN15benchmark_utils11custom_typeIiiEELj320ELj4ELj10EEvPKT0_PS4_.num_named_barrier, 0
	.set _Z16sort_keys_kernelI22helper_blocked_blockedN15benchmark_utils11custom_typeIiiEELj320ELj4ELj10EEvPKT0_PS4_.private_seg_size, 0
	.set _Z16sort_keys_kernelI22helper_blocked_blockedN15benchmark_utils11custom_typeIiiEELj320ELj4ELj10EEvPKT0_PS4_.uses_vcc, 1
	.set _Z16sort_keys_kernelI22helper_blocked_blockedN15benchmark_utils11custom_typeIiiEELj320ELj4ELj10EEvPKT0_PS4_.uses_flat_scratch, 0
	.set _Z16sort_keys_kernelI22helper_blocked_blockedN15benchmark_utils11custom_typeIiiEELj320ELj4ELj10EEvPKT0_PS4_.has_dyn_sized_stack, 0
	.set _Z16sort_keys_kernelI22helper_blocked_blockedN15benchmark_utils11custom_typeIiiEELj320ELj4ELj10EEvPKT0_PS4_.has_recursion, 0
	.set _Z16sort_keys_kernelI22helper_blocked_blockedN15benchmark_utils11custom_typeIiiEELj320ELj4ELj10EEvPKT0_PS4_.has_indirect_call, 0
	.section	.AMDGPU.csdata,"",@progbits
; Kernel info:
; codeLenInByte = 4000
; TotalNumSgprs: 59
; NumVgprs: 42
; ScratchSize: 0
; MemoryBound: 0
; FloatMode: 240
; IeeeMode: 1
; LDSByteSize: 10560 bytes/workgroup (compile time only)
; SGPRBlocks: 8
; VGPRBlocks: 10
; NumSGPRsForWavesPerEU: 65
; NumVGPRsForWavesPerEU: 42
; Occupancy: 5
; WaveLimiterHint : 1
; COMPUTE_PGM_RSRC2:SCRATCH_EN: 0
; COMPUTE_PGM_RSRC2:USER_SGPR: 6
; COMPUTE_PGM_RSRC2:TRAP_HANDLER: 0
; COMPUTE_PGM_RSRC2:TGID_X_EN: 1
; COMPUTE_PGM_RSRC2:TGID_Y_EN: 0
; COMPUTE_PGM_RSRC2:TGID_Z_EN: 0
; COMPUTE_PGM_RSRC2:TIDIG_COMP_CNT: 2
	.section	.text._Z17sort_pairs_kernelI22helper_blocked_blockedN15benchmark_utils11custom_typeIiiEELj320ELj4ELj10EEvPKT0_PS4_,"axG",@progbits,_Z17sort_pairs_kernelI22helper_blocked_blockedN15benchmark_utils11custom_typeIiiEELj320ELj4ELj10EEvPKT0_PS4_,comdat
	.protected	_Z17sort_pairs_kernelI22helper_blocked_blockedN15benchmark_utils11custom_typeIiiEELj320ELj4ELj10EEvPKT0_PS4_ ; -- Begin function _Z17sort_pairs_kernelI22helper_blocked_blockedN15benchmark_utils11custom_typeIiiEELj320ELj4ELj10EEvPKT0_PS4_
	.globl	_Z17sort_pairs_kernelI22helper_blocked_blockedN15benchmark_utils11custom_typeIiiEELj320ELj4ELj10EEvPKT0_PS4_
	.p2align	8
	.type	_Z17sort_pairs_kernelI22helper_blocked_blockedN15benchmark_utils11custom_typeIiiEELj320ELj4ELj10EEvPKT0_PS4_,@function
_Z17sort_pairs_kernelI22helper_blocked_blockedN15benchmark_utils11custom_typeIiiEELj320ELj4ELj10EEvPKT0_PS4_: ; @_Z17sort_pairs_kernelI22helper_blocked_blockedN15benchmark_utils11custom_typeIiiEELj320ELj4ELj10EEvPKT0_PS4_
; %bb.0:
	s_load_dwordx4 s[44:47], s[4:5], 0x0
	s_load_dword s33, s[4:5], 0x1c
	s_mul_i32 s50, s6, 0x500
	s_mov_b32 s51, 0
	s_lshl_b64 s[48:49], s[50:51], 3
	s_waitcnt lgkmcnt(0)
	s_add_u32 s0, s44, s48
	s_addc_u32 s1, s45, s49
	v_lshlrev_b32_e32 v3, 3, v0
	v_mov_b32_e32 v4, s1
	v_add_co_u32_e32 v5, vcc, s0, v3
	v_addc_co_u32_e32 v4, vcc, 0, v4, vcc
	global_load_dwordx2 v[10:11], v3, s[0:1]
	global_load_dwordx2 v[12:13], v3, s[0:1] offset:2560
	s_movk_i32 s0, 0x1000
	v_add_co_u32_e32 v3, vcc, s0, v5
	v_addc_co_u32_e32 v4, vcc, 0, v4, vcc
	global_load_dwordx2 v[16:17], v[3:4], off offset:1024
	global_load_dwordx2 v[14:15], v[3:4], off offset:3584
	v_mbcnt_lo_u32_b32 v3, -1, 0
	v_mbcnt_hi_u32_b32 v3, -1, v3
	s_movk_i32 s10, 0x700
	v_lshlrev_b32_e32 v4, 2, v0
	v_and_b32_e32 v5, 0x1c0, v0
	v_and_b32_e32 v8, 64, v3
	v_subrev_co_u32_e64 v19, s[8:9], 1, v3
	v_lshrrev_b32_e32 v6, 2, v3
	v_and_b32_e32 v18, 16, v3
	v_min_u32_e32 v5, 0x100, v5
	v_and_or_b32 v21, v4, s10, v3
	v_cmp_lt_i32_e32 vcc, v19, v8
	s_lshr_b32 s38, s33, 16
	v_and_b32_e32 v7, 3, v3
	v_and_b32_e32 v9, 15, v3
	v_cmp_lt_u32_e64 s[6:7], 31, v3
	v_and_b32_e32 v20, 7, v3
	v_or_b32_e32 v4, v6, v8
	v_add_u32_e32 v6, 48, v6
	v_cmp_eq_u32_e64 s[26:27], 0, v18
	v_or_b32_e32 v5, 63, v5
	v_cndmask_b32_e32 v3, v19, v3, vcc
	v_add_u32_e32 v18, 64, v21
	v_or_b32_e32 v19, 0x80, v21
	s_and_b32 s33, s33, 0xffff
	v_mad_u32_u24 v1, v2, s38, v1
	v_lshlrev_b32_e32 v35, 2, v4
	v_and_or_b32 v4, v6, 63, v8
	v_cmp_eq_u32_e64 s[36:37], v0, v5
	v_lshrrev_b32_e32 v5, 2, v18
	v_lshrrev_b32_e32 v6, 2, v19
	v_mad_u64_u32 v[18:19], s[38:39], v1, s33, v[0:1]
	v_cmp_eq_u32_e64 s[10:11], 0, v7
	v_cmp_eq_u32_e64 s[12:13], 1, v7
	;; [unrolled: 1-line block ×4, first 2 shown]
	v_lshrrev_b32_e32 v7, 2, v21
	v_add_u32_e32 v19, 0xc0, v21
	v_cmp_eq_u32_e64 s[18:19], 0, v9
	v_cmp_lt_u32_e64 s[20:21], 1, v9
	v_cmp_lt_u32_e64 s[22:23], 3, v9
	;; [unrolled: 1-line block ×3, first 2 shown]
	v_lshlrev_b32_e32 v9, 3, v21
	v_lshlrev_b32_e32 v36, 2, v3
	v_and_b32_e32 v3, 0x1d8, v7
	v_lshrrev_b32_e32 v19, 2, v19
	v_cmp_eq_u32_e64 s[28:29], 0, v20
	v_cmp_lt_u32_e64 s[30:31], 1, v20
	v_cmp_lt_u32_e64 s[34:35], 3, v20
	v_add_u32_e32 v38, v3, v9
	v_and_b32_e32 v3, 0x1f8, v5
	v_and_b32_e32 v20, 0x1f8, v6
	v_and_b32_e32 v19, 0x3f8, v19
	v_add_u32_e32 v39, v3, v9
	v_add_u32_e32 v40, v20, v9
	;; [unrolled: 1-line block ×3, first 2 shown]
	v_lshrrev_b32_e32 v9, 4, v0
	v_and_b32_e32 v42, 28, v9
	v_lshrrev_b32_e32 v9, 4, v18
	v_and_b32_e32 v43, 0xffffffc, v9
	v_and_b32_e32 v9, 0x1f8, v0
	v_lshl_add_u32 v44, v0, 5, v9
	v_lshlrev_b32_e32 v45, 4, v0
	v_mul_i32_i24_e32 v9, -12, v0
	v_cmp_gt_u32_e64 s[0:1], 5, v0
	v_cmp_lt_u32_e64 s[2:3], 63, v0
	v_cmp_eq_u32_e64 s[4:5], 0, v0
	v_lshlrev_b32_e32 v37, 2, v4
	v_add_u32_e32 v46, v45, v9
	v_add_u32_e32 v47, 64, v35
	s_waitcnt vmcnt(3)
	v_add_u32_e32 v6, 1, v11
	v_add_u32_e32 v5, 1, v10
	s_waitcnt vmcnt(2)
	v_add_u32_e32 v8, 1, v13
	v_add_u32_e32 v7, 1, v12
	v_or_b32_e32 v48, 0x80, v35
	v_add_u32_e32 v49, -4, v42
	s_waitcnt vmcnt(1)
	v_add_u32_e32 v2, 1, v17
	v_add_u32_e32 v1, 1, v16
	s_waitcnt vmcnt(0)
	v_add_u32_e32 v4, 1, v15
	v_add_u32_e32 v3, 1, v14
	v_mov_b32_e32 v9, 0
	s_branch .LBB181_2
.LBB181_1:                              ;   in Loop: Header=BB181_2 Depth=1
	s_barrier
	ds_write_b64 v10, v[17:18]
	ds_write_b64 v50, v[15:16]
	;; [unrolled: 1-line block ×4, first 2 shown]
	s_waitcnt lgkmcnt(0)
	s_barrier
	ds_read2_b64 v[11:14], v44 offset1:1
	ds_read2_b64 v[16:19], v44 offset0:2 offset1:3
	s_waitcnt lgkmcnt(0)
	s_barrier
	ds_write_b64 v10, v[7:8]
	ds_write_b64 v50, v[5:6]
	;; [unrolled: 1-line block ×4, first 2 shown]
	s_waitcnt lgkmcnt(0)
	s_barrier
	ds_read2_b64 v[5:8], v44 offset1:1
	ds_read2_b64 v[1:4], v44 offset0:2 offset1:3
	s_add_i32 s51, s51, 1
	v_xor_b32_e32 v10, 0x80000000, v11
	v_xor_b32_e32 v11, 0x80000000, v12
	v_xor_b32_e32 v12, 0x80000000, v13
	v_xor_b32_e32 v13, 0x80000000, v14
	v_xor_b32_e32 v16, 0x80000000, v16
	v_xor_b32_e32 v17, 0x80000000, v17
	v_xor_b32_e32 v14, 0x80000000, v18
	s_cmp_lg_u32 s51, 10
	v_xor_b32_e32 v15, 0x80000000, v19
	s_cbranch_scc0 .LBB181_20
.LBB181_2:                              ; =>This Loop Header: Depth=1
                                        ;     Child Loop BB181_4 Depth 2
	v_xor_b32_e32 v11, 0x80000000, v11
	v_xor_b32_e32 v10, 0x80000000, v10
	v_xor_b32_e32 v13, 0x80000000, v13
	ds_bpermute_b32 v18, v35, v11
	v_xor_b32_e32 v12, 0x80000000, v12
	ds_bpermute_b32 v19, v35, v10
	ds_bpermute_b32 v20, v35, v13
	;; [unrolled: 1-line block ×3, first 2 shown]
	v_xor_b32_e32 v17, 0x80000000, v17
	s_waitcnt lgkmcnt(3)
	v_cndmask_b32_e64 v18, 0, v18, s[10:11]
	v_xor_b32_e32 v16, 0x80000000, v16
	v_xor_b32_e32 v15, 0x80000000, v15
	s_waitcnt lgkmcnt(2)
	v_cndmask_b32_e64 v19, 0, v19, s[10:11]
	s_waitcnt lgkmcnt(1)
	v_cndmask_b32_e64 v18, v18, v20, s[12:13]
	ds_bpermute_b32 v20, v35, v17
	v_xor_b32_e32 v14, 0x80000000, v14
	s_waitcnt lgkmcnt(1)
	v_cndmask_b32_e64 v19, v19, v21, s[12:13]
	ds_bpermute_b32 v21, v35, v16
	ds_bpermute_b32 v22, v35, v15
	;; [unrolled: 1-line block ×4, first 2 shown]
	s_waitcnt lgkmcnt(4)
	v_cndmask_b32_e64 v18, v18, v20, s[14:15]
	s_waitcnt lgkmcnt(3)
	v_cndmask_b32_e64 v19, v19, v21, s[14:15]
	;; [unrolled: 2-line block ×3, first 2 shown]
	ds_bpermute_b32 v18, v47, v10
	ds_bpermute_b32 v22, v47, v13
	s_waitcnt lgkmcnt(3)
	v_cndmask_b32_e64 v19, v19, v23, s[16:17]
	s_waitcnt lgkmcnt(2)
	v_cndmask_b32_e64 v21, 0, v24, s[10:11]
	ds_bpermute_b32 v23, v47, v12
	ds_bpermute_b32 v24, v47, v17
	s_waitcnt lgkmcnt(3)
	v_cndmask_b32_e64 v18, 0, v18, s[10:11]
	ds_bpermute_b32 v25, v47, v16
	s_waitcnt lgkmcnt(3)
	v_cndmask_b32_e64 v21, v21, v22, s[12:13]
	s_waitcnt lgkmcnt(2)
	v_cndmask_b32_e64 v18, v18, v23, s[12:13]
	;; [unrolled: 2-line block ×3, first 2 shown]
	ds_bpermute_b32 v22, v47, v15
	ds_bpermute_b32 v23, v47, v14
	ds_bpermute_b32 v24, v48, v11
	s_waitcnt lgkmcnt(3)
	v_cndmask_b32_e64 v18, v18, v25, s[14:15]
	ds_bpermute_b32 v25, v48, v10
	ds_bpermute_b32 v11, v37, v11
	ds_bpermute_b32 v10, v37, v10
	s_waitcnt lgkmcnt(5)
	v_cndmask_b32_e64 v22, v21, v22, s[16:17]
	ds_bpermute_b32 v26, v48, v13
	s_waitcnt lgkmcnt(5)
	v_cndmask_b32_e64 v21, v18, v23, s[16:17]
	s_waitcnt lgkmcnt(4)
	v_cndmask_b32_e64 v18, 0, v24, s[10:11]
	ds_bpermute_b32 v24, v48, v12
	ds_bpermute_b32 v13, v37, v13
	;; [unrolled: 1-line block ×3, first 2 shown]
	s_waitcnt lgkmcnt(6)
	v_cndmask_b32_e64 v23, 0, v25, s[10:11]
	ds_bpermute_b32 v25, v48, v17
	s_waitcnt lgkmcnt(6)
	v_cndmask_b32_e64 v11, 0, v11, s[10:11]
	ds_bpermute_b32 v17, v37, v17
	s_waitcnt lgkmcnt(6)
	v_cndmask_b32_e64 v10, 0, v10, s[10:11]
	s_waitcnt lgkmcnt(5)
	v_cndmask_b32_e64 v18, v18, v26, s[12:13]
	ds_bpermute_b32 v26, v48, v16
	s_waitcnt lgkmcnt(4)
	v_cndmask_b32_e64 v11, v11, v13, s[12:13]
	s_waitcnt lgkmcnt(3)
	v_cndmask_b32_e64 v10, v10, v12, s[12:13]
	ds_bpermute_b32 v12, v37, v16
	ds_bpermute_b32 v13, v37, v15
	;; [unrolled: 1-line block ×3, first 2 shown]
	v_cndmask_b32_e64 v23, v23, v24, s[12:13]
	ds_bpermute_b32 v28, v48, v14
	s_waitcnt lgkmcnt(5)
	v_cndmask_b32_e64 v11, v11, v17, s[14:15]
	ds_bpermute_b32 v14, v37, v14
	ds_bpermute_b32 v15, v35, v6
	s_waitcnt lgkmcnt(6)
	v_cndmask_b32_e64 v23, v23, v26, s[14:15]
	s_waitcnt lgkmcnt(5)
	v_cndmask_b32_e64 v10, v10, v12, s[14:15]
	ds_bpermute_b32 v12, v35, v5
	s_waitcnt lgkmcnt(5)
	v_cndmask_b32_e64 v26, v11, v13, s[16:17]
	ds_bpermute_b32 v11, v35, v8
	ds_bpermute_b32 v13, v35, v7
	v_cndmask_b32_e64 v18, v18, v25, s[14:15]
	s_waitcnt lgkmcnt(4)
	v_cndmask_b32_e64 v25, v10, v14, s[16:17]
	s_waitcnt lgkmcnt(3)
	v_cndmask_b32_e64 v10, 0, v15, s[10:11]
	ds_bpermute_b32 v14, v35, v2
	s_waitcnt lgkmcnt(3)
	v_cndmask_b32_e64 v12, 0, v12, s[10:11]
	ds_bpermute_b32 v15, v35, v1
	s_waitcnt lgkmcnt(3)
	v_cndmask_b32_e64 v10, v10, v11, s[12:13]
	ds_bpermute_b32 v11, v35, v4
	s_waitcnt lgkmcnt(3)
	v_cndmask_b32_e64 v12, v12, v13, s[12:13]
	ds_bpermute_b32 v13, v35, v3
	s_waitcnt lgkmcnt(3)
	v_cndmask_b32_e64 v10, v10, v14, s[14:15]
	v_cndmask_b32_e64 v23, v23, v28, s[16:17]
	s_waitcnt lgkmcnt(2)
	v_cndmask_b32_e64 v12, v12, v15, s[14:15]
	s_waitcnt lgkmcnt(1)
	v_cndmask_b32_e64 v28, v10, v11, s[16:17]
	ds_bpermute_b32 v10, v47, v6
	ds_bpermute_b32 v11, v47, v5
	v_cndmask_b32_e64 v24, v18, v27, s[16:17]
	ds_bpermute_b32 v14, v47, v8
	s_waitcnt lgkmcnt(3)
	v_cndmask_b32_e64 v27, v12, v13, s[16:17]
	ds_bpermute_b32 v12, v47, v7
	ds_bpermute_b32 v13, v47, v2
	s_waitcnt lgkmcnt(4)
	v_cndmask_b32_e64 v10, 0, v10, s[10:11]
	s_waitcnt lgkmcnt(3)
	v_cndmask_b32_e64 v11, 0, v11, s[10:11]
	;; [unrolled: 2-line block ×4, first 2 shown]
	ds_bpermute_b32 v12, v47, v1
	ds_bpermute_b32 v14, v47, v4
	;; [unrolled: 1-line block ×3, first 2 shown]
	s_waitcnt lgkmcnt(3)
	v_cndmask_b32_e64 v10, v10, v13, s[14:15]
	ds_bpermute_b32 v13, v48, v6
	s_waitcnt lgkmcnt(3)
	v_cndmask_b32_e64 v11, v11, v12, s[14:15]
	s_waitcnt lgkmcnt(2)
	v_cndmask_b32_e64 v30, v10, v14, s[16:17]
	ds_bpermute_b32 v10, v48, v5
	s_waitcnt lgkmcnt(2)
	v_cndmask_b32_e64 v29, v11, v15, s[16:17]
	s_waitcnt lgkmcnt(1)
	v_cndmask_b32_e64 v11, 0, v13, s[10:11]
	ds_bpermute_b32 v12, v48, v8
	ds_bpermute_b32 v13, v48, v7
	ds_bpermute_b32 v6, v37, v6
	ds_bpermute_b32 v5, v37, v5
	ds_bpermute_b32 v8, v37, v8
	ds_bpermute_b32 v7, v37, v7
	ds_bpermute_b32 v14, v48, v2
	s_waitcnt lgkmcnt(7)
	v_cndmask_b32_e64 v10, 0, v10, s[10:11]
	ds_bpermute_b32 v15, v48, v1
	ds_bpermute_b32 v2, v37, v2
	;; [unrolled: 1-line block ×3, first 2 shown]
	s_waitcnt lgkmcnt(9)
	v_cndmask_b32_e64 v11, v11, v12, s[12:13]
	s_waitcnt lgkmcnt(8)
	v_cndmask_b32_e64 v10, v10, v13, s[12:13]
	ds_bpermute_b32 v12, v48, v4
	ds_bpermute_b32 v13, v48, v3
	;; [unrolled: 1-line block ×4, first 2 shown]
	s_waitcnt lgkmcnt(11)
	v_cndmask_b32_e64 v6, 0, v6, s[10:11]
	s_waitcnt lgkmcnt(10)
	v_cndmask_b32_e64 v5, 0, v5, s[10:11]
	;; [unrolled: 2-line block ×12, first 2 shown]
	s_mov_b32 s33, 8
	s_mov_b32 s44, 32
	;; [unrolled: 1-line block ×3, first 2 shown]
	s_barrier
	s_branch .LBB181_4
.LBB181_3:                              ;   in Loop: Header=BB181_4 Depth=2
	s_andn2_b64 vcc, exec, s[38:39]
	s_cbranch_vccz .LBB181_1
.LBB181_4:                              ;   Parent Loop BB181_2 Depth=1
                                        ; =>  This Inner Loop Header: Depth=2
	s_min_i32 s40, s33, 32
	s_cmp_lt_u32 s45, 32
	s_cselect_b64 s[38:39], -1, 0
	s_cmp_gt_u32 s45, 31
	s_cselect_b64 vcc, -1, 0
	s_sub_i32 s40, s40, 32
	s_add_i32 s41, s40, s44
	s_lshl_b32 s41, -1, s41
	s_not_b32 s41, s41
	s_cmp_lg_u32 s40, s45
	s_cselect_b32 s52, s41, -1
	s_max_i32 s50, s44, 0
	s_max_i32 s40, s45, 32
	s_sub_i32 s53, s40, 32
	s_sub_i32 s40, s40, s50
	;; [unrolled: 1-line block ×3, first 2 shown]
	s_min_i32 s40, s40, 32
	s_sub_i32 s40, s40, s53
	s_lshl_b32 s41, -1, s40
	s_not_b32 s41, s41
	v_mov_b32_e32 v17, v19
	s_cmp_lg_u32 s40, 32
	v_mov_b32_e32 v18, v20
	s_cselect_b32 s54, s41, -1
	v_lshrrev_b32_e32 v19, s53, v17
	v_lshrrev_b32_e32 v10, s45, v18
	v_and_b32_e32 v19, s54, v19
	v_and_b32_e32 v10, s52, v10
	v_lshlrev_b32_e32 v19, s50, v19
	v_cndmask_b32_e64 v10, 0, v10, s[38:39]
	v_cndmask_b32_e32 v19, 0, v19, vcc
	v_or_b32_e32 v19, v10, v19
	v_and_b32_e32 v10, 1, v19
	v_mov_b32_e32 v15, v21
	v_add_co_u32_e64 v20, s[40:41], -1, v10
	v_mov_b32_e32 v16, v22
	v_addc_co_u32_e64 v22, s[40:41], 0, -1, s[40:41]
	v_cmp_ne_u32_e64 s[40:41], 0, v10
	v_xor_b32_e32 v10, s41, v22
	v_and_b32_e32 v22, exec_hi, v10
	v_lshlrev_b32_e32 v10, 30, v19
	v_xor_b32_e32 v20, s40, v20
	v_cmp_gt_i64_e64 s[40:41], 0, v[9:10]
	v_not_b32_e32 v10, v10
	v_mov_b32_e32 v13, v23
	v_ashrrev_i32_e32 v10, 31, v10
	v_mov_b32_e32 v14, v24
	v_and_b32_e32 v20, exec_lo, v20
	v_xor_b32_e32 v23, s41, v10
	v_xor_b32_e32 v10, s40, v10
	v_and_b32_e32 v20, v20, v10
	v_lshlrev_b32_e32 v10, 29, v19
	v_cmp_gt_i64_e64 s[40:41], 0, v[9:10]
	v_not_b32_e32 v10, v10
	v_ashrrev_i32_e32 v10, 31, v10
	v_and_b32_e32 v22, v22, v23
	v_xor_b32_e32 v23, s41, v10
	v_xor_b32_e32 v10, s40, v10
	v_and_b32_e32 v20, v20, v10
	v_lshlrev_b32_e32 v10, 28, v19
	v_cmp_gt_i64_e64 s[40:41], 0, v[9:10]
	v_not_b32_e32 v10, v10
	v_ashrrev_i32_e32 v10, 31, v10
	v_and_b32_e32 v22, v22, v23
	;; [unrolled: 8-line block ×5, first 2 shown]
	v_xor_b32_e32 v23, s41, v10
	v_xor_b32_e32 v10, s40, v10
	v_and_b32_e32 v22, v22, v23
	v_and_b32_e32 v23, v20, v10
	v_lshlrev_b32_e32 v10, 24, v19
	v_cmp_gt_i64_e64 s[40:41], 0, v[9:10]
	v_not_b32_e32 v10, v10
	v_ashrrev_i32_e32 v10, 31, v10
	v_mul_lo_u32 v21, v19, 20
	v_xor_b32_e32 v19, s41, v10
	v_xor_b32_e32 v10, s40, v10
	v_and_b32_e32 v20, v22, v19
	v_and_b32_e32 v19, v23, v10
	v_mbcnt_lo_u32_b32 v10, v19, 0
	v_mbcnt_hi_u32_b32 v23, v20, v10
	v_cmp_ne_u64_e64 s[40:41], 0, v[19:20]
	v_mov_b32_e32 v7, v27
	v_mov_b32_e32 v5, v29
	;; [unrolled: 1-line block ×5, first 2 shown]
	v_cmp_eq_u32_e64 s[42:43], 0, v23
	v_mov_b32_e32 v8, v28
	v_mov_b32_e32 v6, v30
	;; [unrolled: 1-line block ×5, first 2 shown]
	s_and_b64 s[42:43], s[42:43], s[40:41]
	v_add_u32_e32 v24, v43, v21
	ds_write2_b32 v45, v9, v9 offset0:5 offset1:6
	ds_write2_b32 v45, v9, v9 offset0:7 offset1:8
	s_waitcnt lgkmcnt(0)
	s_barrier
	; wave barrier
	s_and_saveexec_b64 s[40:41], s[42:43]
; %bb.5:                                ;   in Loop: Header=BB181_4 Depth=2
	v_bcnt_u32_b32 v10, v19, 0
	v_bcnt_u32_b32 v10, v20, v10
	ds_write_b32 v24, v10 offset:20
; %bb.6:                                ;   in Loop: Header=BB181_4 Depth=2
	s_or_b64 exec, exec, s[40:41]
	v_lshrrev_b32_e32 v19, s53, v15
	v_lshrrev_b32_e32 v10, s45, v16
	v_and_b32_e32 v19, s54, v19
	v_and_b32_e32 v10, s52, v10
	v_lshlrev_b32_e32 v19, s50, v19
	v_cndmask_b32_e64 v10, 0, v10, s[38:39]
	v_cndmask_b32_e32 v19, 0, v19, vcc
	v_or_b32_e32 v19, v10, v19
	v_mul_lo_u32 v10, v19, 20
	; wave barrier
	v_add_u32_e32 v26, v43, v10
	v_and_b32_e32 v10, 1, v19
	v_add_co_u32_e64 v20, s[40:41], -1, v10
	v_addc_co_u32_e64 v21, s[40:41], 0, -1, s[40:41]
	v_cmp_ne_u32_e64 s[40:41], 0, v10
	v_xor_b32_e32 v10, s41, v21
	v_and_b32_e32 v21, exec_hi, v10
	v_lshlrev_b32_e32 v10, 30, v19
	v_xor_b32_e32 v20, s40, v20
	v_cmp_gt_i64_e64 s[40:41], 0, v[9:10]
	v_not_b32_e32 v10, v10
	v_ashrrev_i32_e32 v10, 31, v10
	v_and_b32_e32 v20, exec_lo, v20
	v_xor_b32_e32 v22, s41, v10
	v_xor_b32_e32 v10, s40, v10
	v_and_b32_e32 v20, v20, v10
	v_lshlrev_b32_e32 v10, 29, v19
	v_cmp_gt_i64_e64 s[40:41], 0, v[9:10]
	v_not_b32_e32 v10, v10
	v_ashrrev_i32_e32 v10, 31, v10
	v_and_b32_e32 v21, v21, v22
	v_xor_b32_e32 v22, s41, v10
	v_xor_b32_e32 v10, s40, v10
	v_and_b32_e32 v20, v20, v10
	v_lshlrev_b32_e32 v10, 28, v19
	v_cmp_gt_i64_e64 s[40:41], 0, v[9:10]
	v_not_b32_e32 v10, v10
	v_ashrrev_i32_e32 v10, 31, v10
	v_and_b32_e32 v21, v21, v22
	v_xor_b32_e32 v22, s41, v10
	v_xor_b32_e32 v10, s40, v10
	v_and_b32_e32 v20, v20, v10
	v_lshlrev_b32_e32 v10, 27, v19
	v_cmp_gt_i64_e64 s[40:41], 0, v[9:10]
	v_not_b32_e32 v10, v10
	v_ashrrev_i32_e32 v10, 31, v10
	v_and_b32_e32 v21, v21, v22
	v_xor_b32_e32 v22, s41, v10
	v_xor_b32_e32 v10, s40, v10
	v_and_b32_e32 v20, v20, v10
	v_lshlrev_b32_e32 v10, 26, v19
	v_cmp_gt_i64_e64 s[40:41], 0, v[9:10]
	v_not_b32_e32 v10, v10
	v_ashrrev_i32_e32 v10, 31, v10
	v_and_b32_e32 v21, v21, v22
	v_xor_b32_e32 v22, s41, v10
	v_xor_b32_e32 v10, s40, v10
	v_and_b32_e32 v20, v20, v10
	v_lshlrev_b32_e32 v10, 25, v19
	v_cmp_gt_i64_e64 s[40:41], 0, v[9:10]
	v_not_b32_e32 v10, v10
	v_ashrrev_i32_e32 v10, 31, v10
	v_and_b32_e32 v21, v21, v22
	v_xor_b32_e32 v22, s41, v10
	v_xor_b32_e32 v10, s40, v10
	v_and_b32_e32 v21, v21, v22
	v_and_b32_e32 v22, v20, v10
	v_lshlrev_b32_e32 v10, 24, v19
	v_cmp_gt_i64_e64 s[40:41], 0, v[9:10]
	v_not_b32_e32 v10, v10
	v_ashrrev_i32_e32 v10, 31, v10
	v_xor_b32_e32 v19, s41, v10
	v_xor_b32_e32 v10, s40, v10
	ds_read_b32 v25, v26 offset:20
	v_and_b32_e32 v20, v21, v19
	v_and_b32_e32 v19, v22, v10
	v_mbcnt_lo_u32_b32 v10, v19, 0
	v_mbcnt_hi_u32_b32 v27, v20, v10
	v_cmp_ne_u64_e64 s[40:41], 0, v[19:20]
	v_cmp_eq_u32_e64 s[42:43], 0, v27
	s_and_b64 s[42:43], s[42:43], s[40:41]
	; wave barrier
	s_and_saveexec_b64 s[40:41], s[42:43]
	s_cbranch_execz .LBB181_8
; %bb.7:                                ;   in Loop: Header=BB181_4 Depth=2
	v_bcnt_u32_b32 v10, v19, 0
	v_bcnt_u32_b32 v10, v20, v10
	s_waitcnt lgkmcnt(0)
	v_add_u32_e32 v10, v25, v10
	ds_write_b32 v26, v10 offset:20
.LBB181_8:                              ;   in Loop: Header=BB181_4 Depth=2
	s_or_b64 exec, exec, s[40:41]
	v_lshrrev_b32_e32 v19, s53, v13
	v_lshrrev_b32_e32 v10, s45, v14
	v_and_b32_e32 v19, s54, v19
	v_and_b32_e32 v10, s52, v10
	v_lshlrev_b32_e32 v19, s50, v19
	v_cndmask_b32_e64 v10, 0, v10, s[38:39]
	v_cndmask_b32_e32 v19, 0, v19, vcc
	v_or_b32_e32 v19, v10, v19
	v_mul_lo_u32 v10, v19, 20
	; wave barrier
	v_add_u32_e32 v29, v43, v10
	v_and_b32_e32 v10, 1, v19
	v_add_co_u32_e64 v20, s[40:41], -1, v10
	v_addc_co_u32_e64 v21, s[40:41], 0, -1, s[40:41]
	v_cmp_ne_u32_e64 s[40:41], 0, v10
	v_xor_b32_e32 v10, s41, v21
	v_and_b32_e32 v21, exec_hi, v10
	v_lshlrev_b32_e32 v10, 30, v19
	v_xor_b32_e32 v20, s40, v20
	v_cmp_gt_i64_e64 s[40:41], 0, v[9:10]
	v_not_b32_e32 v10, v10
	v_ashrrev_i32_e32 v10, 31, v10
	v_and_b32_e32 v20, exec_lo, v20
	v_xor_b32_e32 v22, s41, v10
	v_xor_b32_e32 v10, s40, v10
	v_and_b32_e32 v20, v20, v10
	v_lshlrev_b32_e32 v10, 29, v19
	v_cmp_gt_i64_e64 s[40:41], 0, v[9:10]
	v_not_b32_e32 v10, v10
	v_ashrrev_i32_e32 v10, 31, v10
	v_and_b32_e32 v21, v21, v22
	v_xor_b32_e32 v22, s41, v10
	v_xor_b32_e32 v10, s40, v10
	v_and_b32_e32 v20, v20, v10
	v_lshlrev_b32_e32 v10, 28, v19
	v_cmp_gt_i64_e64 s[40:41], 0, v[9:10]
	v_not_b32_e32 v10, v10
	v_ashrrev_i32_e32 v10, 31, v10
	v_and_b32_e32 v21, v21, v22
	;; [unrolled: 8-line block ×5, first 2 shown]
	v_xor_b32_e32 v22, s41, v10
	v_xor_b32_e32 v10, s40, v10
	v_and_b32_e32 v21, v21, v22
	v_and_b32_e32 v22, v20, v10
	v_lshlrev_b32_e32 v10, 24, v19
	v_cmp_gt_i64_e64 s[40:41], 0, v[9:10]
	v_not_b32_e32 v10, v10
	v_ashrrev_i32_e32 v10, 31, v10
	v_xor_b32_e32 v19, s41, v10
	v_xor_b32_e32 v10, s40, v10
	ds_read_b32 v28, v29 offset:20
	v_and_b32_e32 v20, v21, v19
	v_and_b32_e32 v19, v22, v10
	v_mbcnt_lo_u32_b32 v10, v19, 0
	v_mbcnt_hi_u32_b32 v30, v20, v10
	v_cmp_ne_u64_e64 s[40:41], 0, v[19:20]
	v_cmp_eq_u32_e64 s[42:43], 0, v30
	s_and_b64 s[42:43], s[42:43], s[40:41]
	; wave barrier
	s_and_saveexec_b64 s[40:41], s[42:43]
	s_cbranch_execz .LBB181_10
; %bb.9:                                ;   in Loop: Header=BB181_4 Depth=2
	v_bcnt_u32_b32 v10, v19, 0
	v_bcnt_u32_b32 v10, v20, v10
	s_waitcnt lgkmcnt(0)
	v_add_u32_e32 v10, v28, v10
	ds_write_b32 v29, v10 offset:20
.LBB181_10:                             ;   in Loop: Header=BB181_4 Depth=2
	s_or_b64 exec, exec, s[40:41]
	v_lshrrev_b32_e32 v19, s53, v11
	v_lshrrev_b32_e32 v10, s45, v12
	v_and_b32_e32 v19, s54, v19
	v_and_b32_e32 v10, s52, v10
	v_lshlrev_b32_e32 v19, s50, v19
	v_cndmask_b32_e64 v10, 0, v10, s[38:39]
	v_cndmask_b32_e32 v19, 0, v19, vcc
	v_or_b32_e32 v19, v10, v19
	v_mul_lo_u32 v10, v19, 20
	; wave barrier
	v_add_u32_e32 v32, v43, v10
	v_and_b32_e32 v10, 1, v19
	v_add_co_u32_e32 v20, vcc, -1, v10
	v_addc_co_u32_e64 v21, s[38:39], 0, -1, vcc
	v_cmp_ne_u32_e32 vcc, 0, v10
	v_xor_b32_e32 v10, vcc_hi, v21
	v_and_b32_e32 v21, exec_hi, v10
	v_lshlrev_b32_e32 v10, 30, v19
	v_xor_b32_e32 v20, vcc_lo, v20
	v_cmp_gt_i64_e32 vcc, 0, v[9:10]
	v_not_b32_e32 v10, v10
	v_ashrrev_i32_e32 v10, 31, v10
	v_and_b32_e32 v20, exec_lo, v20
	v_xor_b32_e32 v22, vcc_hi, v10
	v_xor_b32_e32 v10, vcc_lo, v10
	v_and_b32_e32 v20, v20, v10
	v_lshlrev_b32_e32 v10, 29, v19
	v_cmp_gt_i64_e32 vcc, 0, v[9:10]
	v_not_b32_e32 v10, v10
	v_ashrrev_i32_e32 v10, 31, v10
	v_and_b32_e32 v21, v21, v22
	v_xor_b32_e32 v22, vcc_hi, v10
	v_xor_b32_e32 v10, vcc_lo, v10
	v_and_b32_e32 v20, v20, v10
	v_lshlrev_b32_e32 v10, 28, v19
	v_cmp_gt_i64_e32 vcc, 0, v[9:10]
	v_not_b32_e32 v10, v10
	v_ashrrev_i32_e32 v10, 31, v10
	v_and_b32_e32 v21, v21, v22
	;; [unrolled: 8-line block ×5, first 2 shown]
	v_xor_b32_e32 v22, vcc_hi, v10
	v_xor_b32_e32 v10, vcc_lo, v10
	v_and_b32_e32 v21, v21, v22
	v_and_b32_e32 v22, v20, v10
	v_lshlrev_b32_e32 v10, 24, v19
	v_cmp_gt_i64_e32 vcc, 0, v[9:10]
	v_not_b32_e32 v10, v10
	v_ashrrev_i32_e32 v10, 31, v10
	v_xor_b32_e32 v19, vcc_hi, v10
	v_xor_b32_e32 v10, vcc_lo, v10
	ds_read_b32 v31, v32 offset:20
	v_and_b32_e32 v20, v21, v19
	v_and_b32_e32 v19, v22, v10
	v_mbcnt_lo_u32_b32 v10, v19, 0
	v_mbcnt_hi_u32_b32 v10, v20, v10
	v_cmp_ne_u64_e32 vcc, 0, v[19:20]
	v_cmp_eq_u32_e64 s[38:39], 0, v10
	s_and_b64 s[40:41], s[38:39], vcc
	; wave barrier
	s_and_saveexec_b64 s[38:39], s[40:41]
	s_cbranch_execz .LBB181_12
; %bb.11:                               ;   in Loop: Header=BB181_4 Depth=2
	v_bcnt_u32_b32 v19, v19, 0
	v_bcnt_u32_b32 v19, v20, v19
	s_waitcnt lgkmcnt(0)
	v_add_u32_e32 v19, v31, v19
	ds_write_b32 v32, v19 offset:20
.LBB181_12:                             ;   in Loop: Header=BB181_4 Depth=2
	s_or_b64 exec, exec, s[38:39]
	; wave barrier
	s_waitcnt lgkmcnt(0)
	s_barrier
	ds_read2_b32 v[21:22], v45 offset0:5 offset1:6
	ds_read2_b32 v[19:20], v45 offset0:7 offset1:8
	s_waitcnt lgkmcnt(1)
	v_add_u32_e32 v33, v22, v21
	s_waitcnt lgkmcnt(0)
	v_add3_u32 v20, v33, v19, v20
	s_nop 1
	v_mov_b32_dpp v33, v20 row_shr:1 row_mask:0xf bank_mask:0xf
	v_cndmask_b32_e64 v33, v33, 0, s[18:19]
	v_add_u32_e32 v20, v33, v20
	s_nop 1
	v_mov_b32_dpp v33, v20 row_shr:2 row_mask:0xf bank_mask:0xf
	v_cndmask_b32_e64 v33, 0, v33, s[20:21]
	v_add_u32_e32 v20, v20, v33
	;; [unrolled: 4-line block ×4, first 2 shown]
	s_nop 1
	v_mov_b32_dpp v33, v20 row_bcast:15 row_mask:0xf bank_mask:0xf
	v_cndmask_b32_e64 v33, v33, 0, s[26:27]
	v_add_u32_e32 v20, v20, v33
	s_nop 1
	v_mov_b32_dpp v33, v20 row_bcast:31 row_mask:0xf bank_mask:0xf
	v_cndmask_b32_e64 v33, 0, v33, s[6:7]
	v_add_u32_e32 v20, v20, v33
	s_and_saveexec_b64 s[38:39], s[36:37]
; %bb.13:                               ;   in Loop: Header=BB181_4 Depth=2
	ds_write_b32 v42, v20
; %bb.14:                               ;   in Loop: Header=BB181_4 Depth=2
	s_or_b64 exec, exec, s[38:39]
	s_waitcnt lgkmcnt(0)
	s_barrier
	s_and_saveexec_b64 s[38:39], s[0:1]
	s_cbranch_execz .LBB181_16
; %bb.15:                               ;   in Loop: Header=BB181_4 Depth=2
	ds_read_b32 v33, v46
	s_waitcnt lgkmcnt(0)
	s_nop 0
	v_mov_b32_dpp v34, v33 row_shr:1 row_mask:0xf bank_mask:0xf
	v_cndmask_b32_e64 v34, v34, 0, s[28:29]
	v_add_u32_e32 v33, v34, v33
	s_nop 1
	v_mov_b32_dpp v34, v33 row_shr:2 row_mask:0xf bank_mask:0xf
	v_cndmask_b32_e64 v34, 0, v34, s[30:31]
	v_add_u32_e32 v33, v33, v34
	;; [unrolled: 4-line block ×3, first 2 shown]
	ds_write_b32 v46, v33
.LBB181_16:                             ;   in Loop: Header=BB181_4 Depth=2
	s_or_b64 exec, exec, s[38:39]
	v_mov_b32_e32 v33, 0
	s_waitcnt lgkmcnt(0)
	s_barrier
	s_and_saveexec_b64 s[38:39], s[2:3]
; %bb.17:                               ;   in Loop: Header=BB181_4 Depth=2
	ds_read_b32 v33, v49
; %bb.18:                               ;   in Loop: Header=BB181_4 Depth=2
	s_or_b64 exec, exec, s[38:39]
	s_waitcnt lgkmcnt(0)
	v_add_u32_e32 v20, v33, v20
	ds_bpermute_b32 v20, v36, v20
	s_cmp_gt_u32 s45, 55
	s_mov_b64 s[38:39], -1
	s_waitcnt lgkmcnt(0)
	v_cndmask_b32_e64 v20, v20, v33, s[8:9]
	v_cndmask_b32_e64 v20, v20, 0, s[4:5]
	v_add_u32_e32 v21, v20, v21
	v_add_u32_e32 v22, v21, v22
	;; [unrolled: 1-line block ×3, first 2 shown]
	ds_write2_b32 v45, v20, v21 offset0:5 offset1:6
	ds_write2_b32 v45, v22, v19 offset0:7 offset1:8
	s_waitcnt lgkmcnt(0)
	s_barrier
	ds_read_b32 v19, v24 offset:20
	ds_read_b32 v20, v26 offset:20
	;; [unrolled: 1-line block ×4, first 2 shown]
	s_waitcnt lgkmcnt(0)
	v_add_u32_e32 v19, v19, v23
	v_add3_u32 v20, v27, v25, v20
	v_add3_u32 v21, v30, v28, v21
	v_add3_u32 v22, v10, v31, v22
	v_lshrrev_b32_e32 v10, 2, v19
	v_and_b32_e32 v10, 0x3ffffff8, v10
	v_lshl_add_u32 v10, v19, 3, v10
	v_lshrrev_b32_e32 v19, 2, v20
	v_and_b32_e32 v19, 0x3ffffff8, v19
	v_lshl_add_u32 v50, v20, 3, v19
	v_lshrrev_b32_e32 v19, 2, v21
	v_and_b32_e32 v19, 0x3ffffff8, v19
	v_lshl_add_u32 v51, v21, 3, v19
	v_lshrrev_b32_e32 v19, 2, v22
	v_and_b32_e32 v19, 0x3ffffff8, v19
	v_lshl_add_u32 v52, v22, 3, v19
                                        ; implicit-def: $vgpr27_vgpr28
                                        ; implicit-def: $vgpr29_vgpr30
                                        ; implicit-def: $vgpr31_vgpr32
                                        ; implicit-def: $vgpr33_vgpr34
                                        ; implicit-def: $vgpr19_vgpr20
                                        ; implicit-def: $vgpr21_vgpr22
                                        ; implicit-def: $vgpr23_vgpr24
                                        ; implicit-def: $vgpr25_vgpr26
	s_cbranch_scc1 .LBB181_3
; %bb.19:                               ;   in Loop: Header=BB181_4 Depth=2
	s_barrier
	ds_write_b64 v10, v[17:18]
	ds_write_b64 v50, v[15:16]
	;; [unrolled: 1-line block ×4, first 2 shown]
	s_waitcnt lgkmcnt(0)
	s_barrier
	ds_read_b64 v[19:20], v38
	ds_read_b64 v[21:22], v39 offset:512
	ds_read_b64 v[23:24], v40 offset:1024
	;; [unrolled: 1-line block ×3, first 2 shown]
	s_waitcnt lgkmcnt(0)
	s_barrier
	ds_write_b64 v10, v[7:8]
	ds_write_b64 v50, v[5:6]
	ds_write_b64 v51, v[3:4]
	ds_write_b64 v52, v[1:2]
	s_waitcnt lgkmcnt(0)
	s_barrier
	ds_read_b64 v[27:28], v38
	ds_read_b64 v[29:30], v39 offset:512
	ds_read_b64 v[31:32], v40 offset:1024
	ds_read_b64 v[33:34], v41 offset:1536
	s_add_i32 s44, s44, -8
	s_add_i32 s33, s33, 8
	s_add_i32 s45, s45, 8
	s_mov_b64 s[38:39], 0
	s_waitcnt lgkmcnt(0)
	s_barrier
	s_branch .LBB181_3
.LBB181_20:
	s_add_u32 s0, s46, s48
	s_addc_u32 s1, s47, s49
	v_lshlrev_b32_e32 v0, 3, v0
	s_waitcnt lgkmcnt(1)
	v_add_u32_e32 v5, v10, v5
	v_mov_b32_e32 v9, s1
	v_add_co_u32_e32 v10, vcc, s0, v0
	v_add_u32_e32 v6, v11, v6
	v_addc_co_u32_e32 v9, vcc, 0, v9, vcc
	v_add_u32_e32 v7, v12, v7
	v_add_u32_e32 v8, v13, v8
	global_store_dwordx2 v0, v[5:6], s[0:1]
	global_store_dwordx2 v0, v[7:8], s[0:1] offset:2560
	v_add_co_u32_e32 v5, vcc, 0x1000, v10
	s_waitcnt lgkmcnt(0)
	v_add_u32_e32 v1, v16, v1
	v_add_u32_e32 v2, v17, v2
	v_addc_co_u32_e32 v6, vcc, 0, v9, vcc
	v_add_u32_e32 v3, v14, v3
	v_add_u32_e32 v4, v15, v4
	global_store_dwordx2 v[5:6], v[1:2], off offset:1024
	global_store_dwordx2 v[5:6], v[3:4], off offset:3584
	s_endpgm
	.section	.rodata,"a",@progbits
	.p2align	6, 0x0
	.amdhsa_kernel _Z17sort_pairs_kernelI22helper_blocked_blockedN15benchmark_utils11custom_typeIiiEELj320ELj4ELj10EEvPKT0_PS4_
		.amdhsa_group_segment_fixed_size 10560
		.amdhsa_private_segment_fixed_size 0
		.amdhsa_kernarg_size 272
		.amdhsa_user_sgpr_count 6
		.amdhsa_user_sgpr_private_segment_buffer 1
		.amdhsa_user_sgpr_dispatch_ptr 0
		.amdhsa_user_sgpr_queue_ptr 0
		.amdhsa_user_sgpr_kernarg_segment_ptr 1
		.amdhsa_user_sgpr_dispatch_id 0
		.amdhsa_user_sgpr_flat_scratch_init 0
		.amdhsa_user_sgpr_private_segment_size 0
		.amdhsa_uses_dynamic_stack 0
		.amdhsa_system_sgpr_private_segment_wavefront_offset 0
		.amdhsa_system_sgpr_workgroup_id_x 1
		.amdhsa_system_sgpr_workgroup_id_y 0
		.amdhsa_system_sgpr_workgroup_id_z 0
		.amdhsa_system_sgpr_workgroup_info 0
		.amdhsa_system_vgpr_workitem_id 2
		.amdhsa_next_free_vgpr 53
		.amdhsa_next_free_sgpr 61
		.amdhsa_reserve_vcc 1
		.amdhsa_reserve_flat_scratch 0
		.amdhsa_float_round_mode_32 0
		.amdhsa_float_round_mode_16_64 0
		.amdhsa_float_denorm_mode_32 3
		.amdhsa_float_denorm_mode_16_64 3
		.amdhsa_dx10_clamp 1
		.amdhsa_ieee_mode 1
		.amdhsa_fp16_overflow 0
		.amdhsa_exception_fp_ieee_invalid_op 0
		.amdhsa_exception_fp_denorm_src 0
		.amdhsa_exception_fp_ieee_div_zero 0
		.amdhsa_exception_fp_ieee_overflow 0
		.amdhsa_exception_fp_ieee_underflow 0
		.amdhsa_exception_fp_ieee_inexact 0
		.amdhsa_exception_int_div_zero 0
	.end_amdhsa_kernel
	.section	.text._Z17sort_pairs_kernelI22helper_blocked_blockedN15benchmark_utils11custom_typeIiiEELj320ELj4ELj10EEvPKT0_PS4_,"axG",@progbits,_Z17sort_pairs_kernelI22helper_blocked_blockedN15benchmark_utils11custom_typeIiiEELj320ELj4ELj10EEvPKT0_PS4_,comdat
.Lfunc_end181:
	.size	_Z17sort_pairs_kernelI22helper_blocked_blockedN15benchmark_utils11custom_typeIiiEELj320ELj4ELj10EEvPKT0_PS4_, .Lfunc_end181-_Z17sort_pairs_kernelI22helper_blocked_blockedN15benchmark_utils11custom_typeIiiEELj320ELj4ELj10EEvPKT0_PS4_
                                        ; -- End function
	.set _Z17sort_pairs_kernelI22helper_blocked_blockedN15benchmark_utils11custom_typeIiiEELj320ELj4ELj10EEvPKT0_PS4_.num_vgpr, 53
	.set _Z17sort_pairs_kernelI22helper_blocked_blockedN15benchmark_utils11custom_typeIiiEELj320ELj4ELj10EEvPKT0_PS4_.num_agpr, 0
	.set _Z17sort_pairs_kernelI22helper_blocked_blockedN15benchmark_utils11custom_typeIiiEELj320ELj4ELj10EEvPKT0_PS4_.numbered_sgpr, 55
	.set _Z17sort_pairs_kernelI22helper_blocked_blockedN15benchmark_utils11custom_typeIiiEELj320ELj4ELj10EEvPKT0_PS4_.num_named_barrier, 0
	.set _Z17sort_pairs_kernelI22helper_blocked_blockedN15benchmark_utils11custom_typeIiiEELj320ELj4ELj10EEvPKT0_PS4_.private_seg_size, 0
	.set _Z17sort_pairs_kernelI22helper_blocked_blockedN15benchmark_utils11custom_typeIiiEELj320ELj4ELj10EEvPKT0_PS4_.uses_vcc, 1
	.set _Z17sort_pairs_kernelI22helper_blocked_blockedN15benchmark_utils11custom_typeIiiEELj320ELj4ELj10EEvPKT0_PS4_.uses_flat_scratch, 0
	.set _Z17sort_pairs_kernelI22helper_blocked_blockedN15benchmark_utils11custom_typeIiiEELj320ELj4ELj10EEvPKT0_PS4_.has_dyn_sized_stack, 0
	.set _Z17sort_pairs_kernelI22helper_blocked_blockedN15benchmark_utils11custom_typeIiiEELj320ELj4ELj10EEvPKT0_PS4_.has_recursion, 0
	.set _Z17sort_pairs_kernelI22helper_blocked_blockedN15benchmark_utils11custom_typeIiiEELj320ELj4ELj10EEvPKT0_PS4_.has_indirect_call, 0
	.section	.AMDGPU.csdata,"",@progbits
; Kernel info:
; codeLenInByte = 4864
; TotalNumSgprs: 59
; NumVgprs: 53
; ScratchSize: 0
; MemoryBound: 0
; FloatMode: 240
; IeeeMode: 1
; LDSByteSize: 10560 bytes/workgroup (compile time only)
; SGPRBlocks: 8
; VGPRBlocks: 13
; NumSGPRsForWavesPerEU: 65
; NumVGPRsForWavesPerEU: 53
; Occupancy: 4
; WaveLimiterHint : 1
; COMPUTE_PGM_RSRC2:SCRATCH_EN: 0
; COMPUTE_PGM_RSRC2:USER_SGPR: 6
; COMPUTE_PGM_RSRC2:TRAP_HANDLER: 0
; COMPUTE_PGM_RSRC2:TGID_X_EN: 1
; COMPUTE_PGM_RSRC2:TGID_Y_EN: 0
; COMPUTE_PGM_RSRC2:TGID_Z_EN: 0
; COMPUTE_PGM_RSRC2:TIDIG_COMP_CNT: 2
	.section	.text._Z16sort_keys_kernelI22helper_blocked_blockedN15benchmark_utils11custom_typeIiiEELj320ELj8ELj10EEvPKT0_PS4_,"axG",@progbits,_Z16sort_keys_kernelI22helper_blocked_blockedN15benchmark_utils11custom_typeIiiEELj320ELj8ELj10EEvPKT0_PS4_,comdat
	.protected	_Z16sort_keys_kernelI22helper_blocked_blockedN15benchmark_utils11custom_typeIiiEELj320ELj8ELj10EEvPKT0_PS4_ ; -- Begin function _Z16sort_keys_kernelI22helper_blocked_blockedN15benchmark_utils11custom_typeIiiEELj320ELj8ELj10EEvPKT0_PS4_
	.globl	_Z16sort_keys_kernelI22helper_blocked_blockedN15benchmark_utils11custom_typeIiiEELj320ELj8ELj10EEvPKT0_PS4_
	.p2align	8
	.type	_Z16sort_keys_kernelI22helper_blocked_blockedN15benchmark_utils11custom_typeIiiEELj320ELj8ELj10EEvPKT0_PS4_,@function
_Z16sort_keys_kernelI22helper_blocked_blockedN15benchmark_utils11custom_typeIiiEELj320ELj8ELj10EEvPKT0_PS4_: ; @_Z16sort_keys_kernelI22helper_blocked_blockedN15benchmark_utils11custom_typeIiiEELj320ELj8ELj10EEvPKT0_PS4_
; %bb.0:
	s_load_dwordx4 s[36:39], s[4:5], 0x0
	s_load_dword s2, s[4:5], 0x1c
	s_mul_i32 s40, s6, 0xa00
	s_mov_b32 s41, 0
	s_lshl_b64 s[42:43], s[40:41], 3
	s_waitcnt lgkmcnt(0)
	s_add_u32 s0, s36, s42
	s_addc_u32 s1, s37, s43
	v_lshlrev_b32_e32 v26, 3, v0
	v_mov_b32_e32 v4, s1
	v_add_co_u32_e32 v14, vcc, s0, v26
	v_addc_co_u32_e32 v15, vcc, 0, v4, vcc
	s_movk_i32 s3, 0x1000
	v_add_co_u32_e32 v12, vcc, s3, v14
	v_addc_co_u32_e32 v13, vcc, 0, v15, vcc
	global_load_dwordx2 v[4:5], v26, s[0:1]
	global_load_dwordx2 v[8:9], v26, s[0:1] offset:2560
	global_load_dwordx2 v[6:7], v[12:13], off offset:1024
	global_load_dwordx2 v[10:11], v[12:13], off offset:3584
	s_movk_i32 s0, 0x2000
	v_add_co_u32_e32 v20, vcc, s0, v14
	v_addc_co_u32_e32 v21, vcc, 0, v15, vcc
	s_movk_i32 s0, 0x3000
	v_add_co_u32_e32 v22, vcc, s0, v14
	v_addc_co_u32_e32 v23, vcc, 0, v15, vcc
	;; [unrolled: 3-line block ×3, first 2 shown]
	global_load_dwordx2 v[14:15], v[20:21], off offset:2048
	global_load_dwordx2 v[12:13], v[22:23], off offset:512
	;; [unrolled: 1-line block ×4, first 2 shown]
	v_mbcnt_lo_u32_b32 v20, -1, 0
	v_mbcnt_hi_u32_b32 v20, -1, v20
	v_and_b32_e32 v21, 0x1c0, v0
	v_add_u32_e32 v22, v20, v21
	v_lshlrev_b32_e32 v23, 1, v22
	v_and_b32_e32 v23, 0x7f8, v23
	s_movk_i32 s0, 0xe00
	v_lshl_add_u32 v35, v22, 6, v23
	v_and_or_b32 v22, v26, s0, v20
	v_lshrrev_b32_e32 v23, 2, v22
	v_and_b32_e32 v23, 0x398, v23
	v_lshlrev_b32_e32 v24, 3, v22
	v_add_u32_e32 v36, v23, v24
	v_add_u32_e32 v23, 64, v22
	v_lshrrev_b32_e32 v23, 2, v23
	v_and_b32_e32 v23, 0x3b8, v23
	v_add_u32_e32 v37, v23, v24
	v_or_b32_e32 v23, 0x80, v22
	v_lshrrev_b32_e32 v23, 2, v23
	v_and_b32_e32 v23, 0x3b8, v23
	v_add_u32_e32 v38, v23, v24
	v_add_u32_e32 v23, 0xc0, v22
	s_lshr_b32 s0, s2, 16
	v_lshrrev_b32_e32 v23, 2, v23
	s_and_b32 s1, s2, 0xffff
	v_mad_u32_u24 v1, v2, s0, v1
	v_and_b32_e32 v23, 0x3f8, v23
	v_mad_u64_u32 v[1:2], s[0:1], v1, s1, v[0:1]
	v_add_u32_e32 v39, v23, v24
	v_or_b32_e32 v23, 0x100, v22
	v_and_b32_e32 v2, 15, v20
	v_lshrrev_b32_e32 v23, 2, v23
	v_cmp_eq_u32_e64 s[0:1], 0, v2
	v_cmp_lt_u32_e64 s[2:3], 1, v2
	v_cmp_lt_u32_e64 s[4:5], 3, v2
	;; [unrolled: 1-line block ×3, first 2 shown]
	v_and_b32_e32 v2, 16, v20
	v_and_b32_e32 v23, 0x3d8, v23
	v_cmp_eq_u32_e64 s[8:9], 0, v2
	v_min_u32_e32 v2, 0x100, v21
	v_add_u32_e32 v40, v23, v24
	v_add_u32_e32 v23, 0x140, v22
	v_or_b32_e32 v2, 63, v2
	v_lshrrev_b32_e32 v23, 2, v23
	v_cmp_eq_u32_e64 s[12:13], v0, v2
	v_subrev_co_u32_e64 v2, s[18:19], 1, v20
	v_and_b32_e32 v21, 64, v20
	v_and_b32_e32 v23, 0x3f8, v23
	v_cmp_lt_i32_e32 vcc, v2, v21
	v_add_u32_e32 v41, v23, v24
	v_or_b32_e32 v23, 0x180, v22
	v_add_u32_e32 v22, 0x1c0, v22
	v_cndmask_b32_e32 v2, v2, v20, vcc
	v_lshrrev_b32_e32 v1, 4, v1
	v_lshrrev_b32_e32 v23, 2, v23
	v_lshrrev_b32_e32 v22, 2, v22
	v_lshlrev_b32_e32 v45, 2, v2
	v_lshrrev_b32_e32 v2, 4, v0
	v_and_b32_e32 v48, 0xffffffc, v1
	v_lshlrev_b32_e32 v1, 1, v0
	v_and_b32_e32 v23, 0x3f8, v23
	v_and_b32_e32 v22, 0x7f8, v22
	v_lshlrev_b32_e32 v44, 4, v0
	v_cmp_lt_u32_e64 s[10:11], 31, v20
	v_and_b32_e32 v46, 28, v2
	v_mul_i32_i24_e32 v2, -12, v0
	v_and_b32_e32 v20, 7, v20
	v_and_b32_e32 v1, 0x3f8, v1
	v_mov_b32_e32 v3, 0
	v_add_u32_e32 v42, v23, v24
	v_add_u32_e32 v43, v22, v24
	v_cmp_gt_u32_e64 s[14:15], 5, v0
	v_cmp_lt_u32_e64 s[16:17], 63, v0
	v_cmp_eq_u32_e64 s[20:21], 0, v0
	v_cmp_eq_u32_e64 s[22:23], 0, v20
	v_cmp_lt_u32_e64 s[24:25], 1, v20
	v_cmp_lt_u32_e64 s[26:27], 3, v20
	v_add_u32_e32 v47, -4, v46
	v_lshl_add_u32 v49, v0, 6, v1
	v_add_u32_e32 v50, v44, v2
	s_branch .LBB182_2
.LBB182_1:                              ;   in Loop: Header=BB182_2 Depth=1
	s_barrier
	ds_write_b64 v4, v[17:18]
	ds_write_b64 v51, v[15:16]
	;; [unrolled: 1-line block ×8, first 2 shown]
	s_waitcnt lgkmcnt(0)
	s_barrier
	ds_read2_b64 v[4:7], v49 offset1:1
	ds_read2_b64 v[10:13], v49 offset0:2 offset1:3
	ds_read2_b64 v[14:17], v49 offset0:4 offset1:5
	;; [unrolled: 1-line block ×3, first 2 shown]
	s_add_i32 s41, s41, 1
	s_waitcnt lgkmcnt(3)
	v_xor_b32_e32 v4, 0x80000000, v4
	v_xor_b32_e32 v5, 0x80000000, v5
	v_xor_b32_e32 v8, 0x80000000, v6
	v_xor_b32_e32 v9, 0x80000000, v7
	s_waitcnt lgkmcnt(2)
	v_xor_b32_e32 v6, 0x80000000, v10
	v_xor_b32_e32 v7, 0x80000000, v11
	v_xor_b32_e32 v10, 0x80000000, v12
	v_xor_b32_e32 v11, 0x80000000, v13
	;; [unrolled: 5-line block ×3, first 2 shown]
	s_waitcnt lgkmcnt(0)
	v_xor_b32_e32 v18, 0x80000000, v18
	v_xor_b32_e32 v19, 0x80000000, v19
	;; [unrolled: 1-line block ×3, first 2 shown]
	s_cmp_eq_u32 s41, 10
	v_xor_b32_e32 v17, 0x80000000, v21
	s_cbranch_scc1 .LBB182_28
.LBB182_2:                              ; =>This Loop Header: Depth=1
                                        ;     Child Loop BB182_4 Depth 2
	s_waitcnt vmcnt(7)
	v_xor_b32_e32 v2, 0x80000000, v5
	v_xor_b32_e32 v1, 0x80000000, v4
	s_waitcnt vmcnt(6)
	v_xor_b32_e32 v5, 0x80000000, v9
	v_xor_b32_e32 v4, 0x80000000, v8
	;; [unrolled: 3-line block ×8, first 2 shown]
	ds_write2_b64 v35, v[1:2], v[4:5] offset1:1
	ds_write2_b64 v35, v[6:7], v[8:9] offset0:2 offset1:3
	ds_write2_b64 v35, v[10:11], v[12:13] offset0:4 offset1:5
	;; [unrolled: 1-line block ×3, first 2 shown]
	; wave barrier
	ds_read_b64 v[19:20], v36
	ds_read_b64 v[21:22], v37 offset:512
	ds_read_b64 v[23:24], v38 offset:1024
	;; [unrolled: 1-line block ×7, first 2 shown]
	s_mov_b32 s33, 8
	s_mov_b32 s36, 32
	;; [unrolled: 1-line block ×3, first 2 shown]
	s_waitcnt lgkmcnt(0)
	s_barrier
	; wave barrier
	s_barrier
	s_branch .LBB182_4
.LBB182_3:                              ;   in Loop: Header=BB182_4 Depth=2
	s_andn2_b64 vcc, exec, s[28:29]
	s_cbranch_vccz .LBB182_1
.LBB182_4:                              ;   Parent Loop BB182_2 Depth=1
                                        ; =>  This Inner Loop Header: Depth=2
	s_min_i32 s30, s33, 32
	s_cmp_lt_u32 s37, 32
	s_cselect_b64 s[28:29], -1, 0
	s_cmp_gt_u32 s37, 31
	s_cselect_b64 vcc, -1, 0
	s_sub_i32 s30, s30, 32
	s_add_i32 s31, s30, s36
	s_lshl_b32 s31, -1, s31
	s_not_b32 s31, s31
	s_cmp_lg_u32 s30, s37
	s_cselect_b32 s44, s31, -1
	s_max_i32 s40, s36, 0
	s_max_i32 s30, s37, 32
	s_sub_i32 s45, s30, 32
	s_sub_i32 s30, s30, s40
	;; [unrolled: 1-line block ×3, first 2 shown]
	s_min_i32 s30, s30, 32
	s_sub_i32 s30, s30, s45
	s_lshl_b32 s31, -1, s30
	s_not_b32 s31, s31
	v_mov_b32_e32 v17, v19
	s_cmp_lg_u32 s30, 32
	v_mov_b32_e32 v18, v20
	s_cselect_b32 s46, s31, -1
	v_lshrrev_b32_e32 v19, s45, v17
	v_lshrrev_b32_e32 v4, s37, v18
	v_and_b32_e32 v19, s46, v19
	v_and_b32_e32 v4, s44, v4
	v_lshlrev_b32_e32 v19, s40, v19
	v_cndmask_b32_e64 v4, 0, v4, s[28:29]
	v_cndmask_b32_e32 v19, 0, v19, vcc
	v_or_b32_e32 v19, v4, v19
	v_and_b32_e32 v4, 1, v19
	v_mov_b32_e32 v15, v21
	v_add_co_u32_e64 v20, s[30:31], -1, v4
	v_mov_b32_e32 v16, v22
	v_addc_co_u32_e64 v22, s[30:31], 0, -1, s[30:31]
	v_cmp_ne_u32_e64 s[30:31], 0, v4
	v_xor_b32_e32 v4, s31, v22
	v_and_b32_e32 v22, exec_hi, v4
	v_lshlrev_b32_e32 v4, 30, v19
	v_xor_b32_e32 v20, s30, v20
	v_cmp_gt_i64_e64 s[30:31], 0, v[3:4]
	v_not_b32_e32 v4, v4
	v_mov_b32_e32 v13, v23
	v_ashrrev_i32_e32 v4, 31, v4
	v_mov_b32_e32 v14, v24
	v_and_b32_e32 v20, exec_lo, v20
	v_xor_b32_e32 v23, s31, v4
	v_xor_b32_e32 v4, s30, v4
	v_and_b32_e32 v20, v20, v4
	v_lshlrev_b32_e32 v4, 29, v19
	v_cmp_gt_i64_e64 s[30:31], 0, v[3:4]
	v_not_b32_e32 v4, v4
	v_ashrrev_i32_e32 v4, 31, v4
	v_and_b32_e32 v22, v22, v23
	v_xor_b32_e32 v23, s31, v4
	v_xor_b32_e32 v4, s30, v4
	v_and_b32_e32 v20, v20, v4
	v_lshlrev_b32_e32 v4, 28, v19
	v_cmp_gt_i64_e64 s[30:31], 0, v[3:4]
	v_not_b32_e32 v4, v4
	v_ashrrev_i32_e32 v4, 31, v4
	v_and_b32_e32 v22, v22, v23
	;; [unrolled: 8-line block ×5, first 2 shown]
	v_xor_b32_e32 v23, s31, v4
	v_xor_b32_e32 v4, s30, v4
	v_and_b32_e32 v22, v22, v23
	v_and_b32_e32 v23, v20, v4
	v_lshlrev_b32_e32 v4, 24, v19
	v_cmp_gt_i64_e64 s[30:31], 0, v[3:4]
	v_not_b32_e32 v4, v4
	v_ashrrev_i32_e32 v4, 31, v4
	v_mul_lo_u32 v21, v19, 20
	v_xor_b32_e32 v19, s31, v4
	v_xor_b32_e32 v4, s30, v4
	v_and_b32_e32 v20, v22, v19
	v_and_b32_e32 v19, v23, v4
	v_mbcnt_lo_u32_b32 v4, v19, 0
	v_mbcnt_hi_u32_b32 v23, v20, v4
	v_cmp_ne_u64_e64 s[30:31], 0, v[19:20]
	v_mov_b32_e32 v11, v25
	v_mov_b32_e32 v9, v27
	;; [unrolled: 1-line block ×5, first 2 shown]
	v_cmp_eq_u32_e64 s[34:35], 0, v23
	v_mov_b32_e32 v12, v26
	v_mov_b32_e32 v10, v28
	;; [unrolled: 1-line block ×5, first 2 shown]
	s_and_b64 s[34:35], s[34:35], s[30:31]
	v_add_u32_e32 v24, v48, v21
	ds_write2_b32 v44, v3, v3 offset0:5 offset1:6
	ds_write2_b32 v44, v3, v3 offset0:7 offset1:8
	s_waitcnt lgkmcnt(0)
	s_barrier
	; wave barrier
	s_and_saveexec_b64 s[30:31], s[34:35]
; %bb.5:                                ;   in Loop: Header=BB182_4 Depth=2
	v_bcnt_u32_b32 v4, v19, 0
	v_bcnt_u32_b32 v4, v20, v4
	ds_write_b32 v24, v4 offset:20
; %bb.6:                                ;   in Loop: Header=BB182_4 Depth=2
	s_or_b64 exec, exec, s[30:31]
	v_lshrrev_b32_e32 v19, s45, v15
	v_lshrrev_b32_e32 v4, s37, v16
	v_and_b32_e32 v19, s46, v19
	v_and_b32_e32 v4, s44, v4
	v_lshlrev_b32_e32 v19, s40, v19
	v_cndmask_b32_e64 v4, 0, v4, s[28:29]
	v_cndmask_b32_e32 v19, 0, v19, vcc
	v_or_b32_e32 v19, v4, v19
	v_mul_lo_u32 v4, v19, 20
	; wave barrier
	v_add_u32_e32 v26, v48, v4
	v_and_b32_e32 v4, 1, v19
	v_add_co_u32_e64 v20, s[30:31], -1, v4
	v_addc_co_u32_e64 v21, s[30:31], 0, -1, s[30:31]
	v_cmp_ne_u32_e64 s[30:31], 0, v4
	v_xor_b32_e32 v4, s31, v21
	v_and_b32_e32 v21, exec_hi, v4
	v_lshlrev_b32_e32 v4, 30, v19
	v_xor_b32_e32 v20, s30, v20
	v_cmp_gt_i64_e64 s[30:31], 0, v[3:4]
	v_not_b32_e32 v4, v4
	v_ashrrev_i32_e32 v4, 31, v4
	v_and_b32_e32 v20, exec_lo, v20
	v_xor_b32_e32 v22, s31, v4
	v_xor_b32_e32 v4, s30, v4
	v_and_b32_e32 v20, v20, v4
	v_lshlrev_b32_e32 v4, 29, v19
	v_cmp_gt_i64_e64 s[30:31], 0, v[3:4]
	v_not_b32_e32 v4, v4
	v_ashrrev_i32_e32 v4, 31, v4
	v_and_b32_e32 v21, v21, v22
	v_xor_b32_e32 v22, s31, v4
	v_xor_b32_e32 v4, s30, v4
	v_and_b32_e32 v20, v20, v4
	v_lshlrev_b32_e32 v4, 28, v19
	v_cmp_gt_i64_e64 s[30:31], 0, v[3:4]
	v_not_b32_e32 v4, v4
	v_ashrrev_i32_e32 v4, 31, v4
	v_and_b32_e32 v21, v21, v22
	;; [unrolled: 8-line block ×5, first 2 shown]
	v_xor_b32_e32 v22, s31, v4
	v_xor_b32_e32 v4, s30, v4
	v_and_b32_e32 v21, v21, v22
	v_and_b32_e32 v22, v20, v4
	v_lshlrev_b32_e32 v4, 24, v19
	v_cmp_gt_i64_e64 s[30:31], 0, v[3:4]
	v_not_b32_e32 v4, v4
	v_ashrrev_i32_e32 v4, 31, v4
	v_xor_b32_e32 v19, s31, v4
	v_xor_b32_e32 v4, s30, v4
	ds_read_b32 v25, v26 offset:20
	v_and_b32_e32 v20, v21, v19
	v_and_b32_e32 v19, v22, v4
	v_mbcnt_lo_u32_b32 v4, v19, 0
	v_mbcnt_hi_u32_b32 v27, v20, v4
	v_cmp_ne_u64_e64 s[30:31], 0, v[19:20]
	v_cmp_eq_u32_e64 s[34:35], 0, v27
	s_and_b64 s[34:35], s[34:35], s[30:31]
	; wave barrier
	s_and_saveexec_b64 s[30:31], s[34:35]
	s_cbranch_execz .LBB182_8
; %bb.7:                                ;   in Loop: Header=BB182_4 Depth=2
	v_bcnt_u32_b32 v4, v19, 0
	v_bcnt_u32_b32 v4, v20, v4
	s_waitcnt lgkmcnt(0)
	v_add_u32_e32 v4, v25, v4
	ds_write_b32 v26, v4 offset:20
.LBB182_8:                              ;   in Loop: Header=BB182_4 Depth=2
	s_or_b64 exec, exec, s[30:31]
	v_lshrrev_b32_e32 v19, s45, v13
	v_lshrrev_b32_e32 v4, s37, v14
	v_and_b32_e32 v19, s46, v19
	v_and_b32_e32 v4, s44, v4
	v_lshlrev_b32_e32 v19, s40, v19
	v_cndmask_b32_e64 v4, 0, v4, s[28:29]
	v_cndmask_b32_e32 v19, 0, v19, vcc
	v_or_b32_e32 v19, v4, v19
	v_mul_lo_u32 v4, v19, 20
	; wave barrier
	v_add_u32_e32 v29, v48, v4
	v_and_b32_e32 v4, 1, v19
	v_add_co_u32_e64 v20, s[30:31], -1, v4
	v_addc_co_u32_e64 v21, s[30:31], 0, -1, s[30:31]
	v_cmp_ne_u32_e64 s[30:31], 0, v4
	v_xor_b32_e32 v4, s31, v21
	v_and_b32_e32 v21, exec_hi, v4
	v_lshlrev_b32_e32 v4, 30, v19
	v_xor_b32_e32 v20, s30, v20
	v_cmp_gt_i64_e64 s[30:31], 0, v[3:4]
	v_not_b32_e32 v4, v4
	v_ashrrev_i32_e32 v4, 31, v4
	v_and_b32_e32 v20, exec_lo, v20
	v_xor_b32_e32 v22, s31, v4
	v_xor_b32_e32 v4, s30, v4
	v_and_b32_e32 v20, v20, v4
	v_lshlrev_b32_e32 v4, 29, v19
	v_cmp_gt_i64_e64 s[30:31], 0, v[3:4]
	v_not_b32_e32 v4, v4
	v_ashrrev_i32_e32 v4, 31, v4
	v_and_b32_e32 v21, v21, v22
	v_xor_b32_e32 v22, s31, v4
	v_xor_b32_e32 v4, s30, v4
	v_and_b32_e32 v20, v20, v4
	v_lshlrev_b32_e32 v4, 28, v19
	v_cmp_gt_i64_e64 s[30:31], 0, v[3:4]
	v_not_b32_e32 v4, v4
	v_ashrrev_i32_e32 v4, 31, v4
	v_and_b32_e32 v21, v21, v22
	;; [unrolled: 8-line block ×5, first 2 shown]
	v_xor_b32_e32 v22, s31, v4
	v_xor_b32_e32 v4, s30, v4
	v_and_b32_e32 v21, v21, v22
	v_and_b32_e32 v22, v20, v4
	v_lshlrev_b32_e32 v4, 24, v19
	v_cmp_gt_i64_e64 s[30:31], 0, v[3:4]
	v_not_b32_e32 v4, v4
	v_ashrrev_i32_e32 v4, 31, v4
	v_xor_b32_e32 v19, s31, v4
	v_xor_b32_e32 v4, s30, v4
	ds_read_b32 v28, v29 offset:20
	v_and_b32_e32 v20, v21, v19
	v_and_b32_e32 v19, v22, v4
	v_mbcnt_lo_u32_b32 v4, v19, 0
	v_mbcnt_hi_u32_b32 v30, v20, v4
	v_cmp_ne_u64_e64 s[30:31], 0, v[19:20]
	v_cmp_eq_u32_e64 s[34:35], 0, v30
	s_and_b64 s[34:35], s[34:35], s[30:31]
	; wave barrier
	s_and_saveexec_b64 s[30:31], s[34:35]
	s_cbranch_execz .LBB182_10
; %bb.9:                                ;   in Loop: Header=BB182_4 Depth=2
	v_bcnt_u32_b32 v4, v19, 0
	v_bcnt_u32_b32 v4, v20, v4
	s_waitcnt lgkmcnt(0)
	v_add_u32_e32 v4, v28, v4
	ds_write_b32 v29, v4 offset:20
.LBB182_10:                             ;   in Loop: Header=BB182_4 Depth=2
	s_or_b64 exec, exec, s[30:31]
	v_lshrrev_b32_e32 v19, s45, v11
	v_lshrrev_b32_e32 v4, s37, v12
	v_and_b32_e32 v19, s46, v19
	v_and_b32_e32 v4, s44, v4
	v_lshlrev_b32_e32 v19, s40, v19
	v_cndmask_b32_e64 v4, 0, v4, s[28:29]
	v_cndmask_b32_e32 v19, 0, v19, vcc
	v_or_b32_e32 v19, v4, v19
	v_mul_lo_u32 v4, v19, 20
	; wave barrier
	v_add_u32_e32 v32, v48, v4
	v_and_b32_e32 v4, 1, v19
	v_add_co_u32_e64 v20, s[30:31], -1, v4
	v_addc_co_u32_e64 v21, s[30:31], 0, -1, s[30:31]
	v_cmp_ne_u32_e64 s[30:31], 0, v4
	v_xor_b32_e32 v4, s31, v21
	v_and_b32_e32 v21, exec_hi, v4
	v_lshlrev_b32_e32 v4, 30, v19
	v_xor_b32_e32 v20, s30, v20
	v_cmp_gt_i64_e64 s[30:31], 0, v[3:4]
	v_not_b32_e32 v4, v4
	v_ashrrev_i32_e32 v4, 31, v4
	v_and_b32_e32 v20, exec_lo, v20
	v_xor_b32_e32 v22, s31, v4
	v_xor_b32_e32 v4, s30, v4
	v_and_b32_e32 v20, v20, v4
	v_lshlrev_b32_e32 v4, 29, v19
	v_cmp_gt_i64_e64 s[30:31], 0, v[3:4]
	v_not_b32_e32 v4, v4
	v_ashrrev_i32_e32 v4, 31, v4
	v_and_b32_e32 v21, v21, v22
	v_xor_b32_e32 v22, s31, v4
	v_xor_b32_e32 v4, s30, v4
	v_and_b32_e32 v20, v20, v4
	v_lshlrev_b32_e32 v4, 28, v19
	v_cmp_gt_i64_e64 s[30:31], 0, v[3:4]
	v_not_b32_e32 v4, v4
	v_ashrrev_i32_e32 v4, 31, v4
	v_and_b32_e32 v21, v21, v22
	;; [unrolled: 8-line block ×5, first 2 shown]
	v_xor_b32_e32 v22, s31, v4
	v_xor_b32_e32 v4, s30, v4
	v_and_b32_e32 v21, v21, v22
	v_and_b32_e32 v22, v20, v4
	v_lshlrev_b32_e32 v4, 24, v19
	v_cmp_gt_i64_e64 s[30:31], 0, v[3:4]
	v_not_b32_e32 v4, v4
	v_ashrrev_i32_e32 v4, 31, v4
	v_xor_b32_e32 v19, s31, v4
	v_xor_b32_e32 v4, s30, v4
	ds_read_b32 v31, v32 offset:20
	v_and_b32_e32 v20, v21, v19
	v_and_b32_e32 v19, v22, v4
	v_mbcnt_lo_u32_b32 v4, v19, 0
	v_mbcnt_hi_u32_b32 v33, v20, v4
	v_cmp_ne_u64_e64 s[30:31], 0, v[19:20]
	v_cmp_eq_u32_e64 s[34:35], 0, v33
	s_and_b64 s[34:35], s[34:35], s[30:31]
	; wave barrier
	s_and_saveexec_b64 s[30:31], s[34:35]
	s_cbranch_execz .LBB182_12
; %bb.11:                               ;   in Loop: Header=BB182_4 Depth=2
	v_bcnt_u32_b32 v4, v19, 0
	v_bcnt_u32_b32 v4, v20, v4
	s_waitcnt lgkmcnt(0)
	v_add_u32_e32 v4, v31, v4
	ds_write_b32 v32, v4 offset:20
.LBB182_12:                             ;   in Loop: Header=BB182_4 Depth=2
	s_or_b64 exec, exec, s[30:31]
	v_lshrrev_b32_e32 v19, s45, v9
	v_lshrrev_b32_e32 v4, s37, v10
	v_and_b32_e32 v19, s46, v19
	v_and_b32_e32 v4, s44, v4
	v_lshlrev_b32_e32 v19, s40, v19
	v_cndmask_b32_e64 v4, 0, v4, s[28:29]
	v_cndmask_b32_e32 v19, 0, v19, vcc
	v_or_b32_e32 v19, v4, v19
	v_mul_lo_u32 v4, v19, 20
	; wave barrier
	v_add_u32_e32 v51, v48, v4
	v_and_b32_e32 v4, 1, v19
	v_add_co_u32_e64 v20, s[30:31], -1, v4
	v_addc_co_u32_e64 v21, s[30:31], 0, -1, s[30:31]
	v_cmp_ne_u32_e64 s[30:31], 0, v4
	v_xor_b32_e32 v4, s31, v21
	v_and_b32_e32 v21, exec_hi, v4
	v_lshlrev_b32_e32 v4, 30, v19
	v_xor_b32_e32 v20, s30, v20
	v_cmp_gt_i64_e64 s[30:31], 0, v[3:4]
	v_not_b32_e32 v4, v4
	v_ashrrev_i32_e32 v4, 31, v4
	v_and_b32_e32 v20, exec_lo, v20
	v_xor_b32_e32 v22, s31, v4
	v_xor_b32_e32 v4, s30, v4
	v_and_b32_e32 v20, v20, v4
	v_lshlrev_b32_e32 v4, 29, v19
	v_cmp_gt_i64_e64 s[30:31], 0, v[3:4]
	v_not_b32_e32 v4, v4
	v_ashrrev_i32_e32 v4, 31, v4
	v_and_b32_e32 v21, v21, v22
	v_xor_b32_e32 v22, s31, v4
	v_xor_b32_e32 v4, s30, v4
	v_and_b32_e32 v20, v20, v4
	v_lshlrev_b32_e32 v4, 28, v19
	v_cmp_gt_i64_e64 s[30:31], 0, v[3:4]
	v_not_b32_e32 v4, v4
	v_ashrrev_i32_e32 v4, 31, v4
	v_and_b32_e32 v21, v21, v22
	;; [unrolled: 8-line block ×5, first 2 shown]
	v_xor_b32_e32 v22, s31, v4
	v_xor_b32_e32 v4, s30, v4
	v_and_b32_e32 v21, v21, v22
	v_and_b32_e32 v22, v20, v4
	v_lshlrev_b32_e32 v4, 24, v19
	v_cmp_gt_i64_e64 s[30:31], 0, v[3:4]
	v_not_b32_e32 v4, v4
	v_ashrrev_i32_e32 v4, 31, v4
	v_xor_b32_e32 v19, s31, v4
	v_xor_b32_e32 v4, s30, v4
	ds_read_b32 v34, v51 offset:20
	v_and_b32_e32 v20, v21, v19
	v_and_b32_e32 v19, v22, v4
	v_mbcnt_lo_u32_b32 v4, v19, 0
	v_mbcnt_hi_u32_b32 v52, v20, v4
	v_cmp_ne_u64_e64 s[30:31], 0, v[19:20]
	v_cmp_eq_u32_e64 s[34:35], 0, v52
	s_and_b64 s[34:35], s[34:35], s[30:31]
	; wave barrier
	s_and_saveexec_b64 s[30:31], s[34:35]
	s_cbranch_execz .LBB182_14
; %bb.13:                               ;   in Loop: Header=BB182_4 Depth=2
	v_bcnt_u32_b32 v4, v19, 0
	v_bcnt_u32_b32 v4, v20, v4
	s_waitcnt lgkmcnt(0)
	v_add_u32_e32 v4, v34, v4
	ds_write_b32 v51, v4 offset:20
.LBB182_14:                             ;   in Loop: Header=BB182_4 Depth=2
	s_or_b64 exec, exec, s[30:31]
	v_lshrrev_b32_e32 v19, s45, v7
	v_lshrrev_b32_e32 v4, s37, v8
	v_and_b32_e32 v19, s46, v19
	v_and_b32_e32 v4, s44, v4
	v_lshlrev_b32_e32 v19, s40, v19
	v_cndmask_b32_e64 v4, 0, v4, s[28:29]
	v_cndmask_b32_e32 v19, 0, v19, vcc
	v_or_b32_e32 v19, v4, v19
	v_mul_lo_u32 v4, v19, 20
	; wave barrier
	v_add_u32_e32 v54, v48, v4
	v_and_b32_e32 v4, 1, v19
	v_add_co_u32_e64 v20, s[30:31], -1, v4
	v_addc_co_u32_e64 v21, s[30:31], 0, -1, s[30:31]
	v_cmp_ne_u32_e64 s[30:31], 0, v4
	v_xor_b32_e32 v4, s31, v21
	v_and_b32_e32 v21, exec_hi, v4
	v_lshlrev_b32_e32 v4, 30, v19
	v_xor_b32_e32 v20, s30, v20
	v_cmp_gt_i64_e64 s[30:31], 0, v[3:4]
	v_not_b32_e32 v4, v4
	v_ashrrev_i32_e32 v4, 31, v4
	v_and_b32_e32 v20, exec_lo, v20
	v_xor_b32_e32 v22, s31, v4
	v_xor_b32_e32 v4, s30, v4
	v_and_b32_e32 v20, v20, v4
	v_lshlrev_b32_e32 v4, 29, v19
	v_cmp_gt_i64_e64 s[30:31], 0, v[3:4]
	v_not_b32_e32 v4, v4
	v_ashrrev_i32_e32 v4, 31, v4
	v_and_b32_e32 v21, v21, v22
	v_xor_b32_e32 v22, s31, v4
	v_xor_b32_e32 v4, s30, v4
	v_and_b32_e32 v20, v20, v4
	v_lshlrev_b32_e32 v4, 28, v19
	v_cmp_gt_i64_e64 s[30:31], 0, v[3:4]
	v_not_b32_e32 v4, v4
	v_ashrrev_i32_e32 v4, 31, v4
	v_and_b32_e32 v21, v21, v22
	;; [unrolled: 8-line block ×5, first 2 shown]
	v_xor_b32_e32 v22, s31, v4
	v_xor_b32_e32 v4, s30, v4
	v_and_b32_e32 v21, v21, v22
	v_and_b32_e32 v22, v20, v4
	v_lshlrev_b32_e32 v4, 24, v19
	v_cmp_gt_i64_e64 s[30:31], 0, v[3:4]
	v_not_b32_e32 v4, v4
	v_ashrrev_i32_e32 v4, 31, v4
	v_xor_b32_e32 v19, s31, v4
	v_xor_b32_e32 v4, s30, v4
	ds_read_b32 v53, v54 offset:20
	v_and_b32_e32 v20, v21, v19
	v_and_b32_e32 v19, v22, v4
	v_mbcnt_lo_u32_b32 v4, v19, 0
	v_mbcnt_hi_u32_b32 v55, v20, v4
	v_cmp_ne_u64_e64 s[30:31], 0, v[19:20]
	v_cmp_eq_u32_e64 s[34:35], 0, v55
	s_and_b64 s[34:35], s[34:35], s[30:31]
	; wave barrier
	s_and_saveexec_b64 s[30:31], s[34:35]
	s_cbranch_execz .LBB182_16
; %bb.15:                               ;   in Loop: Header=BB182_4 Depth=2
	v_bcnt_u32_b32 v4, v19, 0
	v_bcnt_u32_b32 v4, v20, v4
	s_waitcnt lgkmcnt(0)
	v_add_u32_e32 v4, v53, v4
	ds_write_b32 v54, v4 offset:20
.LBB182_16:                             ;   in Loop: Header=BB182_4 Depth=2
	s_or_b64 exec, exec, s[30:31]
	v_lshrrev_b32_e32 v19, s45, v5
	v_lshrrev_b32_e32 v4, s37, v6
	v_and_b32_e32 v19, s46, v19
	v_and_b32_e32 v4, s44, v4
	v_lshlrev_b32_e32 v19, s40, v19
	v_cndmask_b32_e64 v4, 0, v4, s[28:29]
	v_cndmask_b32_e32 v19, 0, v19, vcc
	v_or_b32_e32 v19, v4, v19
	v_mul_lo_u32 v4, v19, 20
	; wave barrier
	v_add_u32_e32 v57, v48, v4
	v_and_b32_e32 v4, 1, v19
	v_add_co_u32_e64 v20, s[30:31], -1, v4
	v_addc_co_u32_e64 v21, s[30:31], 0, -1, s[30:31]
	v_cmp_ne_u32_e64 s[30:31], 0, v4
	v_xor_b32_e32 v4, s31, v21
	v_and_b32_e32 v21, exec_hi, v4
	v_lshlrev_b32_e32 v4, 30, v19
	v_xor_b32_e32 v20, s30, v20
	v_cmp_gt_i64_e64 s[30:31], 0, v[3:4]
	v_not_b32_e32 v4, v4
	v_ashrrev_i32_e32 v4, 31, v4
	v_and_b32_e32 v20, exec_lo, v20
	v_xor_b32_e32 v22, s31, v4
	v_xor_b32_e32 v4, s30, v4
	v_and_b32_e32 v20, v20, v4
	v_lshlrev_b32_e32 v4, 29, v19
	v_cmp_gt_i64_e64 s[30:31], 0, v[3:4]
	v_not_b32_e32 v4, v4
	v_ashrrev_i32_e32 v4, 31, v4
	v_and_b32_e32 v21, v21, v22
	v_xor_b32_e32 v22, s31, v4
	v_xor_b32_e32 v4, s30, v4
	v_and_b32_e32 v20, v20, v4
	v_lshlrev_b32_e32 v4, 28, v19
	v_cmp_gt_i64_e64 s[30:31], 0, v[3:4]
	v_not_b32_e32 v4, v4
	v_ashrrev_i32_e32 v4, 31, v4
	v_and_b32_e32 v21, v21, v22
	;; [unrolled: 8-line block ×5, first 2 shown]
	v_xor_b32_e32 v22, s31, v4
	v_xor_b32_e32 v4, s30, v4
	v_and_b32_e32 v21, v21, v22
	v_and_b32_e32 v22, v20, v4
	v_lshlrev_b32_e32 v4, 24, v19
	v_cmp_gt_i64_e64 s[30:31], 0, v[3:4]
	v_not_b32_e32 v4, v4
	v_ashrrev_i32_e32 v4, 31, v4
	v_xor_b32_e32 v19, s31, v4
	v_xor_b32_e32 v4, s30, v4
	ds_read_b32 v56, v57 offset:20
	v_and_b32_e32 v20, v21, v19
	v_and_b32_e32 v19, v22, v4
	v_mbcnt_lo_u32_b32 v4, v19, 0
	v_mbcnt_hi_u32_b32 v58, v20, v4
	v_cmp_ne_u64_e64 s[30:31], 0, v[19:20]
	v_cmp_eq_u32_e64 s[34:35], 0, v58
	s_and_b64 s[34:35], s[34:35], s[30:31]
	; wave barrier
	s_and_saveexec_b64 s[30:31], s[34:35]
	s_cbranch_execz .LBB182_18
; %bb.17:                               ;   in Loop: Header=BB182_4 Depth=2
	v_bcnt_u32_b32 v4, v19, 0
	v_bcnt_u32_b32 v4, v20, v4
	s_waitcnt lgkmcnt(0)
	v_add_u32_e32 v4, v56, v4
	ds_write_b32 v57, v4 offset:20
.LBB182_18:                             ;   in Loop: Header=BB182_4 Depth=2
	s_or_b64 exec, exec, s[30:31]
	v_lshrrev_b32_e32 v19, s45, v1
	v_lshrrev_b32_e32 v4, s37, v2
	v_and_b32_e32 v19, s46, v19
	v_and_b32_e32 v4, s44, v4
	v_lshlrev_b32_e32 v19, s40, v19
	v_cndmask_b32_e64 v4, 0, v4, s[28:29]
	v_cndmask_b32_e32 v19, 0, v19, vcc
	v_or_b32_e32 v19, v4, v19
	v_mul_lo_u32 v4, v19, 20
	; wave barrier
	v_add_u32_e32 v60, v48, v4
	v_and_b32_e32 v4, 1, v19
	v_add_co_u32_e32 v20, vcc, -1, v4
	v_addc_co_u32_e64 v21, s[28:29], 0, -1, vcc
	v_cmp_ne_u32_e32 vcc, 0, v4
	v_xor_b32_e32 v4, vcc_hi, v21
	v_and_b32_e32 v21, exec_hi, v4
	v_lshlrev_b32_e32 v4, 30, v19
	v_xor_b32_e32 v20, vcc_lo, v20
	v_cmp_gt_i64_e32 vcc, 0, v[3:4]
	v_not_b32_e32 v4, v4
	v_ashrrev_i32_e32 v4, 31, v4
	v_and_b32_e32 v20, exec_lo, v20
	v_xor_b32_e32 v22, vcc_hi, v4
	v_xor_b32_e32 v4, vcc_lo, v4
	v_and_b32_e32 v20, v20, v4
	v_lshlrev_b32_e32 v4, 29, v19
	v_cmp_gt_i64_e32 vcc, 0, v[3:4]
	v_not_b32_e32 v4, v4
	v_ashrrev_i32_e32 v4, 31, v4
	v_and_b32_e32 v21, v21, v22
	v_xor_b32_e32 v22, vcc_hi, v4
	v_xor_b32_e32 v4, vcc_lo, v4
	v_and_b32_e32 v20, v20, v4
	v_lshlrev_b32_e32 v4, 28, v19
	v_cmp_gt_i64_e32 vcc, 0, v[3:4]
	v_not_b32_e32 v4, v4
	v_ashrrev_i32_e32 v4, 31, v4
	v_and_b32_e32 v21, v21, v22
	;; [unrolled: 8-line block ×5, first 2 shown]
	v_xor_b32_e32 v22, vcc_hi, v4
	v_xor_b32_e32 v4, vcc_lo, v4
	v_and_b32_e32 v21, v21, v22
	v_and_b32_e32 v22, v20, v4
	v_lshlrev_b32_e32 v4, 24, v19
	v_cmp_gt_i64_e32 vcc, 0, v[3:4]
	v_not_b32_e32 v4, v4
	v_ashrrev_i32_e32 v4, 31, v4
	v_xor_b32_e32 v19, vcc_hi, v4
	v_xor_b32_e32 v4, vcc_lo, v4
	ds_read_b32 v59, v60 offset:20
	v_and_b32_e32 v20, v21, v19
	v_and_b32_e32 v19, v22, v4
	v_mbcnt_lo_u32_b32 v4, v19, 0
	v_mbcnt_hi_u32_b32 v4, v20, v4
	v_cmp_ne_u64_e32 vcc, 0, v[19:20]
	v_cmp_eq_u32_e64 s[28:29], 0, v4
	s_and_b64 s[30:31], s[28:29], vcc
	; wave barrier
	s_and_saveexec_b64 s[28:29], s[30:31]
	s_cbranch_execz .LBB182_20
; %bb.19:                               ;   in Loop: Header=BB182_4 Depth=2
	v_bcnt_u32_b32 v19, v19, 0
	v_bcnt_u32_b32 v19, v20, v19
	s_waitcnt lgkmcnt(0)
	v_add_u32_e32 v19, v59, v19
	ds_write_b32 v60, v19 offset:20
.LBB182_20:                             ;   in Loop: Header=BB182_4 Depth=2
	s_or_b64 exec, exec, s[28:29]
	; wave barrier
	s_waitcnt lgkmcnt(0)
	s_barrier
	ds_read2_b32 v[21:22], v44 offset0:5 offset1:6
	ds_read2_b32 v[19:20], v44 offset0:7 offset1:8
	s_waitcnt lgkmcnt(1)
	v_add_u32_e32 v61, v22, v21
	s_waitcnt lgkmcnt(0)
	v_add3_u32 v20, v61, v19, v20
	s_nop 1
	v_mov_b32_dpp v61, v20 row_shr:1 row_mask:0xf bank_mask:0xf
	v_cndmask_b32_e64 v61, v61, 0, s[0:1]
	v_add_u32_e32 v20, v61, v20
	s_nop 1
	v_mov_b32_dpp v61, v20 row_shr:2 row_mask:0xf bank_mask:0xf
	v_cndmask_b32_e64 v61, 0, v61, s[2:3]
	v_add_u32_e32 v20, v20, v61
	;; [unrolled: 4-line block ×4, first 2 shown]
	s_nop 1
	v_mov_b32_dpp v61, v20 row_bcast:15 row_mask:0xf bank_mask:0xf
	v_cndmask_b32_e64 v61, v61, 0, s[8:9]
	v_add_u32_e32 v20, v20, v61
	s_nop 1
	v_mov_b32_dpp v61, v20 row_bcast:31 row_mask:0xf bank_mask:0xf
	v_cndmask_b32_e64 v61, 0, v61, s[10:11]
	v_add_u32_e32 v20, v20, v61
	s_and_saveexec_b64 s[28:29], s[12:13]
; %bb.21:                               ;   in Loop: Header=BB182_4 Depth=2
	ds_write_b32 v46, v20
; %bb.22:                               ;   in Loop: Header=BB182_4 Depth=2
	s_or_b64 exec, exec, s[28:29]
	s_waitcnt lgkmcnt(0)
	s_barrier
	s_and_saveexec_b64 s[28:29], s[14:15]
	s_cbranch_execz .LBB182_24
; %bb.23:                               ;   in Loop: Header=BB182_4 Depth=2
	ds_read_b32 v61, v50
	s_waitcnt lgkmcnt(0)
	s_nop 0
	v_mov_b32_dpp v62, v61 row_shr:1 row_mask:0xf bank_mask:0xf
	v_cndmask_b32_e64 v62, v62, 0, s[22:23]
	v_add_u32_e32 v61, v62, v61
	s_nop 1
	v_mov_b32_dpp v62, v61 row_shr:2 row_mask:0xf bank_mask:0xf
	v_cndmask_b32_e64 v62, 0, v62, s[24:25]
	v_add_u32_e32 v61, v61, v62
	;; [unrolled: 4-line block ×3, first 2 shown]
	ds_write_b32 v50, v61
.LBB182_24:                             ;   in Loop: Header=BB182_4 Depth=2
	s_or_b64 exec, exec, s[28:29]
	v_mov_b32_e32 v61, 0
	s_waitcnt lgkmcnt(0)
	s_barrier
	s_and_saveexec_b64 s[28:29], s[16:17]
; %bb.25:                               ;   in Loop: Header=BB182_4 Depth=2
	ds_read_b32 v61, v47
; %bb.26:                               ;   in Loop: Header=BB182_4 Depth=2
	s_or_b64 exec, exec, s[28:29]
	s_waitcnt lgkmcnt(0)
	v_add_u32_e32 v20, v61, v20
	ds_bpermute_b32 v20, v45, v20
	s_cmp_gt_u32 s37, 55
	s_mov_b64 s[28:29], -1
	s_waitcnt lgkmcnt(0)
	v_cndmask_b32_e64 v20, v20, v61, s[18:19]
	v_cndmask_b32_e64 v20, v20, 0, s[20:21]
	v_add_u32_e32 v21, v20, v21
	v_add_u32_e32 v22, v21, v22
	;; [unrolled: 1-line block ×3, first 2 shown]
	ds_write2_b32 v44, v20, v21 offset0:5 offset1:6
	ds_write2_b32 v44, v22, v19 offset0:7 offset1:8
	s_waitcnt lgkmcnt(0)
	s_barrier
	ds_read_b32 v19, v24 offset:20
	ds_read_b32 v20, v26 offset:20
	;; [unrolled: 1-line block ×8, first 2 shown]
	s_waitcnt lgkmcnt(7)
	v_add_u32_e32 v19, v19, v23
	s_waitcnt lgkmcnt(3)
	v_add3_u32 v23, v52, v34, v24
	s_waitcnt lgkmcnt(2)
	v_add3_u32 v24, v55, v53, v26
	v_add3_u32 v20, v27, v25, v20
	s_waitcnt lgkmcnt(0)
	v_add3_u32 v26, v4, v59, v32
	v_lshrrev_b32_e32 v4, 2, v19
	v_and_b32_e32 v4, 0x3ffffff8, v4
	v_lshl_add_u32 v4, v19, 3, v4
	v_lshrrev_b32_e32 v19, 2, v20
	v_add3_u32 v21, v30, v28, v21
	v_and_b32_e32 v19, 0x3ffffff8, v19
	v_lshl_add_u32 v51, v20, 3, v19
	v_lshrrev_b32_e32 v19, 2, v21
	v_add3_u32 v22, v33, v31, v22
	v_and_b32_e32 v19, 0x3ffffff8, v19
	v_lshl_add_u32 v52, v21, 3, v19
	v_lshrrev_b32_e32 v19, 2, v22
	v_and_b32_e32 v19, 0x3ffffff8, v19
	v_lshl_add_u32 v53, v22, 3, v19
	v_lshrrev_b32_e32 v19, 2, v23
	;; [unrolled: 3-line block ×3, first 2 shown]
	v_add3_u32 v25, v58, v56, v29
	v_and_b32_e32 v19, 0x3ffffff8, v19
	v_lshl_add_u32 v55, v24, 3, v19
	v_lshrrev_b32_e32 v19, 2, v25
	v_and_b32_e32 v19, 0x3ffffff8, v19
	v_lshl_add_u32 v56, v25, 3, v19
	v_lshrrev_b32_e32 v19, 2, v26
	v_and_b32_e32 v19, 0x3ffffff8, v19
	v_lshl_add_u32 v57, v26, 3, v19
                                        ; implicit-def: $vgpr19_vgpr20
                                        ; implicit-def: $vgpr21_vgpr22
                                        ; implicit-def: $vgpr23_vgpr24
                                        ; implicit-def: $vgpr25_vgpr26
                                        ; implicit-def: $vgpr27_vgpr28
                                        ; implicit-def: $vgpr29_vgpr30
                                        ; implicit-def: $vgpr31_vgpr32
                                        ; implicit-def: $vgpr33_vgpr34
	s_cbranch_scc1 .LBB182_3
; %bb.27:                               ;   in Loop: Header=BB182_4 Depth=2
	s_barrier
	ds_write_b64 v4, v[17:18]
	ds_write_b64 v51, v[15:16]
	;; [unrolled: 1-line block ×8, first 2 shown]
	s_waitcnt lgkmcnt(0)
	s_barrier
	ds_read_b64 v[19:20], v36
	ds_read_b64 v[21:22], v37 offset:512
	ds_read_b64 v[23:24], v38 offset:1024
	;; [unrolled: 1-line block ×7, first 2 shown]
	s_add_i32 s36, s36, -8
	s_add_i32 s33, s33, 8
	s_add_i32 s37, s37, 8
	s_mov_b64 s[28:29], 0
	s_waitcnt lgkmcnt(0)
	s_barrier
	s_branch .LBB182_3
.LBB182_28:
	s_add_u32 s0, s38, s42
	s_addc_u32 s1, s39, s43
	v_lshlrev_b32_e32 v0, 3, v0
	v_mov_b32_e32 v1, s1
	v_add_co_u32_e32 v2, vcc, s0, v0
	v_addc_co_u32_e32 v3, vcc, 0, v1, vcc
	global_store_dwordx2 v0, v[4:5], s[0:1]
	global_store_dwordx2 v0, v[8:9], s[0:1] offset:2560
	v_add_co_u32_e32 v0, vcc, 0x1000, v2
	v_addc_co_u32_e32 v1, vcc, 0, v3, vcc
	global_store_dwordx2 v[0:1], v[6:7], off offset:1024
	global_store_dwordx2 v[0:1], v[10:11], off offset:3584
	v_add_co_u32_e32 v0, vcc, 0x2000, v2
	v_addc_co_u32_e32 v1, vcc, 0, v3, vcc
	global_store_dwordx2 v[0:1], v[14:15], off offset:2048
	v_add_co_u32_e32 v0, vcc, 0x3000, v2
	v_addc_co_u32_e32 v1, vcc, 0, v3, vcc
	global_store_dwordx2 v[0:1], v[12:13], off offset:512
	global_store_dwordx2 v[0:1], v[18:19], off offset:3072
	v_add_co_u32_e32 v0, vcc, 0x4000, v2
	v_addc_co_u32_e32 v1, vcc, 0, v3, vcc
	global_store_dwordx2 v[0:1], v[16:17], off offset:1536
	s_endpgm
	.section	.rodata,"a",@progbits
	.p2align	6, 0x0
	.amdhsa_kernel _Z16sort_keys_kernelI22helper_blocked_blockedN15benchmark_utils11custom_typeIiiEELj320ELj8ELj10EEvPKT0_PS4_
		.amdhsa_group_segment_fixed_size 21120
		.amdhsa_private_segment_fixed_size 0
		.amdhsa_kernarg_size 272
		.amdhsa_user_sgpr_count 6
		.amdhsa_user_sgpr_private_segment_buffer 1
		.amdhsa_user_sgpr_dispatch_ptr 0
		.amdhsa_user_sgpr_queue_ptr 0
		.amdhsa_user_sgpr_kernarg_segment_ptr 1
		.amdhsa_user_sgpr_dispatch_id 0
		.amdhsa_user_sgpr_flat_scratch_init 0
		.amdhsa_user_sgpr_private_segment_size 0
		.amdhsa_uses_dynamic_stack 0
		.amdhsa_system_sgpr_private_segment_wavefront_offset 0
		.amdhsa_system_sgpr_workgroup_id_x 1
		.amdhsa_system_sgpr_workgroup_id_y 0
		.amdhsa_system_sgpr_workgroup_id_z 0
		.amdhsa_system_sgpr_workgroup_info 0
		.amdhsa_system_vgpr_workitem_id 2
		.amdhsa_next_free_vgpr 63
		.amdhsa_next_free_sgpr 98
		.amdhsa_reserve_vcc 1
		.amdhsa_reserve_flat_scratch 0
		.amdhsa_float_round_mode_32 0
		.amdhsa_float_round_mode_16_64 0
		.amdhsa_float_denorm_mode_32 3
		.amdhsa_float_denorm_mode_16_64 3
		.amdhsa_dx10_clamp 1
		.amdhsa_ieee_mode 1
		.amdhsa_fp16_overflow 0
		.amdhsa_exception_fp_ieee_invalid_op 0
		.amdhsa_exception_fp_denorm_src 0
		.amdhsa_exception_fp_ieee_div_zero 0
		.amdhsa_exception_fp_ieee_overflow 0
		.amdhsa_exception_fp_ieee_underflow 0
		.amdhsa_exception_fp_ieee_inexact 0
		.amdhsa_exception_int_div_zero 0
	.end_amdhsa_kernel
	.section	.text._Z16sort_keys_kernelI22helper_blocked_blockedN15benchmark_utils11custom_typeIiiEELj320ELj8ELj10EEvPKT0_PS4_,"axG",@progbits,_Z16sort_keys_kernelI22helper_blocked_blockedN15benchmark_utils11custom_typeIiiEELj320ELj8ELj10EEvPKT0_PS4_,comdat
.Lfunc_end182:
	.size	_Z16sort_keys_kernelI22helper_blocked_blockedN15benchmark_utils11custom_typeIiiEELj320ELj8ELj10EEvPKT0_PS4_, .Lfunc_end182-_Z16sort_keys_kernelI22helper_blocked_blockedN15benchmark_utils11custom_typeIiiEELj320ELj8ELj10EEvPKT0_PS4_
                                        ; -- End function
	.set _Z16sort_keys_kernelI22helper_blocked_blockedN15benchmark_utils11custom_typeIiiEELj320ELj8ELj10EEvPKT0_PS4_.num_vgpr, 63
	.set _Z16sort_keys_kernelI22helper_blocked_blockedN15benchmark_utils11custom_typeIiiEELj320ELj8ELj10EEvPKT0_PS4_.num_agpr, 0
	.set _Z16sort_keys_kernelI22helper_blocked_blockedN15benchmark_utils11custom_typeIiiEELj320ELj8ELj10EEvPKT0_PS4_.numbered_sgpr, 47
	.set _Z16sort_keys_kernelI22helper_blocked_blockedN15benchmark_utils11custom_typeIiiEELj320ELj8ELj10EEvPKT0_PS4_.num_named_barrier, 0
	.set _Z16sort_keys_kernelI22helper_blocked_blockedN15benchmark_utils11custom_typeIiiEELj320ELj8ELj10EEvPKT0_PS4_.private_seg_size, 0
	.set _Z16sort_keys_kernelI22helper_blocked_blockedN15benchmark_utils11custom_typeIiiEELj320ELj8ELj10EEvPKT0_PS4_.uses_vcc, 1
	.set _Z16sort_keys_kernelI22helper_blocked_blockedN15benchmark_utils11custom_typeIiiEELj320ELj8ELj10EEvPKT0_PS4_.uses_flat_scratch, 0
	.set _Z16sort_keys_kernelI22helper_blocked_blockedN15benchmark_utils11custom_typeIiiEELj320ELj8ELj10EEvPKT0_PS4_.has_dyn_sized_stack, 0
	.set _Z16sort_keys_kernelI22helper_blocked_blockedN15benchmark_utils11custom_typeIiiEELj320ELj8ELj10EEvPKT0_PS4_.has_recursion, 0
	.set _Z16sort_keys_kernelI22helper_blocked_blockedN15benchmark_utils11custom_typeIiiEELj320ELj8ELj10EEvPKT0_PS4_.has_indirect_call, 0
	.section	.AMDGPU.csdata,"",@progbits
; Kernel info:
; codeLenInByte = 5824
; TotalNumSgprs: 51
; NumVgprs: 63
; ScratchSize: 0
; MemoryBound: 0
; FloatMode: 240
; IeeeMode: 1
; LDSByteSize: 21120 bytes/workgroup (compile time only)
; SGPRBlocks: 12
; VGPRBlocks: 15
; NumSGPRsForWavesPerEU: 102
; NumVGPRsForWavesPerEU: 63
; Occupancy: 4
; WaveLimiterHint : 1
; COMPUTE_PGM_RSRC2:SCRATCH_EN: 0
; COMPUTE_PGM_RSRC2:USER_SGPR: 6
; COMPUTE_PGM_RSRC2:TRAP_HANDLER: 0
; COMPUTE_PGM_RSRC2:TGID_X_EN: 1
; COMPUTE_PGM_RSRC2:TGID_Y_EN: 0
; COMPUTE_PGM_RSRC2:TGID_Z_EN: 0
; COMPUTE_PGM_RSRC2:TIDIG_COMP_CNT: 2
	.section	.text._Z17sort_pairs_kernelI22helper_blocked_blockedN15benchmark_utils11custom_typeIiiEELj320ELj8ELj10EEvPKT0_PS4_,"axG",@progbits,_Z17sort_pairs_kernelI22helper_blocked_blockedN15benchmark_utils11custom_typeIiiEELj320ELj8ELj10EEvPKT0_PS4_,comdat
	.protected	_Z17sort_pairs_kernelI22helper_blocked_blockedN15benchmark_utils11custom_typeIiiEELj320ELj8ELj10EEvPKT0_PS4_ ; -- Begin function _Z17sort_pairs_kernelI22helper_blocked_blockedN15benchmark_utils11custom_typeIiiEELj320ELj8ELj10EEvPKT0_PS4_
	.globl	_Z17sort_pairs_kernelI22helper_blocked_blockedN15benchmark_utils11custom_typeIiiEELj320ELj8ELj10EEvPKT0_PS4_
	.p2align	8
	.type	_Z17sort_pairs_kernelI22helper_blocked_blockedN15benchmark_utils11custom_typeIiiEELj320ELj8ELj10EEvPKT0_PS4_,@function
_Z17sort_pairs_kernelI22helper_blocked_blockedN15benchmark_utils11custom_typeIiiEELj320ELj8ELj10EEvPKT0_PS4_: ; @_Z17sort_pairs_kernelI22helper_blocked_blockedN15benchmark_utils11custom_typeIiiEELj320ELj8ELj10EEvPKT0_PS4_
; %bb.0:
	s_load_dwordx4 s[36:39], s[4:5], 0x0
	s_load_dword s2, s[4:5], 0x1c
	s_mul_i32 s42, s6, 0xa00
	s_mov_b32 s43, 0
	s_lshl_b64 s[40:41], s[42:43], 3
	s_waitcnt lgkmcnt(0)
	s_add_u32 s0, s36, s40
	s_addc_u32 s1, s37, s41
	v_lshlrev_b32_e32 v7, 3, v0
	v_mov_b32_e32 v3, s1
	v_add_co_u32_e32 v8, vcc, s0, v7
	v_addc_co_u32_e32 v9, vcc, 0, v3, vcc
	s_movk_i32 s3, 0x1000
	v_add_co_u32_e32 v3, vcc, s3, v8
	v_addc_co_u32_e32 v4, vcc, 0, v9, vcc
	global_load_dwordx2 v[20:21], v7, s[0:1]
	global_load_dwordx2 v[22:23], v7, s[0:1] offset:2560
	global_load_dwordx2 v[24:25], v[3:4], off offset:1024
	global_load_dwordx2 v[26:27], v[3:4], off offset:3584
	s_movk_i32 s0, 0x2000
	v_add_co_u32_e32 v3, vcc, s0, v8
	v_addc_co_u32_e32 v4, vcc, 0, v9, vcc
	s_movk_i32 s0, 0x3000
	v_add_co_u32_e32 v5, vcc, s0, v8
	v_addc_co_u32_e32 v6, vcc, 0, v9, vcc
	s_movk_i32 s0, 0x4000
	global_load_dwordx2 v[28:29], v[3:4], off offset:2048
	global_load_dwordx2 v[30:31], v[5:6], off offset:512
	global_load_dwordx2 v[32:33], v[5:6], off offset:3072
	v_add_co_u32_e32 v3, vcc, s0, v8
	v_addc_co_u32_e32 v4, vcc, 0, v9, vcc
	global_load_dwordx2 v[34:35], v[3:4], off offset:1536
	v_mbcnt_lo_u32_b32 v3, -1, 0
	s_movk_i32 s0, 0xe00
	v_mbcnt_hi_u32_b32 v36, -1, v3
	v_and_or_b32 v38, v7, s0, v36
	s_lshr_b32 s0, s2, 16
	s_and_b32 s1, s2, 0xffff
	v_mad_u32_u24 v1, v2, s0, v1
	v_mad_u64_u32 v[1:2], s[0:1], v1, s1, v[0:1]
	v_and_b32_e32 v2, 15, v36
	v_and_b32_e32 v37, 0x1c0, v0
	v_cmp_eq_u32_e64 s[0:1], 0, v2
	v_cmp_lt_u32_e64 s[2:3], 1, v2
	v_cmp_lt_u32_e64 s[4:5], 3, v2
	;; [unrolled: 1-line block ×3, first 2 shown]
	v_and_b32_e32 v2, 16, v36
	v_cmp_eq_u32_e64 s[8:9], 0, v2
	v_min_u32_e32 v2, 0x100, v37
	v_add_u32_e32 v40, 0x140, v38
	v_or_b32_e32 v2, 63, v2
	v_add_u32_e32 v3, v36, v37
	v_lshrrev_b32_e32 v40, 2, v40
	v_cmp_eq_u32_e64 s[12:13], v0, v2
	v_subrev_co_u32_e64 v2, s[18:19], 1, v36
	v_and_b32_e32 v37, 64, v36
	v_lshlrev_b32_e32 v39, 3, v38
	v_and_b32_e32 v40, 0x3f8, v40
	v_cmp_lt_i32_e32 vcc, v2, v37
	v_lshlrev_b32_e32 v4, 1, v3
	v_lshrrev_b32_e32 v5, 2, v38
	v_add_u32_e32 v6, 64, v38
	v_or_b32_e32 v7, 0x80, v38
	v_add_u32_e32 v8, 0xc0, v38
	v_or_b32_e32 v9, 0x100, v38
	;; [unrolled: 2-line block ×3, first 2 shown]
	v_add_u32_e32 v38, 0x1c0, v38
	v_cndmask_b32_e32 v2, v2, v36, vcc
	v_lshrrev_b32_e32 v1, 4, v1
	v_and_b32_e32 v4, 0x7f8, v4
	v_and_b32_e32 v5, 0x398, v5
	v_lshrrev_b32_e32 v6, 2, v6
	v_lshrrev_b32_e32 v7, 2, v7
	;; [unrolled: 1-line block ×6, first 2 shown]
	v_lshlrev_b32_e32 v77, 2, v2
	v_lshrrev_b32_e32 v2, 4, v0
	v_and_b32_e32 v80, 0xffffffc, v1
	v_lshlrev_b32_e32 v1, 1, v0
	v_lshl_add_u32 v67, v3, 6, v4
	v_add_u32_e32 v68, v5, v39
	v_and_b32_e32 v3, 0x3b8, v6
	v_and_b32_e32 v4, 0x3b8, v7
	;; [unrolled: 1-line block ×6, first 2 shown]
	v_lshlrev_b32_e32 v76, 4, v0
	v_cmp_lt_u32_e64 s[10:11], 31, v36
	v_and_b32_e32 v78, 28, v2
	v_mul_i32_i24_e32 v2, -12, v0
	v_and_b32_e32 v36, 7, v36
	v_and_b32_e32 v1, 0x3f8, v1
	v_mov_b32_e32 v19, 0
	v_add_u32_e32 v69, v3, v39
	v_add_u32_e32 v70, v4, v39
	;; [unrolled: 1-line block ×4, first 2 shown]
	s_waitcnt vmcnt(7)
	v_add_u32_e32 v16, 1, v21
	v_add_u32_e32 v15, 1, v20
	s_waitcnt vmcnt(6)
	v_add_u32_e32 v18, 1, v23
	v_add_u32_e32 v17, 1, v22
	;; [unrolled: 3-line block ×8, first 2 shown]
	v_add_u32_e32 v74, v40, v39
	v_add_u32_e32 v75, v38, v39
	v_cmp_gt_u32_e64 s[14:15], 5, v0
	v_cmp_lt_u32_e64 s[16:17], 63, v0
	v_cmp_eq_u32_e64 s[20:21], 0, v0
	v_cmp_eq_u32_e64 s[22:23], 0, v36
	v_cmp_lt_u32_e64 s[24:25], 1, v36
	v_cmp_lt_u32_e64 s[26:27], 3, v36
	v_add_u32_e32 v79, -4, v78
	v_lshl_add_u32 v81, v0, 6, v1
	v_add_u32_e32 v82, v76, v2
	s_branch .LBB183_2
.LBB183_1:                              ;   in Loop: Header=BB183_2 Depth=1
	s_barrier
	ds_write_b64 v20, v[33:34]
	ds_write_b64 v83, v[31:32]
	;; [unrolled: 1-line block ×8, first 2 shown]
	s_waitcnt lgkmcnt(0)
	s_barrier
	ds_read2_b64 v[21:24], v81 offset1:1
	ds_read2_b64 v[25:28], v81 offset0:2 offset1:3
	ds_read2_b64 v[29:32], v81 offset0:4 offset1:5
	;; [unrolled: 1-line block ×3, first 2 shown]
	s_waitcnt lgkmcnt(0)
	s_barrier
	ds_write_b64 v20, v[15:16]
	ds_write_b64 v83, v[13:14]
	;; [unrolled: 1-line block ×8, first 2 shown]
	s_waitcnt lgkmcnt(0)
	s_barrier
	ds_read2_b64 v[15:18], v81 offset1:1
	ds_read2_b64 v[11:14], v81 offset0:2 offset1:3
	ds_read2_b64 v[7:10], v81 offset0:4 offset1:5
	ds_read2_b64 v[3:6], v81 offset0:6 offset1:7
	s_add_i32 s43, s43, 1
	v_xor_b32_e32 v20, 0x80000000, v21
	v_xor_b32_e32 v21, 0x80000000, v22
	;; [unrolled: 1-line block ×15, first 2 shown]
	s_cmp_lg_u32 s43, 10
	v_xor_b32_e32 v35, 0x80000000, v36
	s_cbranch_scc0 .LBB183_28
.LBB183_2:                              ; =>This Loop Header: Depth=1
                                        ;     Child Loop BB183_4 Depth 2
	v_xor_b32_e32 v2, 0x80000000, v21
	v_xor_b32_e32 v1, 0x80000000, v20
	;; [unrolled: 1-line block ×16, first 2 shown]
	ds_write2_b64 v67, v[1:2], v[20:21] offset1:1
	ds_write2_b64 v67, v[22:23], v[24:25] offset0:2 offset1:3
	ds_write2_b64 v67, v[26:27], v[28:29] offset0:4 offset1:5
	;; [unrolled: 1-line block ×3, first 2 shown]
	; wave barrier
	ds_read_b64 v[35:36], v68
	ds_read_b64 v[37:38], v69 offset:512
	ds_read_b64 v[39:40], v70 offset:1024
	;; [unrolled: 1-line block ×7, first 2 shown]
	; wave barrier
	s_waitcnt lgkmcnt(14)
	ds_write2_b64 v67, v[15:16], v[17:18] offset1:1
	ds_write2_b64 v67, v[11:12], v[13:14] offset0:2 offset1:3
	s_waitcnt lgkmcnt(14)
	ds_write2_b64 v67, v[7:8], v[9:10] offset0:4 offset1:5
	ds_write2_b64 v67, v[3:4], v[5:6] offset0:6 offset1:7
	; wave barrier
	ds_read_b64 v[51:52], v68
	ds_read_b64 v[53:54], v69 offset:512
	ds_read_b64 v[55:56], v70 offset:1024
	;; [unrolled: 1-line block ×7, first 2 shown]
	s_mov_b32 s33, 8
	s_mov_b32 s36, 32
	;; [unrolled: 1-line block ×3, first 2 shown]
	s_waitcnt lgkmcnt(0)
	s_barrier
	s_branch .LBB183_4
.LBB183_3:                              ;   in Loop: Header=BB183_4 Depth=2
	s_andn2_b64 vcc, exec, s[28:29]
	s_cbranch_vccz .LBB183_1
.LBB183_4:                              ;   Parent Loop BB183_2 Depth=1
                                        ; =>  This Inner Loop Header: Depth=2
	s_min_i32 s30, s33, 32
	s_cmp_lt_u32 s37, 32
	s_cselect_b64 s[28:29], -1, 0
	s_cmp_gt_u32 s37, 31
	s_cselect_b64 vcc, -1, 0
	s_sub_i32 s30, s30, 32
	s_add_i32 s31, s30, s36
	s_lshl_b32 s31, -1, s31
	s_not_b32 s31, s31
	s_cmp_lg_u32 s30, s37
	s_cselect_b32 s44, s31, -1
	s_max_i32 s42, s36, 0
	s_max_i32 s30, s37, 32
	s_sub_i32 s45, s30, 32
	s_sub_i32 s30, s30, s42
	;; [unrolled: 1-line block ×3, first 2 shown]
	s_min_i32 s30, s30, 32
	s_sub_i32 s30, s30, s45
	s_lshl_b32 s31, -1, s30
	s_not_b32 s31, s31
	v_mov_b32_e32 v33, v35
	s_cmp_lg_u32 s30, 32
	v_mov_b32_e32 v34, v36
	s_cselect_b32 s46, s31, -1
	v_lshrrev_b32_e32 v35, s45, v33
	v_lshrrev_b32_e32 v20, s37, v34
	v_and_b32_e32 v35, s46, v35
	v_and_b32_e32 v20, s44, v20
	v_lshlrev_b32_e32 v35, s42, v35
	v_cndmask_b32_e64 v20, 0, v20, s[28:29]
	v_cndmask_b32_e32 v35, 0, v35, vcc
	v_or_b32_e32 v35, v20, v35
	v_and_b32_e32 v20, 1, v35
	v_mov_b32_e32 v31, v37
	v_add_co_u32_e64 v36, s[30:31], -1, v20
	v_mov_b32_e32 v32, v38
	v_addc_co_u32_e64 v38, s[30:31], 0, -1, s[30:31]
	v_cmp_ne_u32_e64 s[30:31], 0, v20
	v_xor_b32_e32 v20, s31, v38
	v_and_b32_e32 v38, exec_hi, v20
	v_lshlrev_b32_e32 v20, 30, v35
	v_xor_b32_e32 v36, s30, v36
	v_cmp_gt_i64_e64 s[30:31], 0, v[19:20]
	v_not_b32_e32 v20, v20
	v_mov_b32_e32 v29, v39
	v_ashrrev_i32_e32 v20, 31, v20
	v_mov_b32_e32 v30, v40
	v_and_b32_e32 v36, exec_lo, v36
	v_xor_b32_e32 v39, s31, v20
	v_xor_b32_e32 v20, s30, v20
	v_and_b32_e32 v36, v36, v20
	v_lshlrev_b32_e32 v20, 29, v35
	v_cmp_gt_i64_e64 s[30:31], 0, v[19:20]
	v_not_b32_e32 v20, v20
	v_ashrrev_i32_e32 v20, 31, v20
	v_and_b32_e32 v38, v38, v39
	v_xor_b32_e32 v39, s31, v20
	v_xor_b32_e32 v20, s30, v20
	v_and_b32_e32 v36, v36, v20
	v_lshlrev_b32_e32 v20, 28, v35
	v_cmp_gt_i64_e64 s[30:31], 0, v[19:20]
	v_not_b32_e32 v20, v20
	v_ashrrev_i32_e32 v20, 31, v20
	v_and_b32_e32 v38, v38, v39
	;; [unrolled: 8-line block ×5, first 2 shown]
	v_xor_b32_e32 v39, s31, v20
	v_xor_b32_e32 v20, s30, v20
	v_and_b32_e32 v38, v38, v39
	v_and_b32_e32 v39, v36, v20
	v_lshlrev_b32_e32 v20, 24, v35
	v_cmp_gt_i64_e64 s[30:31], 0, v[19:20]
	v_not_b32_e32 v20, v20
	v_ashrrev_i32_e32 v20, 31, v20
	v_mul_lo_u32 v37, v35, 20
	v_xor_b32_e32 v35, s31, v20
	v_xor_b32_e32 v20, s30, v20
	v_and_b32_e32 v36, v38, v35
	v_and_b32_e32 v35, v39, v20
	v_mbcnt_lo_u32_b32 v20, v35, 0
	v_mbcnt_hi_u32_b32 v39, v36, v20
	v_cmp_ne_u64_e64 s[30:31], 0, v[35:36]
	v_mov_b32_e32 v15, v51
	v_mov_b32_e32 v13, v53
	;; [unrolled: 1-line block ×13, first 2 shown]
	v_cmp_eq_u32_e64 s[34:35], 0, v39
	v_mov_b32_e32 v16, v52
	v_mov_b32_e32 v14, v54
	;; [unrolled: 1-line block ×13, first 2 shown]
	s_and_b64 s[34:35], s[34:35], s[30:31]
	v_add_u32_e32 v40, v80, v37
	ds_write2_b32 v76, v19, v19 offset0:5 offset1:6
	ds_write2_b32 v76, v19, v19 offset0:7 offset1:8
	s_waitcnt lgkmcnt(0)
	s_barrier
	; wave barrier
	s_and_saveexec_b64 s[30:31], s[34:35]
; %bb.5:                                ;   in Loop: Header=BB183_4 Depth=2
	v_bcnt_u32_b32 v20, v35, 0
	v_bcnt_u32_b32 v20, v36, v20
	ds_write_b32 v40, v20 offset:20
; %bb.6:                                ;   in Loop: Header=BB183_4 Depth=2
	s_or_b64 exec, exec, s[30:31]
	v_lshrrev_b32_e32 v35, s45, v31
	v_lshrrev_b32_e32 v20, s37, v32
	v_and_b32_e32 v35, s46, v35
	v_and_b32_e32 v20, s44, v20
	v_lshlrev_b32_e32 v35, s42, v35
	v_cndmask_b32_e64 v20, 0, v20, s[28:29]
	v_cndmask_b32_e32 v35, 0, v35, vcc
	v_or_b32_e32 v35, v20, v35
	v_mul_lo_u32 v20, v35, 20
	; wave barrier
	v_add_u32_e32 v42, v80, v20
	v_and_b32_e32 v20, 1, v35
	v_add_co_u32_e64 v36, s[30:31], -1, v20
	v_addc_co_u32_e64 v37, s[30:31], 0, -1, s[30:31]
	v_cmp_ne_u32_e64 s[30:31], 0, v20
	v_xor_b32_e32 v20, s31, v37
	v_and_b32_e32 v37, exec_hi, v20
	v_lshlrev_b32_e32 v20, 30, v35
	v_xor_b32_e32 v36, s30, v36
	v_cmp_gt_i64_e64 s[30:31], 0, v[19:20]
	v_not_b32_e32 v20, v20
	v_ashrrev_i32_e32 v20, 31, v20
	v_and_b32_e32 v36, exec_lo, v36
	v_xor_b32_e32 v38, s31, v20
	v_xor_b32_e32 v20, s30, v20
	v_and_b32_e32 v36, v36, v20
	v_lshlrev_b32_e32 v20, 29, v35
	v_cmp_gt_i64_e64 s[30:31], 0, v[19:20]
	v_not_b32_e32 v20, v20
	v_ashrrev_i32_e32 v20, 31, v20
	v_and_b32_e32 v37, v37, v38
	v_xor_b32_e32 v38, s31, v20
	v_xor_b32_e32 v20, s30, v20
	v_and_b32_e32 v36, v36, v20
	v_lshlrev_b32_e32 v20, 28, v35
	v_cmp_gt_i64_e64 s[30:31], 0, v[19:20]
	v_not_b32_e32 v20, v20
	v_ashrrev_i32_e32 v20, 31, v20
	v_and_b32_e32 v37, v37, v38
	;; [unrolled: 8-line block ×5, first 2 shown]
	v_xor_b32_e32 v38, s31, v20
	v_xor_b32_e32 v20, s30, v20
	v_and_b32_e32 v37, v37, v38
	v_and_b32_e32 v38, v36, v20
	v_lshlrev_b32_e32 v20, 24, v35
	v_cmp_gt_i64_e64 s[30:31], 0, v[19:20]
	v_not_b32_e32 v20, v20
	v_ashrrev_i32_e32 v20, 31, v20
	v_xor_b32_e32 v35, s31, v20
	v_xor_b32_e32 v20, s30, v20
	ds_read_b32 v41, v42 offset:20
	v_and_b32_e32 v36, v37, v35
	v_and_b32_e32 v35, v38, v20
	v_mbcnt_lo_u32_b32 v20, v35, 0
	v_mbcnt_hi_u32_b32 v43, v36, v20
	v_cmp_ne_u64_e64 s[30:31], 0, v[35:36]
	v_cmp_eq_u32_e64 s[34:35], 0, v43
	s_and_b64 s[34:35], s[34:35], s[30:31]
	; wave barrier
	s_and_saveexec_b64 s[30:31], s[34:35]
	s_cbranch_execz .LBB183_8
; %bb.7:                                ;   in Loop: Header=BB183_4 Depth=2
	v_bcnt_u32_b32 v20, v35, 0
	v_bcnt_u32_b32 v20, v36, v20
	s_waitcnt lgkmcnt(0)
	v_add_u32_e32 v20, v41, v20
	ds_write_b32 v42, v20 offset:20
.LBB183_8:                              ;   in Loop: Header=BB183_4 Depth=2
	s_or_b64 exec, exec, s[30:31]
	v_lshrrev_b32_e32 v35, s45, v29
	v_lshrrev_b32_e32 v20, s37, v30
	v_and_b32_e32 v35, s46, v35
	v_and_b32_e32 v20, s44, v20
	v_lshlrev_b32_e32 v35, s42, v35
	v_cndmask_b32_e64 v20, 0, v20, s[28:29]
	v_cndmask_b32_e32 v35, 0, v35, vcc
	v_or_b32_e32 v35, v20, v35
	v_mul_lo_u32 v20, v35, 20
	; wave barrier
	v_add_u32_e32 v45, v80, v20
	v_and_b32_e32 v20, 1, v35
	v_add_co_u32_e64 v36, s[30:31], -1, v20
	v_addc_co_u32_e64 v37, s[30:31], 0, -1, s[30:31]
	v_cmp_ne_u32_e64 s[30:31], 0, v20
	v_xor_b32_e32 v20, s31, v37
	v_and_b32_e32 v37, exec_hi, v20
	v_lshlrev_b32_e32 v20, 30, v35
	v_xor_b32_e32 v36, s30, v36
	v_cmp_gt_i64_e64 s[30:31], 0, v[19:20]
	v_not_b32_e32 v20, v20
	v_ashrrev_i32_e32 v20, 31, v20
	v_and_b32_e32 v36, exec_lo, v36
	v_xor_b32_e32 v38, s31, v20
	v_xor_b32_e32 v20, s30, v20
	v_and_b32_e32 v36, v36, v20
	v_lshlrev_b32_e32 v20, 29, v35
	v_cmp_gt_i64_e64 s[30:31], 0, v[19:20]
	v_not_b32_e32 v20, v20
	v_ashrrev_i32_e32 v20, 31, v20
	v_and_b32_e32 v37, v37, v38
	v_xor_b32_e32 v38, s31, v20
	v_xor_b32_e32 v20, s30, v20
	v_and_b32_e32 v36, v36, v20
	v_lshlrev_b32_e32 v20, 28, v35
	v_cmp_gt_i64_e64 s[30:31], 0, v[19:20]
	v_not_b32_e32 v20, v20
	v_ashrrev_i32_e32 v20, 31, v20
	v_and_b32_e32 v37, v37, v38
	;; [unrolled: 8-line block ×5, first 2 shown]
	v_xor_b32_e32 v38, s31, v20
	v_xor_b32_e32 v20, s30, v20
	v_and_b32_e32 v37, v37, v38
	v_and_b32_e32 v38, v36, v20
	v_lshlrev_b32_e32 v20, 24, v35
	v_cmp_gt_i64_e64 s[30:31], 0, v[19:20]
	v_not_b32_e32 v20, v20
	v_ashrrev_i32_e32 v20, 31, v20
	v_xor_b32_e32 v35, s31, v20
	v_xor_b32_e32 v20, s30, v20
	ds_read_b32 v44, v45 offset:20
	v_and_b32_e32 v36, v37, v35
	v_and_b32_e32 v35, v38, v20
	v_mbcnt_lo_u32_b32 v20, v35, 0
	v_mbcnt_hi_u32_b32 v46, v36, v20
	v_cmp_ne_u64_e64 s[30:31], 0, v[35:36]
	v_cmp_eq_u32_e64 s[34:35], 0, v46
	s_and_b64 s[34:35], s[34:35], s[30:31]
	; wave barrier
	s_and_saveexec_b64 s[30:31], s[34:35]
	s_cbranch_execz .LBB183_10
; %bb.9:                                ;   in Loop: Header=BB183_4 Depth=2
	v_bcnt_u32_b32 v20, v35, 0
	v_bcnt_u32_b32 v20, v36, v20
	s_waitcnt lgkmcnt(0)
	v_add_u32_e32 v20, v44, v20
	ds_write_b32 v45, v20 offset:20
.LBB183_10:                             ;   in Loop: Header=BB183_4 Depth=2
	s_or_b64 exec, exec, s[30:31]
	v_lshrrev_b32_e32 v35, s45, v27
	v_lshrrev_b32_e32 v20, s37, v28
	v_and_b32_e32 v35, s46, v35
	v_and_b32_e32 v20, s44, v20
	v_lshlrev_b32_e32 v35, s42, v35
	v_cndmask_b32_e64 v20, 0, v20, s[28:29]
	v_cndmask_b32_e32 v35, 0, v35, vcc
	v_or_b32_e32 v35, v20, v35
	v_mul_lo_u32 v20, v35, 20
	; wave barrier
	v_add_u32_e32 v48, v80, v20
	v_and_b32_e32 v20, 1, v35
	v_add_co_u32_e64 v36, s[30:31], -1, v20
	v_addc_co_u32_e64 v37, s[30:31], 0, -1, s[30:31]
	v_cmp_ne_u32_e64 s[30:31], 0, v20
	v_xor_b32_e32 v20, s31, v37
	v_and_b32_e32 v37, exec_hi, v20
	v_lshlrev_b32_e32 v20, 30, v35
	v_xor_b32_e32 v36, s30, v36
	v_cmp_gt_i64_e64 s[30:31], 0, v[19:20]
	v_not_b32_e32 v20, v20
	v_ashrrev_i32_e32 v20, 31, v20
	v_and_b32_e32 v36, exec_lo, v36
	v_xor_b32_e32 v38, s31, v20
	v_xor_b32_e32 v20, s30, v20
	v_and_b32_e32 v36, v36, v20
	v_lshlrev_b32_e32 v20, 29, v35
	v_cmp_gt_i64_e64 s[30:31], 0, v[19:20]
	v_not_b32_e32 v20, v20
	v_ashrrev_i32_e32 v20, 31, v20
	v_and_b32_e32 v37, v37, v38
	v_xor_b32_e32 v38, s31, v20
	v_xor_b32_e32 v20, s30, v20
	v_and_b32_e32 v36, v36, v20
	v_lshlrev_b32_e32 v20, 28, v35
	v_cmp_gt_i64_e64 s[30:31], 0, v[19:20]
	v_not_b32_e32 v20, v20
	v_ashrrev_i32_e32 v20, 31, v20
	v_and_b32_e32 v37, v37, v38
	;; [unrolled: 8-line block ×5, first 2 shown]
	v_xor_b32_e32 v38, s31, v20
	v_xor_b32_e32 v20, s30, v20
	v_and_b32_e32 v37, v37, v38
	v_and_b32_e32 v38, v36, v20
	v_lshlrev_b32_e32 v20, 24, v35
	v_cmp_gt_i64_e64 s[30:31], 0, v[19:20]
	v_not_b32_e32 v20, v20
	v_ashrrev_i32_e32 v20, 31, v20
	v_xor_b32_e32 v35, s31, v20
	v_xor_b32_e32 v20, s30, v20
	ds_read_b32 v47, v48 offset:20
	v_and_b32_e32 v36, v37, v35
	v_and_b32_e32 v35, v38, v20
	v_mbcnt_lo_u32_b32 v20, v35, 0
	v_mbcnt_hi_u32_b32 v49, v36, v20
	v_cmp_ne_u64_e64 s[30:31], 0, v[35:36]
	v_cmp_eq_u32_e64 s[34:35], 0, v49
	s_and_b64 s[34:35], s[34:35], s[30:31]
	; wave barrier
	s_and_saveexec_b64 s[30:31], s[34:35]
	s_cbranch_execz .LBB183_12
; %bb.11:                               ;   in Loop: Header=BB183_4 Depth=2
	v_bcnt_u32_b32 v20, v35, 0
	v_bcnt_u32_b32 v20, v36, v20
	s_waitcnt lgkmcnt(0)
	v_add_u32_e32 v20, v47, v20
	ds_write_b32 v48, v20 offset:20
.LBB183_12:                             ;   in Loop: Header=BB183_4 Depth=2
	s_or_b64 exec, exec, s[30:31]
	v_lshrrev_b32_e32 v35, s45, v25
	v_lshrrev_b32_e32 v20, s37, v26
	v_and_b32_e32 v35, s46, v35
	v_and_b32_e32 v20, s44, v20
	v_lshlrev_b32_e32 v35, s42, v35
	v_cndmask_b32_e64 v20, 0, v20, s[28:29]
	v_cndmask_b32_e32 v35, 0, v35, vcc
	v_or_b32_e32 v35, v20, v35
	v_mul_lo_u32 v20, v35, 20
	; wave barrier
	v_add_u32_e32 v51, v80, v20
	v_and_b32_e32 v20, 1, v35
	v_add_co_u32_e64 v36, s[30:31], -1, v20
	v_addc_co_u32_e64 v37, s[30:31], 0, -1, s[30:31]
	v_cmp_ne_u32_e64 s[30:31], 0, v20
	v_xor_b32_e32 v20, s31, v37
	v_and_b32_e32 v37, exec_hi, v20
	v_lshlrev_b32_e32 v20, 30, v35
	v_xor_b32_e32 v36, s30, v36
	v_cmp_gt_i64_e64 s[30:31], 0, v[19:20]
	v_not_b32_e32 v20, v20
	v_ashrrev_i32_e32 v20, 31, v20
	v_and_b32_e32 v36, exec_lo, v36
	v_xor_b32_e32 v38, s31, v20
	v_xor_b32_e32 v20, s30, v20
	v_and_b32_e32 v36, v36, v20
	v_lshlrev_b32_e32 v20, 29, v35
	v_cmp_gt_i64_e64 s[30:31], 0, v[19:20]
	v_not_b32_e32 v20, v20
	v_ashrrev_i32_e32 v20, 31, v20
	v_and_b32_e32 v37, v37, v38
	v_xor_b32_e32 v38, s31, v20
	v_xor_b32_e32 v20, s30, v20
	v_and_b32_e32 v36, v36, v20
	v_lshlrev_b32_e32 v20, 28, v35
	v_cmp_gt_i64_e64 s[30:31], 0, v[19:20]
	v_not_b32_e32 v20, v20
	v_ashrrev_i32_e32 v20, 31, v20
	v_and_b32_e32 v37, v37, v38
	;; [unrolled: 8-line block ×5, first 2 shown]
	v_xor_b32_e32 v38, s31, v20
	v_xor_b32_e32 v20, s30, v20
	v_and_b32_e32 v37, v37, v38
	v_and_b32_e32 v38, v36, v20
	v_lshlrev_b32_e32 v20, 24, v35
	v_cmp_gt_i64_e64 s[30:31], 0, v[19:20]
	v_not_b32_e32 v20, v20
	v_ashrrev_i32_e32 v20, 31, v20
	v_xor_b32_e32 v35, s31, v20
	v_xor_b32_e32 v20, s30, v20
	ds_read_b32 v50, v51 offset:20
	v_and_b32_e32 v36, v37, v35
	v_and_b32_e32 v35, v38, v20
	v_mbcnt_lo_u32_b32 v20, v35, 0
	v_mbcnt_hi_u32_b32 v52, v36, v20
	v_cmp_ne_u64_e64 s[30:31], 0, v[35:36]
	v_cmp_eq_u32_e64 s[34:35], 0, v52
	s_and_b64 s[34:35], s[34:35], s[30:31]
	; wave barrier
	s_and_saveexec_b64 s[30:31], s[34:35]
	s_cbranch_execz .LBB183_14
; %bb.13:                               ;   in Loop: Header=BB183_4 Depth=2
	v_bcnt_u32_b32 v20, v35, 0
	v_bcnt_u32_b32 v20, v36, v20
	s_waitcnt lgkmcnt(0)
	v_add_u32_e32 v20, v50, v20
	ds_write_b32 v51, v20 offset:20
.LBB183_14:                             ;   in Loop: Header=BB183_4 Depth=2
	s_or_b64 exec, exec, s[30:31]
	v_lshrrev_b32_e32 v35, s45, v23
	v_lshrrev_b32_e32 v20, s37, v24
	v_and_b32_e32 v35, s46, v35
	v_and_b32_e32 v20, s44, v20
	v_lshlrev_b32_e32 v35, s42, v35
	v_cndmask_b32_e64 v20, 0, v20, s[28:29]
	v_cndmask_b32_e32 v35, 0, v35, vcc
	v_or_b32_e32 v35, v20, v35
	v_mul_lo_u32 v20, v35, 20
	; wave barrier
	v_add_u32_e32 v54, v80, v20
	v_and_b32_e32 v20, 1, v35
	v_add_co_u32_e64 v36, s[30:31], -1, v20
	v_addc_co_u32_e64 v37, s[30:31], 0, -1, s[30:31]
	v_cmp_ne_u32_e64 s[30:31], 0, v20
	v_xor_b32_e32 v20, s31, v37
	v_and_b32_e32 v37, exec_hi, v20
	v_lshlrev_b32_e32 v20, 30, v35
	v_xor_b32_e32 v36, s30, v36
	v_cmp_gt_i64_e64 s[30:31], 0, v[19:20]
	v_not_b32_e32 v20, v20
	v_ashrrev_i32_e32 v20, 31, v20
	v_and_b32_e32 v36, exec_lo, v36
	v_xor_b32_e32 v38, s31, v20
	v_xor_b32_e32 v20, s30, v20
	v_and_b32_e32 v36, v36, v20
	v_lshlrev_b32_e32 v20, 29, v35
	v_cmp_gt_i64_e64 s[30:31], 0, v[19:20]
	v_not_b32_e32 v20, v20
	v_ashrrev_i32_e32 v20, 31, v20
	v_and_b32_e32 v37, v37, v38
	v_xor_b32_e32 v38, s31, v20
	v_xor_b32_e32 v20, s30, v20
	v_and_b32_e32 v36, v36, v20
	v_lshlrev_b32_e32 v20, 28, v35
	v_cmp_gt_i64_e64 s[30:31], 0, v[19:20]
	v_not_b32_e32 v20, v20
	v_ashrrev_i32_e32 v20, 31, v20
	v_and_b32_e32 v37, v37, v38
	;; [unrolled: 8-line block ×5, first 2 shown]
	v_xor_b32_e32 v38, s31, v20
	v_xor_b32_e32 v20, s30, v20
	v_and_b32_e32 v37, v37, v38
	v_and_b32_e32 v38, v36, v20
	v_lshlrev_b32_e32 v20, 24, v35
	v_cmp_gt_i64_e64 s[30:31], 0, v[19:20]
	v_not_b32_e32 v20, v20
	v_ashrrev_i32_e32 v20, 31, v20
	v_xor_b32_e32 v35, s31, v20
	v_xor_b32_e32 v20, s30, v20
	ds_read_b32 v53, v54 offset:20
	v_and_b32_e32 v36, v37, v35
	v_and_b32_e32 v35, v38, v20
	v_mbcnt_lo_u32_b32 v20, v35, 0
	v_mbcnt_hi_u32_b32 v55, v36, v20
	v_cmp_ne_u64_e64 s[30:31], 0, v[35:36]
	v_cmp_eq_u32_e64 s[34:35], 0, v55
	s_and_b64 s[34:35], s[34:35], s[30:31]
	; wave barrier
	s_and_saveexec_b64 s[30:31], s[34:35]
	s_cbranch_execz .LBB183_16
; %bb.15:                               ;   in Loop: Header=BB183_4 Depth=2
	v_bcnt_u32_b32 v20, v35, 0
	v_bcnt_u32_b32 v20, v36, v20
	s_waitcnt lgkmcnt(0)
	v_add_u32_e32 v20, v53, v20
	ds_write_b32 v54, v20 offset:20
.LBB183_16:                             ;   in Loop: Header=BB183_4 Depth=2
	s_or_b64 exec, exec, s[30:31]
	v_lshrrev_b32_e32 v35, s45, v21
	v_lshrrev_b32_e32 v20, s37, v22
	v_and_b32_e32 v35, s46, v35
	v_and_b32_e32 v20, s44, v20
	v_lshlrev_b32_e32 v35, s42, v35
	v_cndmask_b32_e64 v20, 0, v20, s[28:29]
	v_cndmask_b32_e32 v35, 0, v35, vcc
	v_or_b32_e32 v35, v20, v35
	v_mul_lo_u32 v20, v35, 20
	; wave barrier
	v_add_u32_e32 v57, v80, v20
	v_and_b32_e32 v20, 1, v35
	v_add_co_u32_e64 v36, s[30:31], -1, v20
	v_addc_co_u32_e64 v37, s[30:31], 0, -1, s[30:31]
	v_cmp_ne_u32_e64 s[30:31], 0, v20
	v_xor_b32_e32 v20, s31, v37
	v_and_b32_e32 v37, exec_hi, v20
	v_lshlrev_b32_e32 v20, 30, v35
	v_xor_b32_e32 v36, s30, v36
	v_cmp_gt_i64_e64 s[30:31], 0, v[19:20]
	v_not_b32_e32 v20, v20
	v_ashrrev_i32_e32 v20, 31, v20
	v_and_b32_e32 v36, exec_lo, v36
	v_xor_b32_e32 v38, s31, v20
	v_xor_b32_e32 v20, s30, v20
	v_and_b32_e32 v36, v36, v20
	v_lshlrev_b32_e32 v20, 29, v35
	v_cmp_gt_i64_e64 s[30:31], 0, v[19:20]
	v_not_b32_e32 v20, v20
	v_ashrrev_i32_e32 v20, 31, v20
	v_and_b32_e32 v37, v37, v38
	v_xor_b32_e32 v38, s31, v20
	v_xor_b32_e32 v20, s30, v20
	v_and_b32_e32 v36, v36, v20
	v_lshlrev_b32_e32 v20, 28, v35
	v_cmp_gt_i64_e64 s[30:31], 0, v[19:20]
	v_not_b32_e32 v20, v20
	v_ashrrev_i32_e32 v20, 31, v20
	v_and_b32_e32 v37, v37, v38
	;; [unrolled: 8-line block ×5, first 2 shown]
	v_xor_b32_e32 v38, s31, v20
	v_xor_b32_e32 v20, s30, v20
	v_and_b32_e32 v37, v37, v38
	v_and_b32_e32 v38, v36, v20
	v_lshlrev_b32_e32 v20, 24, v35
	v_cmp_gt_i64_e64 s[30:31], 0, v[19:20]
	v_not_b32_e32 v20, v20
	v_ashrrev_i32_e32 v20, 31, v20
	v_xor_b32_e32 v35, s31, v20
	v_xor_b32_e32 v20, s30, v20
	ds_read_b32 v56, v57 offset:20
	v_and_b32_e32 v36, v37, v35
	v_and_b32_e32 v35, v38, v20
	v_mbcnt_lo_u32_b32 v20, v35, 0
	v_mbcnt_hi_u32_b32 v58, v36, v20
	v_cmp_ne_u64_e64 s[30:31], 0, v[35:36]
	v_cmp_eq_u32_e64 s[34:35], 0, v58
	s_and_b64 s[34:35], s[34:35], s[30:31]
	; wave barrier
	s_and_saveexec_b64 s[30:31], s[34:35]
	s_cbranch_execz .LBB183_18
; %bb.17:                               ;   in Loop: Header=BB183_4 Depth=2
	v_bcnt_u32_b32 v20, v35, 0
	v_bcnt_u32_b32 v20, v36, v20
	s_waitcnt lgkmcnt(0)
	v_add_u32_e32 v20, v56, v20
	ds_write_b32 v57, v20 offset:20
.LBB183_18:                             ;   in Loop: Header=BB183_4 Depth=2
	s_or_b64 exec, exec, s[30:31]
	v_lshrrev_b32_e32 v35, s45, v17
	v_lshrrev_b32_e32 v20, s37, v18
	v_and_b32_e32 v35, s46, v35
	v_and_b32_e32 v20, s44, v20
	v_lshlrev_b32_e32 v35, s42, v35
	v_cndmask_b32_e64 v20, 0, v20, s[28:29]
	v_cndmask_b32_e32 v35, 0, v35, vcc
	v_or_b32_e32 v35, v20, v35
	v_mul_lo_u32 v20, v35, 20
	; wave barrier
	v_add_u32_e32 v60, v80, v20
	v_and_b32_e32 v20, 1, v35
	v_add_co_u32_e32 v36, vcc, -1, v20
	v_addc_co_u32_e64 v37, s[28:29], 0, -1, vcc
	v_cmp_ne_u32_e32 vcc, 0, v20
	v_xor_b32_e32 v20, vcc_hi, v37
	v_and_b32_e32 v37, exec_hi, v20
	v_lshlrev_b32_e32 v20, 30, v35
	v_xor_b32_e32 v36, vcc_lo, v36
	v_cmp_gt_i64_e32 vcc, 0, v[19:20]
	v_not_b32_e32 v20, v20
	v_ashrrev_i32_e32 v20, 31, v20
	v_and_b32_e32 v36, exec_lo, v36
	v_xor_b32_e32 v38, vcc_hi, v20
	v_xor_b32_e32 v20, vcc_lo, v20
	v_and_b32_e32 v36, v36, v20
	v_lshlrev_b32_e32 v20, 29, v35
	v_cmp_gt_i64_e32 vcc, 0, v[19:20]
	v_not_b32_e32 v20, v20
	v_ashrrev_i32_e32 v20, 31, v20
	v_and_b32_e32 v37, v37, v38
	v_xor_b32_e32 v38, vcc_hi, v20
	v_xor_b32_e32 v20, vcc_lo, v20
	v_and_b32_e32 v36, v36, v20
	v_lshlrev_b32_e32 v20, 28, v35
	v_cmp_gt_i64_e32 vcc, 0, v[19:20]
	v_not_b32_e32 v20, v20
	v_ashrrev_i32_e32 v20, 31, v20
	v_and_b32_e32 v37, v37, v38
	v_xor_b32_e32 v38, vcc_hi, v20
	v_xor_b32_e32 v20, vcc_lo, v20
	v_and_b32_e32 v36, v36, v20
	v_lshlrev_b32_e32 v20, 27, v35
	v_cmp_gt_i64_e32 vcc, 0, v[19:20]
	v_not_b32_e32 v20, v20
	v_ashrrev_i32_e32 v20, 31, v20
	v_and_b32_e32 v37, v37, v38
	v_xor_b32_e32 v38, vcc_hi, v20
	v_xor_b32_e32 v20, vcc_lo, v20
	v_and_b32_e32 v36, v36, v20
	v_lshlrev_b32_e32 v20, 26, v35
	v_cmp_gt_i64_e32 vcc, 0, v[19:20]
	v_not_b32_e32 v20, v20
	v_ashrrev_i32_e32 v20, 31, v20
	v_and_b32_e32 v37, v37, v38
	v_xor_b32_e32 v38, vcc_hi, v20
	v_xor_b32_e32 v20, vcc_lo, v20
	v_and_b32_e32 v36, v36, v20
	v_lshlrev_b32_e32 v20, 25, v35
	v_cmp_gt_i64_e32 vcc, 0, v[19:20]
	v_not_b32_e32 v20, v20
	v_ashrrev_i32_e32 v20, 31, v20
	v_and_b32_e32 v37, v37, v38
	v_xor_b32_e32 v38, vcc_hi, v20
	v_xor_b32_e32 v20, vcc_lo, v20
	v_and_b32_e32 v37, v37, v38
	v_and_b32_e32 v38, v36, v20
	v_lshlrev_b32_e32 v20, 24, v35
	v_cmp_gt_i64_e32 vcc, 0, v[19:20]
	v_not_b32_e32 v20, v20
	v_ashrrev_i32_e32 v20, 31, v20
	v_xor_b32_e32 v35, vcc_hi, v20
	v_xor_b32_e32 v20, vcc_lo, v20
	ds_read_b32 v59, v60 offset:20
	v_and_b32_e32 v36, v37, v35
	v_and_b32_e32 v35, v38, v20
	v_mbcnt_lo_u32_b32 v20, v35, 0
	v_mbcnt_hi_u32_b32 v20, v36, v20
	v_cmp_ne_u64_e32 vcc, 0, v[35:36]
	v_cmp_eq_u32_e64 s[28:29], 0, v20
	s_and_b64 s[30:31], s[28:29], vcc
	; wave barrier
	s_and_saveexec_b64 s[28:29], s[30:31]
	s_cbranch_execz .LBB183_20
; %bb.19:                               ;   in Loop: Header=BB183_4 Depth=2
	v_bcnt_u32_b32 v35, v35, 0
	v_bcnt_u32_b32 v35, v36, v35
	s_waitcnt lgkmcnt(0)
	v_add_u32_e32 v35, v59, v35
	ds_write_b32 v60, v35 offset:20
.LBB183_20:                             ;   in Loop: Header=BB183_4 Depth=2
	s_or_b64 exec, exec, s[28:29]
	; wave barrier
	s_waitcnt lgkmcnt(0)
	s_barrier
	ds_read2_b32 v[37:38], v76 offset0:5 offset1:6
	ds_read2_b32 v[35:36], v76 offset0:7 offset1:8
	s_waitcnt lgkmcnt(1)
	v_add_u32_e32 v61, v38, v37
	s_waitcnt lgkmcnt(0)
	v_add3_u32 v36, v61, v35, v36
	s_nop 1
	v_mov_b32_dpp v61, v36 row_shr:1 row_mask:0xf bank_mask:0xf
	v_cndmask_b32_e64 v61, v61, 0, s[0:1]
	v_add_u32_e32 v36, v61, v36
	s_nop 1
	v_mov_b32_dpp v61, v36 row_shr:2 row_mask:0xf bank_mask:0xf
	v_cndmask_b32_e64 v61, 0, v61, s[2:3]
	v_add_u32_e32 v36, v36, v61
	;; [unrolled: 4-line block ×4, first 2 shown]
	s_nop 1
	v_mov_b32_dpp v61, v36 row_bcast:15 row_mask:0xf bank_mask:0xf
	v_cndmask_b32_e64 v61, v61, 0, s[8:9]
	v_add_u32_e32 v36, v36, v61
	s_nop 1
	v_mov_b32_dpp v61, v36 row_bcast:31 row_mask:0xf bank_mask:0xf
	v_cndmask_b32_e64 v61, 0, v61, s[10:11]
	v_add_u32_e32 v36, v36, v61
	s_and_saveexec_b64 s[28:29], s[12:13]
; %bb.21:                               ;   in Loop: Header=BB183_4 Depth=2
	ds_write_b32 v78, v36
; %bb.22:                               ;   in Loop: Header=BB183_4 Depth=2
	s_or_b64 exec, exec, s[28:29]
	s_waitcnt lgkmcnt(0)
	s_barrier
	s_and_saveexec_b64 s[28:29], s[14:15]
	s_cbranch_execz .LBB183_24
; %bb.23:                               ;   in Loop: Header=BB183_4 Depth=2
	ds_read_b32 v61, v82
	s_waitcnt lgkmcnt(0)
	s_nop 0
	v_mov_b32_dpp v62, v61 row_shr:1 row_mask:0xf bank_mask:0xf
	v_cndmask_b32_e64 v62, v62, 0, s[22:23]
	v_add_u32_e32 v61, v62, v61
	s_nop 1
	v_mov_b32_dpp v62, v61 row_shr:2 row_mask:0xf bank_mask:0xf
	v_cndmask_b32_e64 v62, 0, v62, s[24:25]
	v_add_u32_e32 v61, v61, v62
	;; [unrolled: 4-line block ×3, first 2 shown]
	ds_write_b32 v82, v61
.LBB183_24:                             ;   in Loop: Header=BB183_4 Depth=2
	s_or_b64 exec, exec, s[28:29]
	v_mov_b32_e32 v61, 0
	s_waitcnt lgkmcnt(0)
	s_barrier
	s_and_saveexec_b64 s[28:29], s[16:17]
; %bb.25:                               ;   in Loop: Header=BB183_4 Depth=2
	ds_read_b32 v61, v79
; %bb.26:                               ;   in Loop: Header=BB183_4 Depth=2
	s_or_b64 exec, exec, s[28:29]
	s_waitcnt lgkmcnt(0)
	v_add_u32_e32 v36, v61, v36
	ds_bpermute_b32 v36, v77, v36
	s_cmp_gt_u32 s37, 55
	s_mov_b64 s[28:29], -1
                                        ; implicit-def: $vgpr63_vgpr64
                                        ; implicit-def: $vgpr65_vgpr66
	s_waitcnt lgkmcnt(0)
	v_cndmask_b32_e64 v36, v36, v61, s[18:19]
	v_cndmask_b32_e64 v36, v36, 0, s[20:21]
	v_add_u32_e32 v37, v36, v37
	v_add_u32_e32 v38, v37, v38
	v_add_u32_e32 v35, v38, v35
	ds_write2_b32 v76, v36, v37 offset0:5 offset1:6
	ds_write2_b32 v76, v38, v35 offset0:7 offset1:8
	s_waitcnt lgkmcnt(0)
	s_barrier
	ds_read_b32 v35, v40 offset:20
	ds_read_b32 v36, v42 offset:20
	;; [unrolled: 1-line block ×8, first 2 shown]
	s_waitcnt lgkmcnt(7)
	v_add_u32_e32 v35, v35, v39
	s_waitcnt lgkmcnt(3)
	v_add3_u32 v39, v52, v50, v40
	s_waitcnt lgkmcnt(2)
	v_add3_u32 v40, v55, v53, v42
	v_add3_u32 v36, v43, v41, v36
	s_waitcnt lgkmcnt(0)
	v_add3_u32 v42, v20, v59, v48
	v_lshrrev_b32_e32 v20, 2, v35
	v_and_b32_e32 v20, 0x3ffffff8, v20
	v_lshl_add_u32 v20, v35, 3, v20
	v_lshrrev_b32_e32 v35, 2, v36
	v_add3_u32 v37, v46, v44, v37
	v_and_b32_e32 v35, 0x3ffffff8, v35
	v_lshl_add_u32 v83, v36, 3, v35
	v_lshrrev_b32_e32 v35, 2, v37
	v_add3_u32 v38, v49, v47, v38
	v_and_b32_e32 v35, 0x3ffffff8, v35
	v_lshl_add_u32 v84, v37, 3, v35
	v_lshrrev_b32_e32 v35, 2, v38
	v_and_b32_e32 v35, 0x3ffffff8, v35
	v_lshl_add_u32 v85, v38, 3, v35
	v_lshrrev_b32_e32 v35, 2, v39
	;; [unrolled: 3-line block ×3, first 2 shown]
	v_add3_u32 v41, v58, v56, v45
	v_and_b32_e32 v35, 0x3ffffff8, v35
	v_lshl_add_u32 v87, v40, 3, v35
	v_lshrrev_b32_e32 v35, 2, v41
	v_and_b32_e32 v35, 0x3ffffff8, v35
	v_lshl_add_u32 v88, v41, 3, v35
	v_lshrrev_b32_e32 v35, 2, v42
	v_and_b32_e32 v35, 0x3ffffff8, v35
	v_lshl_add_u32 v89, v42, 3, v35
                                        ; implicit-def: $vgpr51_vgpr52
                                        ; implicit-def: $vgpr53_vgpr54
                                        ; implicit-def: $vgpr55_vgpr56
                                        ; implicit-def: $vgpr57_vgpr58
                                        ; implicit-def: $vgpr59_vgpr60
                                        ; implicit-def: $vgpr61_vgpr62
                                        ; implicit-def: $vgpr35_vgpr36
                                        ; implicit-def: $vgpr37_vgpr38
                                        ; implicit-def: $vgpr39_vgpr40
                                        ; implicit-def: $vgpr41_vgpr42
                                        ; implicit-def: $vgpr43_vgpr44
                                        ; implicit-def: $vgpr45_vgpr46
                                        ; implicit-def: $vgpr47_vgpr48
                                        ; implicit-def: $vgpr49_vgpr50
	s_cbranch_scc1 .LBB183_3
; %bb.27:                               ;   in Loop: Header=BB183_4 Depth=2
	s_barrier
	ds_write_b64 v20, v[33:34]
	ds_write_b64 v83, v[31:32]
	;; [unrolled: 1-line block ×8, first 2 shown]
	s_waitcnt lgkmcnt(0)
	s_barrier
	ds_read_b64 v[35:36], v68
	ds_read_b64 v[37:38], v69 offset:512
	ds_read_b64 v[39:40], v70 offset:1024
	;; [unrolled: 1-line block ×7, first 2 shown]
	s_waitcnt lgkmcnt(0)
	s_barrier
	ds_write_b64 v20, v[15:16]
	ds_write_b64 v83, v[13:14]
	;; [unrolled: 1-line block ×8, first 2 shown]
	s_waitcnt lgkmcnt(0)
	s_barrier
	ds_read_b64 v[51:52], v68
	ds_read_b64 v[53:54], v69 offset:512
	ds_read_b64 v[55:56], v70 offset:1024
	;; [unrolled: 1-line block ×7, first 2 shown]
	s_add_i32 s36, s36, -8
	s_add_i32 s33, s33, 8
	s_add_i32 s37, s37, 8
	s_mov_b64 s[28:29], 0
	s_waitcnt lgkmcnt(0)
	s_barrier
	s_branch .LBB183_3
.LBB183_28:
	s_add_u32 s0, s38, s40
	s_addc_u32 s1, s39, s41
	v_lshlrev_b32_e32 v0, 3, v0
	s_waitcnt lgkmcnt(3)
	v_add_u32_e32 v1, v20, v15
	v_add_u32_e32 v2, v21, v16
	;; [unrolled: 1-line block ×4, first 2 shown]
	v_mov_b32_e32 v17, s1
	v_add_co_u32_e32 v18, vcc, s0, v0
	v_addc_co_u32_e32 v17, vcc, 0, v17, vcc
	global_store_dwordx2 v0, v[1:2], s[0:1]
	global_store_dwordx2 v0, v[15:16], s[0:1] offset:2560
	s_movk_i32 s0, 0x1000
	v_add_co_u32_e32 v0, vcc, s0, v18
	s_waitcnt lgkmcnt(2)
	v_add_u32_e32 v11, v24, v11
	v_add_u32_e32 v12, v25, v12
	v_addc_co_u32_e32 v1, vcc, 0, v17, vcc
	s_movk_i32 s0, 0x2000
	v_add_u32_e32 v13, v26, v13
	v_add_u32_e32 v14, v27, v14
	global_store_dwordx2 v[0:1], v[11:12], off offset:1024
	global_store_dwordx2 v[0:1], v[13:14], off offset:3584
	v_add_co_u32_e32 v0, vcc, s0, v18
	s_waitcnt lgkmcnt(1)
	v_add_u32_e32 v7, v28, v7
	v_add_u32_e32 v8, v29, v8
	v_addc_co_u32_e32 v1, vcc, 0, v17, vcc
	s_movk_i32 s0, 0x3000
	global_store_dwordx2 v[0:1], v[7:8], off offset:2048
	v_add_co_u32_e32 v0, vcc, s0, v18
	v_add_u32_e32 v9, v30, v9
	v_add_u32_e32 v10, v31, v10
	v_addc_co_u32_e32 v1, vcc, 0, v17, vcc
	s_waitcnt lgkmcnt(0)
	v_add_u32_e32 v3, v32, v3
	v_add_u32_e32 v4, v33, v4
	global_store_dwordx2 v[0:1], v[9:10], off offset:512
	global_store_dwordx2 v[0:1], v[3:4], off offset:3072
	v_add_co_u32_e32 v0, vcc, 0x4000, v18
	v_add_u32_e32 v5, v34, v5
	v_add_u32_e32 v6, v35, v6
	v_addc_co_u32_e32 v1, vcc, 0, v17, vcc
	global_store_dwordx2 v[0:1], v[5:6], off offset:1536
	s_endpgm
	.section	.rodata,"a",@progbits
	.p2align	6, 0x0
	.amdhsa_kernel _Z17sort_pairs_kernelI22helper_blocked_blockedN15benchmark_utils11custom_typeIiiEELj320ELj8ELj10EEvPKT0_PS4_
		.amdhsa_group_segment_fixed_size 21120
		.amdhsa_private_segment_fixed_size 0
		.amdhsa_kernarg_size 272
		.amdhsa_user_sgpr_count 6
		.amdhsa_user_sgpr_private_segment_buffer 1
		.amdhsa_user_sgpr_dispatch_ptr 0
		.amdhsa_user_sgpr_queue_ptr 0
		.amdhsa_user_sgpr_kernarg_segment_ptr 1
		.amdhsa_user_sgpr_dispatch_id 0
		.amdhsa_user_sgpr_flat_scratch_init 0
		.amdhsa_user_sgpr_private_segment_size 0
		.amdhsa_uses_dynamic_stack 0
		.amdhsa_system_sgpr_private_segment_wavefront_offset 0
		.amdhsa_system_sgpr_workgroup_id_x 1
		.amdhsa_system_sgpr_workgroup_id_y 0
		.amdhsa_system_sgpr_workgroup_id_z 0
		.amdhsa_system_sgpr_workgroup_info 0
		.amdhsa_system_vgpr_workitem_id 2
		.amdhsa_next_free_vgpr 90
		.amdhsa_next_free_sgpr 98
		.amdhsa_reserve_vcc 1
		.amdhsa_reserve_flat_scratch 0
		.amdhsa_float_round_mode_32 0
		.amdhsa_float_round_mode_16_64 0
		.amdhsa_float_denorm_mode_32 3
		.amdhsa_float_denorm_mode_16_64 3
		.amdhsa_dx10_clamp 1
		.amdhsa_ieee_mode 1
		.amdhsa_fp16_overflow 0
		.amdhsa_exception_fp_ieee_invalid_op 0
		.amdhsa_exception_fp_denorm_src 0
		.amdhsa_exception_fp_ieee_div_zero 0
		.amdhsa_exception_fp_ieee_overflow 0
		.amdhsa_exception_fp_ieee_underflow 0
		.amdhsa_exception_fp_ieee_inexact 0
		.amdhsa_exception_int_div_zero 0
	.end_amdhsa_kernel
	.section	.text._Z17sort_pairs_kernelI22helper_blocked_blockedN15benchmark_utils11custom_typeIiiEELj320ELj8ELj10EEvPKT0_PS4_,"axG",@progbits,_Z17sort_pairs_kernelI22helper_blocked_blockedN15benchmark_utils11custom_typeIiiEELj320ELj8ELj10EEvPKT0_PS4_,comdat
.Lfunc_end183:
	.size	_Z17sort_pairs_kernelI22helper_blocked_blockedN15benchmark_utils11custom_typeIiiEELj320ELj8ELj10EEvPKT0_PS4_, .Lfunc_end183-_Z17sort_pairs_kernelI22helper_blocked_blockedN15benchmark_utils11custom_typeIiiEELj320ELj8ELj10EEvPKT0_PS4_
                                        ; -- End function
	.set _Z17sort_pairs_kernelI22helper_blocked_blockedN15benchmark_utils11custom_typeIiiEELj320ELj8ELj10EEvPKT0_PS4_.num_vgpr, 90
	.set _Z17sort_pairs_kernelI22helper_blocked_blockedN15benchmark_utils11custom_typeIiiEELj320ELj8ELj10EEvPKT0_PS4_.num_agpr, 0
	.set _Z17sort_pairs_kernelI22helper_blocked_blockedN15benchmark_utils11custom_typeIiiEELj320ELj8ELj10EEvPKT0_PS4_.numbered_sgpr, 47
	.set _Z17sort_pairs_kernelI22helper_blocked_blockedN15benchmark_utils11custom_typeIiiEELj320ELj8ELj10EEvPKT0_PS4_.num_named_barrier, 0
	.set _Z17sort_pairs_kernelI22helper_blocked_blockedN15benchmark_utils11custom_typeIiiEELj320ELj8ELj10EEvPKT0_PS4_.private_seg_size, 0
	.set _Z17sort_pairs_kernelI22helper_blocked_blockedN15benchmark_utils11custom_typeIiiEELj320ELj8ELj10EEvPKT0_PS4_.uses_vcc, 1
	.set _Z17sort_pairs_kernelI22helper_blocked_blockedN15benchmark_utils11custom_typeIiiEELj320ELj8ELj10EEvPKT0_PS4_.uses_flat_scratch, 0
	.set _Z17sort_pairs_kernelI22helper_blocked_blockedN15benchmark_utils11custom_typeIiiEELj320ELj8ELj10EEvPKT0_PS4_.has_dyn_sized_stack, 0
	.set _Z17sort_pairs_kernelI22helper_blocked_blockedN15benchmark_utils11custom_typeIiiEELj320ELj8ELj10EEvPKT0_PS4_.has_recursion, 0
	.set _Z17sort_pairs_kernelI22helper_blocked_blockedN15benchmark_utils11custom_typeIiiEELj320ELj8ELj10EEvPKT0_PS4_.has_indirect_call, 0
	.section	.AMDGPU.csdata,"",@progbits
; Kernel info:
; codeLenInByte = 6372
; TotalNumSgprs: 51
; NumVgprs: 90
; ScratchSize: 0
; MemoryBound: 0
; FloatMode: 240
; IeeeMode: 1
; LDSByteSize: 21120 bytes/workgroup (compile time only)
; SGPRBlocks: 12
; VGPRBlocks: 22
; NumSGPRsForWavesPerEU: 102
; NumVGPRsForWavesPerEU: 90
; Occupancy: 2
; WaveLimiterHint : 1
; COMPUTE_PGM_RSRC2:SCRATCH_EN: 0
; COMPUTE_PGM_RSRC2:USER_SGPR: 6
; COMPUTE_PGM_RSRC2:TRAP_HANDLER: 0
; COMPUTE_PGM_RSRC2:TGID_X_EN: 1
; COMPUTE_PGM_RSRC2:TGID_Y_EN: 0
; COMPUTE_PGM_RSRC2:TGID_Z_EN: 0
; COMPUTE_PGM_RSRC2:TIDIG_COMP_CNT: 2
	.section	.text._Z16sort_keys_kernelI22helper_blocked_blockedN15benchmark_utils11custom_typeIiiEELj512ELj1ELj10EEvPKT0_PS4_,"axG",@progbits,_Z16sort_keys_kernelI22helper_blocked_blockedN15benchmark_utils11custom_typeIiiEELj512ELj1ELj10EEvPKT0_PS4_,comdat
	.protected	_Z16sort_keys_kernelI22helper_blocked_blockedN15benchmark_utils11custom_typeIiiEELj512ELj1ELj10EEvPKT0_PS4_ ; -- Begin function _Z16sort_keys_kernelI22helper_blocked_blockedN15benchmark_utils11custom_typeIiiEELj512ELj1ELj10EEvPKT0_PS4_
	.globl	_Z16sort_keys_kernelI22helper_blocked_blockedN15benchmark_utils11custom_typeIiiEELj512ELj1ELj10EEvPKT0_PS4_
	.p2align	8
	.type	_Z16sort_keys_kernelI22helper_blocked_blockedN15benchmark_utils11custom_typeIiiEELj512ELj1ELj10EEvPKT0_PS4_,@function
_Z16sort_keys_kernelI22helper_blocked_blockedN15benchmark_utils11custom_typeIiiEELj512ELj1ELj10EEvPKT0_PS4_: ; @_Z16sort_keys_kernelI22helper_blocked_blockedN15benchmark_utils11custom_typeIiiEELj512ELj1ELj10EEvPKT0_PS4_
; %bb.0:
	s_load_dwordx4 s[28:31], s[4:5], 0x0
	s_load_dword s41, s[4:5], 0x1c
	s_lshl_b32 s36, s6, 9
	s_mov_b32 s37, 0
	s_lshl_b64 s[34:35], s[36:37], 3
	s_waitcnt lgkmcnt(0)
	s_add_u32 s0, s28, s34
	s_addc_u32 s1, s29, s35
	v_lshlrev_b32_e32 v3, 3, v0
	global_load_dwordx2 v[3:4], v3, s[0:1]
	v_mbcnt_lo_u32_b32 v6, -1, 0
	v_mbcnt_hi_u32_b32 v6, -1, v6
	v_subrev_co_u32_e64 v25, s[4:5], 1, v6
	v_and_b32_e32 v26, 64, v6
	v_and_b32_e32 v10, 15, v6
	v_cmp_lt_i32_e64 s[26:27], v25, v26
	v_cmp_eq_u32_e64 s[8:9], 0, v10
	v_cmp_lt_u32_e64 s[10:11], 1, v10
	v_cmp_lt_u32_e64 s[12:13], 3, v10
	;; [unrolled: 1-line block ×3, first 2 shown]
	v_cndmask_b32_e64 v10, v25, v6, s[26:27]
	s_lshr_b32 s26, s41, 16
	s_and_b32 s27, s41, 0xffff
	v_mad_u32_u24 v1, v2, s26, v1
	v_mad_u64_u32 v[1:2], s[26:27], v1, s27, v[0:1]
	v_lshlrev_b32_e32 v22, 4, v0
	v_and_b32_e32 v7, 0x1c0, v0
	v_lshrrev_b32_e32 v8, 4, v0
	v_lshlrev_b32_e32 v9, 2, v0
	s_mov_b32 s38, s37
	v_or_b32_e32 v12, 63, v7
	v_lshlrev_b32_e32 v7, 3, v7
	v_mad_i32_i24 v24, v0, -12, v22
	s_mov_b32 s36, s37
	s_mov_b32 s39, s37
	v_and_b32_e32 v11, 16, v6
	v_and_b32_e32 v27, 7, v6
	;; [unrolled: 1-line block ×3, first 2 shown]
	v_lshl_add_u32 v25, v6, 3, v7
	v_add_u32_e32 v26, v24, v9
	v_mov_b32_e32 v7, s36
	v_lshlrev_b32_e32 v28, 2, v10
	v_lshrrev_b32_e32 v1, 4, v1
	v_mov_b32_e32 v9, s38
	s_mov_b32 s33, 10
	s_movk_i32 s40, 0xff
	v_mov_b32_e32 v13, 5
	v_mov_b32_e32 v14, 1
	v_mov_b32_e32 v15, 30
	v_mov_b32_e32 v16, 29
	v_mov_b32_e32 v17, 28
	v_mov_b32_e32 v18, 27
	v_mov_b32_e32 v19, 26
	v_mov_b32_e32 v20, 25
	v_mov_b32_e32 v21, 24
	v_mov_b32_e32 v5, 0
	v_cmp_gt_u32_e32 vcc, 8, v0
	v_cmp_lt_u32_e64 s[0:1], 63, v0
	v_cmp_eq_u32_e64 s[2:3], 0, v0
	v_cmp_lt_u32_e64 s[6:7], 31, v6
	v_cmp_eq_u32_e64 s[16:17], 0, v11
	v_cmp_eq_u32_e64 s[18:19], v0, v12
	;; [unrolled: 1-line block ×3, first 2 shown]
	v_cmp_lt_u32_e64 s[22:23], 1, v27
	v_cmp_lt_u32_e64 s[24:25], 3, v27
	v_add_u32_e32 v27, -4, v23
	v_mov_b32_e32 v8, s37
	v_and_b32_e32 v29, 0xffffffc, v1
	v_mov_b32_e32 v10, s39
	s_waitcnt vmcnt(0)
	v_xor_b32_e32 v11, 0x80000000, v3
	v_xor_b32_e32 v12, 0x80000000, v4
	s_branch .LBB184_2
.LBB184_1:                              ;   in Loop: Header=BB184_2 Depth=1
	s_or_b64 exec, exec, s[26:27]
	s_waitcnt lgkmcnt(0)
	v_add_u32_e32 v4, v31, v4
	ds_bpermute_b32 v4, v28, v4
	s_add_i32 s33, s33, -1
	s_cmp_eq_u32 s33, 0
	s_waitcnt lgkmcnt(0)
	v_cndmask_b32_e64 v4, v4, v31, s[4:5]
	v_cndmask_b32_e64 v31, v4, 0, s[2:3]
	v_add_u32_e32 v32, v31, v1
	v_add_u32_e32 v1, v32, v2
	;; [unrolled: 1-line block ×3, first 2 shown]
	ds_write2_b64 v22, v[31:32], v[1:2] offset0:4 offset1:5
	s_waitcnt lgkmcnt(0)
	s_barrier
	ds_read_b32 v1, v30 offset:32
	v_lshlrev_b32_e32 v2, 3, v6
	s_waitcnt lgkmcnt(0)
	s_barrier
	v_lshl_add_u32 v1, v1, 3, v2
	ds_write_b64 v1, v[11:12]
	s_waitcnt lgkmcnt(0)
	s_barrier
	ds_read_b64 v[11:12], v26
	s_cbranch_scc1 .LBB184_66
.LBB184_2:                              ; =>This Inner Loop Header: Depth=1
	s_waitcnt lgkmcnt(0)
	v_and_b32_e32 v1, 1, v12
	v_add_co_u32_e64 v2, s[26:27], -1, v1
	v_addc_co_u32_e64 v4, s[26:27], 0, -1, s[26:27]
	v_cmp_ne_u32_e64 s[26:27], 0, v1
	v_lshlrev_b32_e32 v6, 30, v12
	v_xor_b32_e32 v1, s27, v4
	v_xor_b32_e32 v2, s26, v2
	v_cmp_gt_i64_e64 s[26:27], 0, v[5:6]
	v_not_b32_e32 v4, v6
	v_ashrrev_i32_e32 v4, 31, v4
	v_and_b32_e32 v1, exec_hi, v1
	v_xor_b32_e32 v6, s27, v4
	v_and_b32_e32 v2, exec_lo, v2
	v_xor_b32_e32 v4, s26, v4
	v_and_b32_e32 v1, v1, v6
	v_lshlrev_b32_e32 v6, 29, v12
	v_and_b32_e32 v2, v2, v4
	v_cmp_gt_i64_e64 s[26:27], 0, v[5:6]
	v_not_b32_e32 v4, v6
	v_ashrrev_i32_e32 v4, 31, v4
	v_xor_b32_e32 v6, s27, v4
	v_xor_b32_e32 v4, s26, v4
	v_and_b32_e32 v1, v1, v6
	v_lshlrev_b32_e32 v6, 28, v12
	v_and_b32_e32 v2, v2, v4
	v_cmp_gt_i64_e64 s[26:27], 0, v[5:6]
	v_not_b32_e32 v4, v6
	v_ashrrev_i32_e32 v4, 31, v4
	v_xor_b32_e32 v6, s27, v4
	;; [unrolled: 8-line block ×6, first 2 shown]
	v_xor_b32_e32 v30, s26, v2
	v_and_b32_e32 v2, v1, v6
	v_and_b32_e32 v1, v4, v30
	v_mbcnt_lo_u32_b32 v4, v1, 0
	v_mbcnt_hi_u32_b32 v6, v2, v4
	v_cmp_ne_u64_e64 s[26:27], 0, v[1:2]
	v_lshlrev_b32_sdwa v3, v13, v12 dst_sel:DWORD dst_unused:UNUSED_PAD src0_sel:DWORD src1_sel:BYTE_0
	v_cmp_eq_u32_e64 s[28:29], 0, v6
	s_and_b64 s[28:29], s[28:29], s[26:27]
	v_add_u32_e32 v30, v29, v3
	ds_write2_b64 v22, v[7:8], v[9:10] offset0:4 offset1:5
	s_waitcnt lgkmcnt(0)
	s_barrier
	; wave barrier
	s_and_saveexec_b64 s[26:27], s[28:29]
; %bb.3:                                ;   in Loop: Header=BB184_2 Depth=1
	v_bcnt_u32_b32 v1, v1, 0
	v_bcnt_u32_b32 v1, v2, v1
	ds_write_b32 v30, v1 offset:32
; %bb.4:                                ;   in Loop: Header=BB184_2 Depth=1
	s_or_b64 exec, exec, s[26:27]
	; wave barrier
	s_waitcnt lgkmcnt(0)
	s_barrier
	ds_read2_b64 v[1:4], v22 offset0:4 offset1:5
	s_waitcnt lgkmcnt(0)
	v_add_u32_e32 v31, v2, v1
	v_add3_u32 v4, v31, v3, v4
	s_nop 1
	v_mov_b32_dpp v31, v4 row_shr:1 row_mask:0xf bank_mask:0xf
	v_cndmask_b32_e64 v31, v31, 0, s[8:9]
	v_add_u32_e32 v4, v31, v4
	s_nop 1
	v_mov_b32_dpp v31, v4 row_shr:2 row_mask:0xf bank_mask:0xf
	v_cndmask_b32_e64 v31, 0, v31, s[10:11]
	v_add_u32_e32 v4, v4, v31
	;; [unrolled: 4-line block ×4, first 2 shown]
	s_nop 1
	v_mov_b32_dpp v31, v4 row_bcast:15 row_mask:0xf bank_mask:0xf
	v_cndmask_b32_e64 v31, v31, 0, s[16:17]
	v_add_u32_e32 v4, v4, v31
	s_nop 1
	v_mov_b32_dpp v31, v4 row_bcast:31 row_mask:0xf bank_mask:0xf
	v_cndmask_b32_e64 v31, 0, v31, s[6:7]
	v_add_u32_e32 v4, v4, v31
	s_and_saveexec_b64 s[26:27], s[18:19]
; %bb.5:                                ;   in Loop: Header=BB184_2 Depth=1
	ds_write_b32 v23, v4
; %bb.6:                                ;   in Loop: Header=BB184_2 Depth=1
	s_or_b64 exec, exec, s[26:27]
	s_waitcnt lgkmcnt(0)
	s_barrier
	s_and_saveexec_b64 s[26:27], vcc
	s_cbranch_execz .LBB184_8
; %bb.7:                                ;   in Loop: Header=BB184_2 Depth=1
	ds_read_b32 v31, v24
	s_waitcnt lgkmcnt(0)
	s_nop 0
	v_mov_b32_dpp v32, v31 row_shr:1 row_mask:0xf bank_mask:0xf
	v_cndmask_b32_e64 v32, v32, 0, s[20:21]
	v_add_u32_e32 v31, v32, v31
	s_nop 1
	v_mov_b32_dpp v32, v31 row_shr:2 row_mask:0xf bank_mask:0xf
	v_cndmask_b32_e64 v32, 0, v32, s[22:23]
	v_add_u32_e32 v31, v31, v32
	;; [unrolled: 4-line block ×3, first 2 shown]
	ds_write_b32 v24, v31
.LBB184_8:                              ;   in Loop: Header=BB184_2 Depth=1
	s_or_b64 exec, exec, s[26:27]
	v_mov_b32_e32 v31, 0
	s_waitcnt lgkmcnt(0)
	s_barrier
	s_and_saveexec_b64 s[26:27], s[0:1]
; %bb.9:                                ;   in Loop: Header=BB184_2 Depth=1
	ds_read_b32 v31, v27
; %bb.10:                               ;   in Loop: Header=BB184_2 Depth=1
	s_or_b64 exec, exec, s[26:27]
	s_waitcnt lgkmcnt(0)
	v_add_u32_e32 v4, v31, v4
	ds_bpermute_b32 v4, v28, v4
	s_waitcnt lgkmcnt(0)
	v_cndmask_b32_e64 v4, v4, v31, s[4:5]
	v_cndmask_b32_e64 v31, v4, 0, s[2:3]
	v_add_u32_e32 v32, v31, v1
	v_add_u32_e32 v1, v32, v2
	;; [unrolled: 1-line block ×3, first 2 shown]
	ds_write2_b64 v22, v[31:32], v[1:2] offset0:4 offset1:5
	s_waitcnt lgkmcnt(0)
	s_barrier
	ds_read_b32 v1, v30 offset:32
	v_lshlrev_b32_e32 v2, 3, v6
	s_waitcnt lgkmcnt(0)
	s_barrier
	v_lshl_add_u32 v1, v1, 3, v2
	ds_write_b64 v1, v[11:12]
	s_waitcnt lgkmcnt(0)
	s_barrier
	ds_read_b64 v[11:12], v25
	s_waitcnt lgkmcnt(0)
	s_barrier
	ds_write2_b64 v22, v[7:8], v[9:10] offset0:4 offset1:5
	v_lshrrev_b32_e32 v1, 8, v12
	v_and_b32_e32 v2, 1, v1
	v_add_co_u32_e64 v4, s[26:27], -1, v2
	v_addc_co_u32_e64 v6, s[26:27], 0, -1, s[26:27]
	v_cmp_ne_u32_e64 s[26:27], 0, v2
	v_xor_b32_e32 v2, s27, v6
	v_lshlrev_b32_e32 v6, 30, v1
	v_xor_b32_e32 v4, s26, v4
	v_cmp_gt_i64_e64 s[26:27], 0, v[5:6]
	v_not_b32_e32 v6, v6
	v_ashrrev_i32_e32 v6, 31, v6
	v_and_b32_e32 v4, exec_lo, v4
	v_xor_b32_e32 v30, s27, v6
	v_xor_b32_e32 v6, s26, v6
	v_and_b32_e32 v4, v4, v6
	v_lshlrev_b32_e32 v6, 29, v1
	v_cmp_gt_i64_e64 s[26:27], 0, v[5:6]
	v_not_b32_e32 v6, v6
	v_and_b32_e32 v2, exec_hi, v2
	v_ashrrev_i32_e32 v6, 31, v6
	v_and_b32_e32 v2, v2, v30
	v_xor_b32_e32 v30, s27, v6
	v_xor_b32_e32 v6, s26, v6
	v_and_b32_e32 v4, v4, v6
	v_lshlrev_b32_e32 v6, 28, v1
	v_cmp_gt_i64_e64 s[26:27], 0, v[5:6]
	v_not_b32_e32 v6, v6
	v_ashrrev_i32_e32 v6, 31, v6
	v_and_b32_e32 v2, v2, v30
	v_xor_b32_e32 v30, s27, v6
	v_xor_b32_e32 v6, s26, v6
	v_and_b32_e32 v4, v4, v6
	v_lshlrev_b32_e32 v6, 27, v1
	v_cmp_gt_i64_e64 s[26:27], 0, v[5:6]
	v_not_b32_e32 v6, v6
	;; [unrolled: 8-line block ×4, first 2 shown]
	v_ashrrev_i32_e32 v6, 31, v6
	v_and_b32_e32 v2, v2, v30
	v_xor_b32_e32 v30, s27, v6
	v_xor_b32_e32 v6, s26, v6
	v_and_b32_e32 v4, v4, v6
	v_lshlrev_b32_e32 v6, 24, v1
	v_lshlrev_b32_sdwa v3, v13, v1 dst_sel:DWORD dst_unused:UNUSED_PAD src0_sel:DWORD src1_sel:BYTE_0
	v_cmp_gt_i64_e64 s[26:27], 0, v[5:6]
	v_not_b32_e32 v1, v6
	v_ashrrev_i32_e32 v1, 31, v1
	v_xor_b32_e32 v6, s27, v1
	v_xor_b32_e32 v1, s26, v1
	v_and_b32_e32 v2, v2, v30
	v_and_b32_e32 v1, v4, v1
	;; [unrolled: 1-line block ×3, first 2 shown]
	v_mbcnt_lo_u32_b32 v4, v1, 0
	v_mbcnt_hi_u32_b32 v6, v2, v4
	v_cmp_ne_u64_e64 s[26:27], 0, v[1:2]
	v_cmp_eq_u32_e64 s[28:29], 0, v6
	s_and_b64 s[28:29], s[28:29], s[26:27]
	v_add_u32_e32 v30, v29, v3
	s_waitcnt lgkmcnt(0)
	s_barrier
	; wave barrier
	s_and_saveexec_b64 s[26:27], s[28:29]
; %bb.11:                               ;   in Loop: Header=BB184_2 Depth=1
	v_bcnt_u32_b32 v1, v1, 0
	v_bcnt_u32_b32 v1, v2, v1
	ds_write_b32 v30, v1 offset:32
; %bb.12:                               ;   in Loop: Header=BB184_2 Depth=1
	s_or_b64 exec, exec, s[26:27]
	; wave barrier
	s_waitcnt lgkmcnt(0)
	s_barrier
	ds_read2_b64 v[1:4], v22 offset0:4 offset1:5
	s_waitcnt lgkmcnt(0)
	v_add_u32_e32 v31, v2, v1
	v_add3_u32 v4, v31, v3, v4
	s_nop 1
	v_mov_b32_dpp v31, v4 row_shr:1 row_mask:0xf bank_mask:0xf
	v_cndmask_b32_e64 v31, v31, 0, s[8:9]
	v_add_u32_e32 v4, v31, v4
	s_nop 1
	v_mov_b32_dpp v31, v4 row_shr:2 row_mask:0xf bank_mask:0xf
	v_cndmask_b32_e64 v31, 0, v31, s[10:11]
	v_add_u32_e32 v4, v4, v31
	;; [unrolled: 4-line block ×4, first 2 shown]
	s_nop 1
	v_mov_b32_dpp v31, v4 row_bcast:15 row_mask:0xf bank_mask:0xf
	v_cndmask_b32_e64 v31, v31, 0, s[16:17]
	v_add_u32_e32 v4, v4, v31
	s_nop 1
	v_mov_b32_dpp v31, v4 row_bcast:31 row_mask:0xf bank_mask:0xf
	v_cndmask_b32_e64 v31, 0, v31, s[6:7]
	v_add_u32_e32 v4, v4, v31
	s_and_saveexec_b64 s[26:27], s[18:19]
; %bb.13:                               ;   in Loop: Header=BB184_2 Depth=1
	ds_write_b32 v23, v4
; %bb.14:                               ;   in Loop: Header=BB184_2 Depth=1
	s_or_b64 exec, exec, s[26:27]
	s_waitcnt lgkmcnt(0)
	s_barrier
	s_and_saveexec_b64 s[26:27], vcc
	s_cbranch_execz .LBB184_16
; %bb.15:                               ;   in Loop: Header=BB184_2 Depth=1
	ds_read_b32 v31, v24
	s_waitcnt lgkmcnt(0)
	s_nop 0
	v_mov_b32_dpp v32, v31 row_shr:1 row_mask:0xf bank_mask:0xf
	v_cndmask_b32_e64 v32, v32, 0, s[20:21]
	v_add_u32_e32 v31, v32, v31
	s_nop 1
	v_mov_b32_dpp v32, v31 row_shr:2 row_mask:0xf bank_mask:0xf
	v_cndmask_b32_e64 v32, 0, v32, s[22:23]
	v_add_u32_e32 v31, v31, v32
	;; [unrolled: 4-line block ×3, first 2 shown]
	ds_write_b32 v24, v31
.LBB184_16:                             ;   in Loop: Header=BB184_2 Depth=1
	s_or_b64 exec, exec, s[26:27]
	v_mov_b32_e32 v31, 0
	s_waitcnt lgkmcnt(0)
	s_barrier
	s_and_saveexec_b64 s[26:27], s[0:1]
; %bb.17:                               ;   in Loop: Header=BB184_2 Depth=1
	ds_read_b32 v31, v27
; %bb.18:                               ;   in Loop: Header=BB184_2 Depth=1
	s_or_b64 exec, exec, s[26:27]
	s_waitcnt lgkmcnt(0)
	v_add_u32_e32 v4, v31, v4
	ds_bpermute_b32 v4, v28, v4
	s_waitcnt lgkmcnt(0)
	v_cndmask_b32_e64 v4, v4, v31, s[4:5]
	v_cndmask_b32_e64 v31, v4, 0, s[2:3]
	v_add_u32_e32 v32, v31, v1
	v_add_u32_e32 v1, v32, v2
	;; [unrolled: 1-line block ×3, first 2 shown]
	ds_write2_b64 v22, v[31:32], v[1:2] offset0:4 offset1:5
	s_waitcnt lgkmcnt(0)
	s_barrier
	ds_read_b32 v1, v30 offset:32
	v_lshlrev_b32_e32 v2, 3, v6
	s_waitcnt lgkmcnt(0)
	s_barrier
	v_lshl_add_u32 v1, v1, 3, v2
	ds_write_b64 v1, v[11:12]
	s_waitcnt lgkmcnt(0)
	s_barrier
	ds_read_b64 v[11:12], v25
	s_waitcnt lgkmcnt(0)
	s_barrier
	ds_write2_b64 v22, v[7:8], v[9:10] offset0:4 offset1:5
	v_and_b32_sdwa v1, v12, s40 dst_sel:DWORD dst_unused:UNUSED_PAD src0_sel:WORD_1 src1_sel:DWORD
	v_lshlrev_b32_e32 v3, 5, v1
	v_and_b32_sdwa v1, v12, v14 dst_sel:DWORD dst_unused:UNUSED_PAD src0_sel:WORD_1 src1_sel:DWORD
	v_add_co_u32_e64 v2, s[26:27], -1, v1
	v_addc_co_u32_e64 v4, s[26:27], 0, -1, s[26:27]
	v_cmp_ne_u32_e64 s[26:27], 0, v1
	v_lshlrev_b32_sdwa v6, v15, v12 dst_sel:DWORD dst_unused:UNUSED_PAD src0_sel:DWORD src1_sel:WORD_1
	v_xor_b32_e32 v1, s27, v4
	v_xor_b32_e32 v2, s26, v2
	v_cmp_gt_i64_e64 s[26:27], 0, v[5:6]
	v_not_b32_e32 v4, v6
	v_ashrrev_i32_e32 v4, 31, v4
	v_and_b32_e32 v1, exec_hi, v1
	v_xor_b32_e32 v6, s27, v4
	v_and_b32_e32 v2, exec_lo, v2
	v_xor_b32_e32 v4, s26, v4
	v_and_b32_e32 v1, v1, v6
	v_lshlrev_b32_sdwa v6, v16, v12 dst_sel:DWORD dst_unused:UNUSED_PAD src0_sel:DWORD src1_sel:WORD_1
	v_and_b32_e32 v2, v2, v4
	v_cmp_gt_i64_e64 s[26:27], 0, v[5:6]
	v_not_b32_e32 v4, v6
	v_ashrrev_i32_e32 v4, 31, v4
	v_xor_b32_e32 v6, s27, v4
	v_xor_b32_e32 v4, s26, v4
	v_and_b32_e32 v1, v1, v6
	v_lshlrev_b32_sdwa v6, v17, v12 dst_sel:DWORD dst_unused:UNUSED_PAD src0_sel:DWORD src1_sel:WORD_1
	v_and_b32_e32 v2, v2, v4
	v_cmp_gt_i64_e64 s[26:27], 0, v[5:6]
	v_not_b32_e32 v4, v6
	v_ashrrev_i32_e32 v4, 31, v4
	v_xor_b32_e32 v6, s27, v4
	;; [unrolled: 8-line block ×6, first 2 shown]
	v_xor_b32_e32 v30, s26, v2
	v_and_b32_e32 v2, v1, v6
	v_and_b32_e32 v1, v4, v30
	v_mbcnt_lo_u32_b32 v4, v1, 0
	v_mbcnt_hi_u32_b32 v6, v2, v4
	v_cmp_ne_u64_e64 s[26:27], 0, v[1:2]
	v_cmp_eq_u32_e64 s[28:29], 0, v6
	s_and_b64 s[28:29], s[28:29], s[26:27]
	v_add_u32_e32 v30, v29, v3
	s_waitcnt lgkmcnt(0)
	s_barrier
	; wave barrier
	s_and_saveexec_b64 s[26:27], s[28:29]
; %bb.19:                               ;   in Loop: Header=BB184_2 Depth=1
	v_bcnt_u32_b32 v1, v1, 0
	v_bcnt_u32_b32 v1, v2, v1
	ds_write_b32 v30, v1 offset:32
; %bb.20:                               ;   in Loop: Header=BB184_2 Depth=1
	s_or_b64 exec, exec, s[26:27]
	; wave barrier
	s_waitcnt lgkmcnt(0)
	s_barrier
	ds_read2_b64 v[1:4], v22 offset0:4 offset1:5
	s_waitcnt lgkmcnt(0)
	v_add_u32_e32 v31, v2, v1
	v_add3_u32 v4, v31, v3, v4
	s_nop 1
	v_mov_b32_dpp v31, v4 row_shr:1 row_mask:0xf bank_mask:0xf
	v_cndmask_b32_e64 v31, v31, 0, s[8:9]
	v_add_u32_e32 v4, v31, v4
	s_nop 1
	v_mov_b32_dpp v31, v4 row_shr:2 row_mask:0xf bank_mask:0xf
	v_cndmask_b32_e64 v31, 0, v31, s[10:11]
	v_add_u32_e32 v4, v4, v31
	;; [unrolled: 4-line block ×4, first 2 shown]
	s_nop 1
	v_mov_b32_dpp v31, v4 row_bcast:15 row_mask:0xf bank_mask:0xf
	v_cndmask_b32_e64 v31, v31, 0, s[16:17]
	v_add_u32_e32 v4, v4, v31
	s_nop 1
	v_mov_b32_dpp v31, v4 row_bcast:31 row_mask:0xf bank_mask:0xf
	v_cndmask_b32_e64 v31, 0, v31, s[6:7]
	v_add_u32_e32 v4, v4, v31
	s_and_saveexec_b64 s[26:27], s[18:19]
; %bb.21:                               ;   in Loop: Header=BB184_2 Depth=1
	ds_write_b32 v23, v4
; %bb.22:                               ;   in Loop: Header=BB184_2 Depth=1
	s_or_b64 exec, exec, s[26:27]
	s_waitcnt lgkmcnt(0)
	s_barrier
	s_and_saveexec_b64 s[26:27], vcc
	s_cbranch_execz .LBB184_24
; %bb.23:                               ;   in Loop: Header=BB184_2 Depth=1
	ds_read_b32 v31, v24
	s_waitcnt lgkmcnt(0)
	s_nop 0
	v_mov_b32_dpp v32, v31 row_shr:1 row_mask:0xf bank_mask:0xf
	v_cndmask_b32_e64 v32, v32, 0, s[20:21]
	v_add_u32_e32 v31, v32, v31
	s_nop 1
	v_mov_b32_dpp v32, v31 row_shr:2 row_mask:0xf bank_mask:0xf
	v_cndmask_b32_e64 v32, 0, v32, s[22:23]
	v_add_u32_e32 v31, v31, v32
	;; [unrolled: 4-line block ×3, first 2 shown]
	ds_write_b32 v24, v31
.LBB184_24:                             ;   in Loop: Header=BB184_2 Depth=1
	s_or_b64 exec, exec, s[26:27]
	v_mov_b32_e32 v31, 0
	s_waitcnt lgkmcnt(0)
	s_barrier
	s_and_saveexec_b64 s[26:27], s[0:1]
; %bb.25:                               ;   in Loop: Header=BB184_2 Depth=1
	ds_read_b32 v31, v27
; %bb.26:                               ;   in Loop: Header=BB184_2 Depth=1
	s_or_b64 exec, exec, s[26:27]
	s_waitcnt lgkmcnt(0)
	v_add_u32_e32 v4, v31, v4
	ds_bpermute_b32 v4, v28, v4
	s_waitcnt lgkmcnt(0)
	v_cndmask_b32_e64 v4, v4, v31, s[4:5]
	v_cndmask_b32_e64 v31, v4, 0, s[2:3]
	v_add_u32_e32 v32, v31, v1
	v_add_u32_e32 v1, v32, v2
	;; [unrolled: 1-line block ×3, first 2 shown]
	ds_write2_b64 v22, v[31:32], v[1:2] offset0:4 offset1:5
	s_waitcnt lgkmcnt(0)
	s_barrier
	ds_read_b32 v1, v30 offset:32
	v_lshlrev_b32_e32 v2, 3, v6
	s_waitcnt lgkmcnt(0)
	s_barrier
	v_lshl_add_u32 v1, v1, 3, v2
	ds_write_b64 v1, v[11:12]
	s_waitcnt lgkmcnt(0)
	s_barrier
	ds_read_b64 v[11:12], v25
	v_mov_b32_e32 v1, s36
	v_mov_b32_e32 v3, s38
	;; [unrolled: 1-line block ×4, first 2 shown]
	s_waitcnt lgkmcnt(0)
	s_barrier
	ds_write2_b64 v22, v[1:2], v[3:4] offset0:4 offset1:5
	v_and_b32_sdwa v1, v12, v14 dst_sel:DWORD dst_unused:UNUSED_PAD src0_sel:BYTE_3 src1_sel:DWORD
	v_add_co_u32_e64 v2, s[26:27], -1, v1
	v_addc_co_u32_e64 v4, s[26:27], 0, -1, s[26:27]
	v_cmp_ne_u32_e64 s[26:27], 0, v1
	v_lshlrev_b32_sdwa v6, v15, v12 dst_sel:DWORD dst_unused:UNUSED_PAD src0_sel:DWORD src1_sel:BYTE_3
	v_xor_b32_e32 v1, s27, v4
	v_xor_b32_e32 v2, s26, v2
	v_cmp_gt_i64_e64 s[26:27], 0, v[5:6]
	v_not_b32_e32 v4, v6
	v_ashrrev_i32_e32 v4, 31, v4
	v_and_b32_e32 v1, exec_hi, v1
	v_xor_b32_e32 v6, s27, v4
	v_and_b32_e32 v2, exec_lo, v2
	v_xor_b32_e32 v4, s26, v4
	v_and_b32_e32 v1, v1, v6
	v_lshlrev_b32_sdwa v6, v16, v12 dst_sel:DWORD dst_unused:UNUSED_PAD src0_sel:DWORD src1_sel:BYTE_3
	v_and_b32_e32 v2, v2, v4
	v_cmp_gt_i64_e64 s[26:27], 0, v[5:6]
	v_not_b32_e32 v4, v6
	v_ashrrev_i32_e32 v4, 31, v4
	v_xor_b32_e32 v6, s27, v4
	v_xor_b32_e32 v4, s26, v4
	v_and_b32_e32 v1, v1, v6
	v_lshlrev_b32_sdwa v6, v17, v12 dst_sel:DWORD dst_unused:UNUSED_PAD src0_sel:DWORD src1_sel:BYTE_3
	v_and_b32_e32 v2, v2, v4
	v_cmp_gt_i64_e64 s[26:27], 0, v[5:6]
	v_not_b32_e32 v4, v6
	v_ashrrev_i32_e32 v4, 31, v4
	v_xor_b32_e32 v6, s27, v4
	;; [unrolled: 8-line block ×6, first 2 shown]
	v_xor_b32_e32 v30, s26, v2
	v_and_b32_e32 v2, v1, v6
	v_and_b32_e32 v1, v4, v30
	v_mbcnt_lo_u32_b32 v4, v1, 0
	v_mbcnt_hi_u32_b32 v6, v2, v4
	v_cmp_ne_u64_e64 s[26:27], 0, v[1:2]
	v_lshlrev_b32_sdwa v3, v13, v12 dst_sel:DWORD dst_unused:UNUSED_PAD src0_sel:DWORD src1_sel:BYTE_3
	v_cmp_eq_u32_e64 s[28:29], 0, v6
	s_and_b64 s[28:29], s[28:29], s[26:27]
	v_add_u32_e32 v30, v29, v3
	s_waitcnt lgkmcnt(0)
	s_barrier
	; wave barrier
	s_and_saveexec_b64 s[26:27], s[28:29]
; %bb.27:                               ;   in Loop: Header=BB184_2 Depth=1
	v_bcnt_u32_b32 v1, v1, 0
	v_bcnt_u32_b32 v1, v2, v1
	ds_write_b32 v30, v1 offset:32
; %bb.28:                               ;   in Loop: Header=BB184_2 Depth=1
	s_or_b64 exec, exec, s[26:27]
	; wave barrier
	s_waitcnt lgkmcnt(0)
	s_barrier
	ds_read2_b64 v[1:4], v22 offset0:4 offset1:5
	s_waitcnt lgkmcnt(0)
	v_add_u32_e32 v31, v2, v1
	v_add3_u32 v4, v31, v3, v4
	s_nop 1
	v_mov_b32_dpp v31, v4 row_shr:1 row_mask:0xf bank_mask:0xf
	v_cndmask_b32_e64 v31, v31, 0, s[8:9]
	v_add_u32_e32 v4, v31, v4
	s_nop 1
	v_mov_b32_dpp v31, v4 row_shr:2 row_mask:0xf bank_mask:0xf
	v_cndmask_b32_e64 v31, 0, v31, s[10:11]
	v_add_u32_e32 v4, v4, v31
	;; [unrolled: 4-line block ×4, first 2 shown]
	s_nop 1
	v_mov_b32_dpp v31, v4 row_bcast:15 row_mask:0xf bank_mask:0xf
	v_cndmask_b32_e64 v31, v31, 0, s[16:17]
	v_add_u32_e32 v4, v4, v31
	s_nop 1
	v_mov_b32_dpp v31, v4 row_bcast:31 row_mask:0xf bank_mask:0xf
	v_cndmask_b32_e64 v31, 0, v31, s[6:7]
	v_add_u32_e32 v4, v4, v31
	s_and_saveexec_b64 s[26:27], s[18:19]
; %bb.29:                               ;   in Loop: Header=BB184_2 Depth=1
	ds_write_b32 v23, v4
; %bb.30:                               ;   in Loop: Header=BB184_2 Depth=1
	s_or_b64 exec, exec, s[26:27]
	s_waitcnt lgkmcnt(0)
	s_barrier
	s_and_saveexec_b64 s[26:27], vcc
	s_cbranch_execz .LBB184_32
; %bb.31:                               ;   in Loop: Header=BB184_2 Depth=1
	ds_read_b32 v31, v24
	s_waitcnt lgkmcnt(0)
	s_nop 0
	v_mov_b32_dpp v32, v31 row_shr:1 row_mask:0xf bank_mask:0xf
	v_cndmask_b32_e64 v32, v32, 0, s[20:21]
	v_add_u32_e32 v31, v32, v31
	s_nop 1
	v_mov_b32_dpp v32, v31 row_shr:2 row_mask:0xf bank_mask:0xf
	v_cndmask_b32_e64 v32, 0, v32, s[22:23]
	v_add_u32_e32 v31, v31, v32
	;; [unrolled: 4-line block ×3, first 2 shown]
	ds_write_b32 v24, v31
.LBB184_32:                             ;   in Loop: Header=BB184_2 Depth=1
	s_or_b64 exec, exec, s[26:27]
	v_mov_b32_e32 v31, 0
	s_waitcnt lgkmcnt(0)
	s_barrier
	s_and_saveexec_b64 s[26:27], s[0:1]
; %bb.33:                               ;   in Loop: Header=BB184_2 Depth=1
	ds_read_b32 v31, v27
; %bb.34:                               ;   in Loop: Header=BB184_2 Depth=1
	s_or_b64 exec, exec, s[26:27]
	s_waitcnt lgkmcnt(0)
	v_add_u32_e32 v4, v31, v4
	ds_bpermute_b32 v4, v28, v4
	s_waitcnt lgkmcnt(0)
	v_cndmask_b32_e64 v4, v4, v31, s[4:5]
	v_cndmask_b32_e64 v31, v4, 0, s[2:3]
	v_add_u32_e32 v32, v31, v1
	v_add_u32_e32 v1, v32, v2
	;; [unrolled: 1-line block ×3, first 2 shown]
	ds_write2_b64 v22, v[31:32], v[1:2] offset0:4 offset1:5
	s_waitcnt lgkmcnt(0)
	s_barrier
	ds_read_b32 v1, v30 offset:32
	v_lshlrev_b32_e32 v2, 3, v6
	s_waitcnt lgkmcnt(0)
	s_barrier
	v_lshl_add_u32 v1, v1, 3, v2
	ds_write_b64 v1, v[11:12]
	s_waitcnt lgkmcnt(0)
	s_barrier
	ds_read_b64 v[11:12], v25
	v_mov_b32_e32 v1, s36
	v_mov_b32_e32 v3, s38
	;; [unrolled: 1-line block ×4, first 2 shown]
	s_waitcnt lgkmcnt(0)
	s_barrier
	ds_write2_b64 v22, v[1:2], v[3:4] offset0:4 offset1:5
	v_and_b32_e32 v1, 1, v11
	v_add_co_u32_e64 v2, s[26:27], -1, v1
	v_addc_co_u32_e64 v4, s[26:27], 0, -1, s[26:27]
	v_cmp_ne_u32_e64 s[26:27], 0, v1
	v_lshlrev_b32_e32 v6, 30, v11
	v_xor_b32_e32 v1, s27, v4
	v_xor_b32_e32 v2, s26, v2
	v_cmp_gt_i64_e64 s[26:27], 0, v[5:6]
	v_not_b32_e32 v4, v6
	v_ashrrev_i32_e32 v4, 31, v4
	v_and_b32_e32 v1, exec_hi, v1
	v_xor_b32_e32 v6, s27, v4
	v_and_b32_e32 v2, exec_lo, v2
	v_xor_b32_e32 v4, s26, v4
	v_and_b32_e32 v1, v1, v6
	v_lshlrev_b32_e32 v6, 29, v11
	v_and_b32_e32 v2, v2, v4
	v_cmp_gt_i64_e64 s[26:27], 0, v[5:6]
	v_not_b32_e32 v4, v6
	v_ashrrev_i32_e32 v4, 31, v4
	v_xor_b32_e32 v6, s27, v4
	v_xor_b32_e32 v4, s26, v4
	v_and_b32_e32 v1, v1, v6
	v_lshlrev_b32_e32 v6, 28, v11
	v_and_b32_e32 v2, v2, v4
	v_cmp_gt_i64_e64 s[26:27], 0, v[5:6]
	v_not_b32_e32 v4, v6
	v_ashrrev_i32_e32 v4, 31, v4
	v_xor_b32_e32 v6, s27, v4
	;; [unrolled: 8-line block ×6, first 2 shown]
	v_xor_b32_e32 v30, s26, v2
	v_and_b32_e32 v2, v1, v6
	v_and_b32_e32 v1, v4, v30
	v_mbcnt_lo_u32_b32 v4, v1, 0
	v_mbcnt_hi_u32_b32 v6, v2, v4
	v_cmp_ne_u64_e64 s[26:27], 0, v[1:2]
	v_lshlrev_b32_sdwa v3, v13, v11 dst_sel:DWORD dst_unused:UNUSED_PAD src0_sel:DWORD src1_sel:BYTE_0
	v_cmp_eq_u32_e64 s[28:29], 0, v6
	s_and_b64 s[28:29], s[28:29], s[26:27]
	v_add_u32_e32 v30, v29, v3
	s_waitcnt lgkmcnt(0)
	s_barrier
	; wave barrier
	s_and_saveexec_b64 s[26:27], s[28:29]
; %bb.35:                               ;   in Loop: Header=BB184_2 Depth=1
	v_bcnt_u32_b32 v1, v1, 0
	v_bcnt_u32_b32 v1, v2, v1
	ds_write_b32 v30, v1 offset:32
; %bb.36:                               ;   in Loop: Header=BB184_2 Depth=1
	s_or_b64 exec, exec, s[26:27]
	; wave barrier
	s_waitcnt lgkmcnt(0)
	s_barrier
	ds_read2_b64 v[1:4], v22 offset0:4 offset1:5
	s_waitcnt lgkmcnt(0)
	v_add_u32_e32 v31, v2, v1
	v_add3_u32 v4, v31, v3, v4
	s_nop 1
	v_mov_b32_dpp v31, v4 row_shr:1 row_mask:0xf bank_mask:0xf
	v_cndmask_b32_e64 v31, v31, 0, s[8:9]
	v_add_u32_e32 v4, v31, v4
	s_nop 1
	v_mov_b32_dpp v31, v4 row_shr:2 row_mask:0xf bank_mask:0xf
	v_cndmask_b32_e64 v31, 0, v31, s[10:11]
	v_add_u32_e32 v4, v4, v31
	;; [unrolled: 4-line block ×4, first 2 shown]
	s_nop 1
	v_mov_b32_dpp v31, v4 row_bcast:15 row_mask:0xf bank_mask:0xf
	v_cndmask_b32_e64 v31, v31, 0, s[16:17]
	v_add_u32_e32 v4, v4, v31
	s_nop 1
	v_mov_b32_dpp v31, v4 row_bcast:31 row_mask:0xf bank_mask:0xf
	v_cndmask_b32_e64 v31, 0, v31, s[6:7]
	v_add_u32_e32 v4, v4, v31
	s_and_saveexec_b64 s[26:27], s[18:19]
; %bb.37:                               ;   in Loop: Header=BB184_2 Depth=1
	ds_write_b32 v23, v4
; %bb.38:                               ;   in Loop: Header=BB184_2 Depth=1
	s_or_b64 exec, exec, s[26:27]
	s_waitcnt lgkmcnt(0)
	s_barrier
	s_and_saveexec_b64 s[26:27], vcc
	s_cbranch_execz .LBB184_40
; %bb.39:                               ;   in Loop: Header=BB184_2 Depth=1
	ds_read_b32 v31, v24
	s_waitcnt lgkmcnt(0)
	s_nop 0
	v_mov_b32_dpp v32, v31 row_shr:1 row_mask:0xf bank_mask:0xf
	v_cndmask_b32_e64 v32, v32, 0, s[20:21]
	v_add_u32_e32 v31, v32, v31
	s_nop 1
	v_mov_b32_dpp v32, v31 row_shr:2 row_mask:0xf bank_mask:0xf
	v_cndmask_b32_e64 v32, 0, v32, s[22:23]
	v_add_u32_e32 v31, v31, v32
	;; [unrolled: 4-line block ×3, first 2 shown]
	ds_write_b32 v24, v31
.LBB184_40:                             ;   in Loop: Header=BB184_2 Depth=1
	s_or_b64 exec, exec, s[26:27]
	v_mov_b32_e32 v31, 0
	s_waitcnt lgkmcnt(0)
	s_barrier
	s_and_saveexec_b64 s[26:27], s[0:1]
; %bb.41:                               ;   in Loop: Header=BB184_2 Depth=1
	ds_read_b32 v31, v27
; %bb.42:                               ;   in Loop: Header=BB184_2 Depth=1
	s_or_b64 exec, exec, s[26:27]
	s_waitcnt lgkmcnt(0)
	v_add_u32_e32 v4, v31, v4
	ds_bpermute_b32 v4, v28, v4
	s_waitcnt lgkmcnt(0)
	v_cndmask_b32_e64 v4, v4, v31, s[4:5]
	v_cndmask_b32_e64 v31, v4, 0, s[2:3]
	v_add_u32_e32 v32, v31, v1
	v_add_u32_e32 v1, v32, v2
	;; [unrolled: 1-line block ×3, first 2 shown]
	ds_write2_b64 v22, v[31:32], v[1:2] offset0:4 offset1:5
	s_waitcnt lgkmcnt(0)
	s_barrier
	ds_read_b32 v1, v30 offset:32
	v_lshlrev_b32_e32 v2, 3, v6
	s_waitcnt lgkmcnt(0)
	s_barrier
	v_lshl_add_u32 v1, v1, 3, v2
	ds_write_b64 v1, v[11:12]
	s_waitcnt lgkmcnt(0)
	s_barrier
	ds_read_b64 v[11:12], v25
	v_mov_b32_e32 v1, s36
	v_mov_b32_e32 v3, s38
	;; [unrolled: 1-line block ×4, first 2 shown]
	s_waitcnt lgkmcnt(0)
	s_barrier
	ds_write2_b64 v22, v[1:2], v[3:4] offset0:4 offset1:5
	v_lshrrev_b32_e32 v1, 8, v11
	v_and_b32_e32 v2, 1, v1
	v_add_co_u32_e64 v4, s[26:27], -1, v2
	v_addc_co_u32_e64 v6, s[26:27], 0, -1, s[26:27]
	v_cmp_ne_u32_e64 s[26:27], 0, v2
	v_xor_b32_e32 v2, s27, v6
	v_lshlrev_b32_e32 v6, 30, v1
	v_xor_b32_e32 v4, s26, v4
	v_cmp_gt_i64_e64 s[26:27], 0, v[5:6]
	v_not_b32_e32 v6, v6
	v_ashrrev_i32_e32 v6, 31, v6
	v_and_b32_e32 v4, exec_lo, v4
	v_xor_b32_e32 v30, s27, v6
	v_xor_b32_e32 v6, s26, v6
	v_and_b32_e32 v4, v4, v6
	v_lshlrev_b32_e32 v6, 29, v1
	v_cmp_gt_i64_e64 s[26:27], 0, v[5:6]
	v_not_b32_e32 v6, v6
	v_and_b32_e32 v2, exec_hi, v2
	v_ashrrev_i32_e32 v6, 31, v6
	v_and_b32_e32 v2, v2, v30
	v_xor_b32_e32 v30, s27, v6
	v_xor_b32_e32 v6, s26, v6
	v_and_b32_e32 v4, v4, v6
	v_lshlrev_b32_e32 v6, 28, v1
	v_cmp_gt_i64_e64 s[26:27], 0, v[5:6]
	v_not_b32_e32 v6, v6
	v_ashrrev_i32_e32 v6, 31, v6
	v_and_b32_e32 v2, v2, v30
	v_xor_b32_e32 v30, s27, v6
	v_xor_b32_e32 v6, s26, v6
	v_and_b32_e32 v4, v4, v6
	v_lshlrev_b32_e32 v6, 27, v1
	v_cmp_gt_i64_e64 s[26:27], 0, v[5:6]
	v_not_b32_e32 v6, v6
	;; [unrolled: 8-line block ×4, first 2 shown]
	v_ashrrev_i32_e32 v6, 31, v6
	v_and_b32_e32 v2, v2, v30
	v_xor_b32_e32 v30, s27, v6
	v_xor_b32_e32 v6, s26, v6
	v_and_b32_e32 v4, v4, v6
	v_lshlrev_b32_e32 v6, 24, v1
	v_lshlrev_b32_sdwa v3, v13, v1 dst_sel:DWORD dst_unused:UNUSED_PAD src0_sel:DWORD src1_sel:BYTE_0
	v_cmp_gt_i64_e64 s[26:27], 0, v[5:6]
	v_not_b32_e32 v1, v6
	v_ashrrev_i32_e32 v1, 31, v1
	v_xor_b32_e32 v6, s27, v1
	v_xor_b32_e32 v1, s26, v1
	v_and_b32_e32 v2, v2, v30
	v_and_b32_e32 v1, v4, v1
	;; [unrolled: 1-line block ×3, first 2 shown]
	v_mbcnt_lo_u32_b32 v4, v1, 0
	v_mbcnt_hi_u32_b32 v6, v2, v4
	v_cmp_ne_u64_e64 s[26:27], 0, v[1:2]
	v_cmp_eq_u32_e64 s[28:29], 0, v6
	s_and_b64 s[28:29], s[28:29], s[26:27]
	v_add_u32_e32 v30, v29, v3
	s_waitcnt lgkmcnt(0)
	s_barrier
	; wave barrier
	s_and_saveexec_b64 s[26:27], s[28:29]
; %bb.43:                               ;   in Loop: Header=BB184_2 Depth=1
	v_bcnt_u32_b32 v1, v1, 0
	v_bcnt_u32_b32 v1, v2, v1
	ds_write_b32 v30, v1 offset:32
; %bb.44:                               ;   in Loop: Header=BB184_2 Depth=1
	s_or_b64 exec, exec, s[26:27]
	; wave barrier
	s_waitcnt lgkmcnt(0)
	s_barrier
	ds_read2_b64 v[1:4], v22 offset0:4 offset1:5
	s_waitcnt lgkmcnt(0)
	v_add_u32_e32 v31, v2, v1
	v_add3_u32 v4, v31, v3, v4
	s_nop 1
	v_mov_b32_dpp v31, v4 row_shr:1 row_mask:0xf bank_mask:0xf
	v_cndmask_b32_e64 v31, v31, 0, s[8:9]
	v_add_u32_e32 v4, v31, v4
	s_nop 1
	v_mov_b32_dpp v31, v4 row_shr:2 row_mask:0xf bank_mask:0xf
	v_cndmask_b32_e64 v31, 0, v31, s[10:11]
	v_add_u32_e32 v4, v4, v31
	;; [unrolled: 4-line block ×4, first 2 shown]
	s_nop 1
	v_mov_b32_dpp v31, v4 row_bcast:15 row_mask:0xf bank_mask:0xf
	v_cndmask_b32_e64 v31, v31, 0, s[16:17]
	v_add_u32_e32 v4, v4, v31
	s_nop 1
	v_mov_b32_dpp v31, v4 row_bcast:31 row_mask:0xf bank_mask:0xf
	v_cndmask_b32_e64 v31, 0, v31, s[6:7]
	v_add_u32_e32 v4, v4, v31
	s_and_saveexec_b64 s[26:27], s[18:19]
; %bb.45:                               ;   in Loop: Header=BB184_2 Depth=1
	ds_write_b32 v23, v4
; %bb.46:                               ;   in Loop: Header=BB184_2 Depth=1
	s_or_b64 exec, exec, s[26:27]
	s_waitcnt lgkmcnt(0)
	s_barrier
	s_and_saveexec_b64 s[26:27], vcc
	s_cbranch_execz .LBB184_48
; %bb.47:                               ;   in Loop: Header=BB184_2 Depth=1
	ds_read_b32 v31, v24
	s_waitcnt lgkmcnt(0)
	s_nop 0
	v_mov_b32_dpp v32, v31 row_shr:1 row_mask:0xf bank_mask:0xf
	v_cndmask_b32_e64 v32, v32, 0, s[20:21]
	v_add_u32_e32 v31, v32, v31
	s_nop 1
	v_mov_b32_dpp v32, v31 row_shr:2 row_mask:0xf bank_mask:0xf
	v_cndmask_b32_e64 v32, 0, v32, s[22:23]
	v_add_u32_e32 v31, v31, v32
	;; [unrolled: 4-line block ×3, first 2 shown]
	ds_write_b32 v24, v31
.LBB184_48:                             ;   in Loop: Header=BB184_2 Depth=1
	s_or_b64 exec, exec, s[26:27]
	v_mov_b32_e32 v31, 0
	s_waitcnt lgkmcnt(0)
	s_barrier
	s_and_saveexec_b64 s[26:27], s[0:1]
; %bb.49:                               ;   in Loop: Header=BB184_2 Depth=1
	ds_read_b32 v31, v27
; %bb.50:                               ;   in Loop: Header=BB184_2 Depth=1
	s_or_b64 exec, exec, s[26:27]
	s_waitcnt lgkmcnt(0)
	v_add_u32_e32 v4, v31, v4
	ds_bpermute_b32 v4, v28, v4
	s_waitcnt lgkmcnt(0)
	v_cndmask_b32_e64 v4, v4, v31, s[4:5]
	v_cndmask_b32_e64 v31, v4, 0, s[2:3]
	v_add_u32_e32 v32, v31, v1
	v_add_u32_e32 v1, v32, v2
	;; [unrolled: 1-line block ×3, first 2 shown]
	ds_write2_b64 v22, v[31:32], v[1:2] offset0:4 offset1:5
	s_waitcnt lgkmcnt(0)
	s_barrier
	ds_read_b32 v1, v30 offset:32
	v_lshlrev_b32_e32 v2, 3, v6
	s_waitcnt lgkmcnt(0)
	s_barrier
	v_lshl_add_u32 v1, v1, 3, v2
	ds_write_b64 v1, v[11:12]
	s_waitcnt lgkmcnt(0)
	s_barrier
	ds_read_b64 v[11:12], v25
	v_mov_b32_e32 v1, s36
	v_mov_b32_e32 v3, s38
	v_mov_b32_e32 v2, s37
	v_mov_b32_e32 v4, s39
	s_waitcnt lgkmcnt(0)
	s_barrier
	ds_write2_b64 v22, v[1:2], v[3:4] offset0:4 offset1:5
	v_and_b32_sdwa v1, v11, s40 dst_sel:DWORD dst_unused:UNUSED_PAD src0_sel:WORD_1 src1_sel:DWORD
	v_lshlrev_b32_e32 v3, 5, v1
	v_and_b32_sdwa v1, v11, v14 dst_sel:DWORD dst_unused:UNUSED_PAD src0_sel:WORD_1 src1_sel:DWORD
	v_add_co_u32_e64 v2, s[26:27], -1, v1
	v_addc_co_u32_e64 v4, s[26:27], 0, -1, s[26:27]
	v_cmp_ne_u32_e64 s[26:27], 0, v1
	v_lshlrev_b32_sdwa v6, v15, v11 dst_sel:DWORD dst_unused:UNUSED_PAD src0_sel:DWORD src1_sel:WORD_1
	v_xor_b32_e32 v1, s27, v4
	v_xor_b32_e32 v2, s26, v2
	v_cmp_gt_i64_e64 s[26:27], 0, v[5:6]
	v_not_b32_e32 v4, v6
	v_ashrrev_i32_e32 v4, 31, v4
	v_and_b32_e32 v1, exec_hi, v1
	v_xor_b32_e32 v6, s27, v4
	v_and_b32_e32 v2, exec_lo, v2
	v_xor_b32_e32 v4, s26, v4
	v_and_b32_e32 v1, v1, v6
	v_lshlrev_b32_sdwa v6, v16, v11 dst_sel:DWORD dst_unused:UNUSED_PAD src0_sel:DWORD src1_sel:WORD_1
	v_and_b32_e32 v2, v2, v4
	v_cmp_gt_i64_e64 s[26:27], 0, v[5:6]
	v_not_b32_e32 v4, v6
	v_ashrrev_i32_e32 v4, 31, v4
	v_xor_b32_e32 v6, s27, v4
	v_xor_b32_e32 v4, s26, v4
	v_and_b32_e32 v1, v1, v6
	v_lshlrev_b32_sdwa v6, v17, v11 dst_sel:DWORD dst_unused:UNUSED_PAD src0_sel:DWORD src1_sel:WORD_1
	v_and_b32_e32 v2, v2, v4
	v_cmp_gt_i64_e64 s[26:27], 0, v[5:6]
	v_not_b32_e32 v4, v6
	v_ashrrev_i32_e32 v4, 31, v4
	v_xor_b32_e32 v6, s27, v4
	v_xor_b32_e32 v4, s26, v4
	v_and_b32_e32 v1, v1, v6
	v_lshlrev_b32_sdwa v6, v18, v11 dst_sel:DWORD dst_unused:UNUSED_PAD src0_sel:DWORD src1_sel:WORD_1
	v_and_b32_e32 v2, v2, v4
	v_cmp_gt_i64_e64 s[26:27], 0, v[5:6]
	v_not_b32_e32 v4, v6
	v_ashrrev_i32_e32 v4, 31, v4
	v_xor_b32_e32 v6, s27, v4
	v_xor_b32_e32 v4, s26, v4
	v_and_b32_e32 v1, v1, v6
	v_lshlrev_b32_sdwa v6, v19, v11 dst_sel:DWORD dst_unused:UNUSED_PAD src0_sel:DWORD src1_sel:WORD_1
	v_and_b32_e32 v2, v2, v4
	v_cmp_gt_i64_e64 s[26:27], 0, v[5:6]
	v_not_b32_e32 v4, v6
	v_ashrrev_i32_e32 v4, 31, v4
	v_xor_b32_e32 v6, s27, v4
	v_xor_b32_e32 v4, s26, v4
	v_and_b32_e32 v1, v1, v6
	v_lshlrev_b32_sdwa v6, v20, v11 dst_sel:DWORD dst_unused:UNUSED_PAD src0_sel:DWORD src1_sel:WORD_1
	v_and_b32_e32 v2, v2, v4
	v_cmp_gt_i64_e64 s[26:27], 0, v[5:6]
	v_not_b32_e32 v4, v6
	v_ashrrev_i32_e32 v4, 31, v4
	v_xor_b32_e32 v6, s27, v4
	v_xor_b32_e32 v4, s26, v4
	v_and_b32_e32 v1, v1, v6
	v_lshlrev_b32_sdwa v6, v21, v11 dst_sel:DWORD dst_unused:UNUSED_PAD src0_sel:DWORD src1_sel:WORD_1
	v_and_b32_e32 v4, v2, v4
	v_cmp_gt_i64_e64 s[26:27], 0, v[5:6]
	v_not_b32_e32 v2, v6
	v_ashrrev_i32_e32 v2, 31, v2
	v_xor_b32_e32 v6, s27, v2
	v_xor_b32_e32 v30, s26, v2
	v_and_b32_e32 v2, v1, v6
	v_and_b32_e32 v1, v4, v30
	v_mbcnt_lo_u32_b32 v4, v1, 0
	v_mbcnt_hi_u32_b32 v6, v2, v4
	v_cmp_ne_u64_e64 s[26:27], 0, v[1:2]
	v_cmp_eq_u32_e64 s[28:29], 0, v6
	s_and_b64 s[28:29], s[28:29], s[26:27]
	v_add_u32_e32 v30, v29, v3
	s_waitcnt lgkmcnt(0)
	s_barrier
	; wave barrier
	s_and_saveexec_b64 s[26:27], s[28:29]
; %bb.51:                               ;   in Loop: Header=BB184_2 Depth=1
	v_bcnt_u32_b32 v1, v1, 0
	v_bcnt_u32_b32 v1, v2, v1
	ds_write_b32 v30, v1 offset:32
; %bb.52:                               ;   in Loop: Header=BB184_2 Depth=1
	s_or_b64 exec, exec, s[26:27]
	; wave barrier
	s_waitcnt lgkmcnt(0)
	s_barrier
	ds_read2_b64 v[1:4], v22 offset0:4 offset1:5
	s_waitcnt lgkmcnt(0)
	v_add_u32_e32 v31, v2, v1
	v_add3_u32 v4, v31, v3, v4
	s_nop 1
	v_mov_b32_dpp v31, v4 row_shr:1 row_mask:0xf bank_mask:0xf
	v_cndmask_b32_e64 v31, v31, 0, s[8:9]
	v_add_u32_e32 v4, v31, v4
	s_nop 1
	v_mov_b32_dpp v31, v4 row_shr:2 row_mask:0xf bank_mask:0xf
	v_cndmask_b32_e64 v31, 0, v31, s[10:11]
	v_add_u32_e32 v4, v4, v31
	;; [unrolled: 4-line block ×4, first 2 shown]
	s_nop 1
	v_mov_b32_dpp v31, v4 row_bcast:15 row_mask:0xf bank_mask:0xf
	v_cndmask_b32_e64 v31, v31, 0, s[16:17]
	v_add_u32_e32 v4, v4, v31
	s_nop 1
	v_mov_b32_dpp v31, v4 row_bcast:31 row_mask:0xf bank_mask:0xf
	v_cndmask_b32_e64 v31, 0, v31, s[6:7]
	v_add_u32_e32 v4, v4, v31
	s_and_saveexec_b64 s[26:27], s[18:19]
; %bb.53:                               ;   in Loop: Header=BB184_2 Depth=1
	ds_write_b32 v23, v4
; %bb.54:                               ;   in Loop: Header=BB184_2 Depth=1
	s_or_b64 exec, exec, s[26:27]
	s_waitcnt lgkmcnt(0)
	s_barrier
	s_and_saveexec_b64 s[26:27], vcc
	s_cbranch_execz .LBB184_56
; %bb.55:                               ;   in Loop: Header=BB184_2 Depth=1
	ds_read_b32 v31, v24
	s_waitcnt lgkmcnt(0)
	s_nop 0
	v_mov_b32_dpp v32, v31 row_shr:1 row_mask:0xf bank_mask:0xf
	v_cndmask_b32_e64 v32, v32, 0, s[20:21]
	v_add_u32_e32 v31, v32, v31
	s_nop 1
	v_mov_b32_dpp v32, v31 row_shr:2 row_mask:0xf bank_mask:0xf
	v_cndmask_b32_e64 v32, 0, v32, s[22:23]
	v_add_u32_e32 v31, v31, v32
	;; [unrolled: 4-line block ×3, first 2 shown]
	ds_write_b32 v24, v31
.LBB184_56:                             ;   in Loop: Header=BB184_2 Depth=1
	s_or_b64 exec, exec, s[26:27]
	v_mov_b32_e32 v31, 0
	s_waitcnt lgkmcnt(0)
	s_barrier
	s_and_saveexec_b64 s[26:27], s[0:1]
; %bb.57:                               ;   in Loop: Header=BB184_2 Depth=1
	ds_read_b32 v31, v27
; %bb.58:                               ;   in Loop: Header=BB184_2 Depth=1
	s_or_b64 exec, exec, s[26:27]
	s_waitcnt lgkmcnt(0)
	v_add_u32_e32 v4, v31, v4
	ds_bpermute_b32 v4, v28, v4
	s_waitcnt lgkmcnt(0)
	v_cndmask_b32_e64 v4, v4, v31, s[4:5]
	v_cndmask_b32_e64 v31, v4, 0, s[2:3]
	v_add_u32_e32 v32, v31, v1
	v_add_u32_e32 v1, v32, v2
	;; [unrolled: 1-line block ×3, first 2 shown]
	ds_write2_b64 v22, v[31:32], v[1:2] offset0:4 offset1:5
	s_waitcnt lgkmcnt(0)
	s_barrier
	ds_read_b32 v1, v30 offset:32
	v_lshlrev_b32_e32 v2, 3, v6
	s_waitcnt lgkmcnt(0)
	s_barrier
	v_lshl_add_u32 v1, v1, 3, v2
	ds_write_b64 v1, v[11:12]
	s_waitcnt lgkmcnt(0)
	s_barrier
	ds_read_b64 v[11:12], v25
	v_mov_b32_e32 v1, s36
	v_mov_b32_e32 v3, s38
	;; [unrolled: 1-line block ×4, first 2 shown]
	s_waitcnt lgkmcnt(0)
	s_barrier
	ds_write2_b64 v22, v[1:2], v[3:4] offset0:4 offset1:5
	v_and_b32_sdwa v1, v11, v14 dst_sel:DWORD dst_unused:UNUSED_PAD src0_sel:BYTE_3 src1_sel:DWORD
	v_add_co_u32_e64 v2, s[26:27], -1, v1
	v_addc_co_u32_e64 v4, s[26:27], 0, -1, s[26:27]
	v_cmp_ne_u32_e64 s[26:27], 0, v1
	v_lshlrev_b32_sdwa v6, v15, v11 dst_sel:DWORD dst_unused:UNUSED_PAD src0_sel:DWORD src1_sel:BYTE_3
	v_xor_b32_e32 v1, s27, v4
	v_xor_b32_e32 v2, s26, v2
	v_cmp_gt_i64_e64 s[26:27], 0, v[5:6]
	v_not_b32_e32 v4, v6
	v_ashrrev_i32_e32 v4, 31, v4
	v_and_b32_e32 v1, exec_hi, v1
	v_xor_b32_e32 v6, s27, v4
	v_and_b32_e32 v2, exec_lo, v2
	v_xor_b32_e32 v4, s26, v4
	v_and_b32_e32 v1, v1, v6
	v_lshlrev_b32_sdwa v6, v16, v11 dst_sel:DWORD dst_unused:UNUSED_PAD src0_sel:DWORD src1_sel:BYTE_3
	v_and_b32_e32 v2, v2, v4
	v_cmp_gt_i64_e64 s[26:27], 0, v[5:6]
	v_not_b32_e32 v4, v6
	v_ashrrev_i32_e32 v4, 31, v4
	v_xor_b32_e32 v6, s27, v4
	v_xor_b32_e32 v4, s26, v4
	v_and_b32_e32 v1, v1, v6
	v_lshlrev_b32_sdwa v6, v17, v11 dst_sel:DWORD dst_unused:UNUSED_PAD src0_sel:DWORD src1_sel:BYTE_3
	v_and_b32_e32 v2, v2, v4
	v_cmp_gt_i64_e64 s[26:27], 0, v[5:6]
	v_not_b32_e32 v4, v6
	v_ashrrev_i32_e32 v4, 31, v4
	v_xor_b32_e32 v6, s27, v4
	;; [unrolled: 8-line block ×6, first 2 shown]
	v_xor_b32_e32 v30, s26, v2
	v_and_b32_e32 v2, v1, v6
	v_and_b32_e32 v1, v4, v30
	v_mbcnt_lo_u32_b32 v4, v1, 0
	v_mbcnt_hi_u32_b32 v6, v2, v4
	v_cmp_ne_u64_e64 s[26:27], 0, v[1:2]
	v_lshlrev_b32_sdwa v3, v13, v11 dst_sel:DWORD dst_unused:UNUSED_PAD src0_sel:DWORD src1_sel:BYTE_3
	v_cmp_eq_u32_e64 s[28:29], 0, v6
	s_and_b64 s[28:29], s[28:29], s[26:27]
	v_add_u32_e32 v30, v29, v3
	s_waitcnt lgkmcnt(0)
	s_barrier
	; wave barrier
	s_and_saveexec_b64 s[26:27], s[28:29]
; %bb.59:                               ;   in Loop: Header=BB184_2 Depth=1
	v_bcnt_u32_b32 v1, v1, 0
	v_bcnt_u32_b32 v1, v2, v1
	ds_write_b32 v30, v1 offset:32
; %bb.60:                               ;   in Loop: Header=BB184_2 Depth=1
	s_or_b64 exec, exec, s[26:27]
	; wave barrier
	s_waitcnt lgkmcnt(0)
	s_barrier
	ds_read2_b64 v[1:4], v22 offset0:4 offset1:5
	s_waitcnt lgkmcnt(0)
	v_add_u32_e32 v31, v2, v1
	v_add3_u32 v4, v31, v3, v4
	s_nop 1
	v_mov_b32_dpp v31, v4 row_shr:1 row_mask:0xf bank_mask:0xf
	v_cndmask_b32_e64 v31, v31, 0, s[8:9]
	v_add_u32_e32 v4, v31, v4
	s_nop 1
	v_mov_b32_dpp v31, v4 row_shr:2 row_mask:0xf bank_mask:0xf
	v_cndmask_b32_e64 v31, 0, v31, s[10:11]
	v_add_u32_e32 v4, v4, v31
	;; [unrolled: 4-line block ×4, first 2 shown]
	s_nop 1
	v_mov_b32_dpp v31, v4 row_bcast:15 row_mask:0xf bank_mask:0xf
	v_cndmask_b32_e64 v31, v31, 0, s[16:17]
	v_add_u32_e32 v4, v4, v31
	s_nop 1
	v_mov_b32_dpp v31, v4 row_bcast:31 row_mask:0xf bank_mask:0xf
	v_cndmask_b32_e64 v31, 0, v31, s[6:7]
	v_add_u32_e32 v4, v4, v31
	s_and_saveexec_b64 s[26:27], s[18:19]
; %bb.61:                               ;   in Loop: Header=BB184_2 Depth=1
	ds_write_b32 v23, v4
; %bb.62:                               ;   in Loop: Header=BB184_2 Depth=1
	s_or_b64 exec, exec, s[26:27]
	s_waitcnt lgkmcnt(0)
	s_barrier
	s_and_saveexec_b64 s[26:27], vcc
	s_cbranch_execz .LBB184_64
; %bb.63:                               ;   in Loop: Header=BB184_2 Depth=1
	ds_read_b32 v31, v24
	s_waitcnt lgkmcnt(0)
	s_nop 0
	v_mov_b32_dpp v32, v31 row_shr:1 row_mask:0xf bank_mask:0xf
	v_cndmask_b32_e64 v32, v32, 0, s[20:21]
	v_add_u32_e32 v31, v32, v31
	s_nop 1
	v_mov_b32_dpp v32, v31 row_shr:2 row_mask:0xf bank_mask:0xf
	v_cndmask_b32_e64 v32, 0, v32, s[22:23]
	v_add_u32_e32 v31, v31, v32
	;; [unrolled: 4-line block ×3, first 2 shown]
	ds_write_b32 v24, v31
.LBB184_64:                             ;   in Loop: Header=BB184_2 Depth=1
	s_or_b64 exec, exec, s[26:27]
	v_mov_b32_e32 v31, 0
	s_waitcnt lgkmcnt(0)
	s_barrier
	s_and_saveexec_b64 s[26:27], s[0:1]
	s_cbranch_execz .LBB184_1
; %bb.65:                               ;   in Loop: Header=BB184_2 Depth=1
	ds_read_b32 v31, v27
	s_branch .LBB184_1
.LBB184_66:
	s_add_u32 s0, s30, s34
	s_waitcnt lgkmcnt(0)
	v_xor_b32_e32 v2, 0x80000000, v12
	v_xor_b32_e32 v1, 0x80000000, v11
	s_addc_u32 s1, s31, s35
	v_lshlrev_b32_e32 v0, 3, v0
	global_store_dwordx2 v0, v[1:2], s[0:1]
	s_endpgm
	.section	.rodata,"a",@progbits
	.p2align	6, 0x0
	.amdhsa_kernel _Z16sort_keys_kernelI22helper_blocked_blockedN15benchmark_utils11custom_typeIiiEELj512ELj1ELj10EEvPKT0_PS4_
		.amdhsa_group_segment_fixed_size 8224
		.amdhsa_private_segment_fixed_size 0
		.amdhsa_kernarg_size 272
		.amdhsa_user_sgpr_count 6
		.amdhsa_user_sgpr_private_segment_buffer 1
		.amdhsa_user_sgpr_dispatch_ptr 0
		.amdhsa_user_sgpr_queue_ptr 0
		.amdhsa_user_sgpr_kernarg_segment_ptr 1
		.amdhsa_user_sgpr_dispatch_id 0
		.amdhsa_user_sgpr_flat_scratch_init 0
		.amdhsa_user_sgpr_private_segment_size 0
		.amdhsa_uses_dynamic_stack 0
		.amdhsa_system_sgpr_private_segment_wavefront_offset 0
		.amdhsa_system_sgpr_workgroup_id_x 1
		.amdhsa_system_sgpr_workgroup_id_y 0
		.amdhsa_system_sgpr_workgroup_id_z 0
		.amdhsa_system_sgpr_workgroup_info 0
		.amdhsa_system_vgpr_workitem_id 2
		.amdhsa_next_free_vgpr 33
		.amdhsa_next_free_sgpr 42
		.amdhsa_reserve_vcc 1
		.amdhsa_reserve_flat_scratch 0
		.amdhsa_float_round_mode_32 0
		.amdhsa_float_round_mode_16_64 0
		.amdhsa_float_denorm_mode_32 3
		.amdhsa_float_denorm_mode_16_64 3
		.amdhsa_dx10_clamp 1
		.amdhsa_ieee_mode 1
		.amdhsa_fp16_overflow 0
		.amdhsa_exception_fp_ieee_invalid_op 0
		.amdhsa_exception_fp_denorm_src 0
		.amdhsa_exception_fp_ieee_div_zero 0
		.amdhsa_exception_fp_ieee_overflow 0
		.amdhsa_exception_fp_ieee_underflow 0
		.amdhsa_exception_fp_ieee_inexact 0
		.amdhsa_exception_int_div_zero 0
	.end_amdhsa_kernel
	.section	.text._Z16sort_keys_kernelI22helper_blocked_blockedN15benchmark_utils11custom_typeIiiEELj512ELj1ELj10EEvPKT0_PS4_,"axG",@progbits,_Z16sort_keys_kernelI22helper_blocked_blockedN15benchmark_utils11custom_typeIiiEELj512ELj1ELj10EEvPKT0_PS4_,comdat
.Lfunc_end184:
	.size	_Z16sort_keys_kernelI22helper_blocked_blockedN15benchmark_utils11custom_typeIiiEELj512ELj1ELj10EEvPKT0_PS4_, .Lfunc_end184-_Z16sort_keys_kernelI22helper_blocked_blockedN15benchmark_utils11custom_typeIiiEELj512ELj1ELj10EEvPKT0_PS4_
                                        ; -- End function
	.set _Z16sort_keys_kernelI22helper_blocked_blockedN15benchmark_utils11custom_typeIiiEELj512ELj1ELj10EEvPKT0_PS4_.num_vgpr, 33
	.set _Z16sort_keys_kernelI22helper_blocked_blockedN15benchmark_utils11custom_typeIiiEELj512ELj1ELj10EEvPKT0_PS4_.num_agpr, 0
	.set _Z16sort_keys_kernelI22helper_blocked_blockedN15benchmark_utils11custom_typeIiiEELj512ELj1ELj10EEvPKT0_PS4_.numbered_sgpr, 42
	.set _Z16sort_keys_kernelI22helper_blocked_blockedN15benchmark_utils11custom_typeIiiEELj512ELj1ELj10EEvPKT0_PS4_.num_named_barrier, 0
	.set _Z16sort_keys_kernelI22helper_blocked_blockedN15benchmark_utils11custom_typeIiiEELj512ELj1ELj10EEvPKT0_PS4_.private_seg_size, 0
	.set _Z16sort_keys_kernelI22helper_blocked_blockedN15benchmark_utils11custom_typeIiiEELj512ELj1ELj10EEvPKT0_PS4_.uses_vcc, 1
	.set _Z16sort_keys_kernelI22helper_blocked_blockedN15benchmark_utils11custom_typeIiiEELj512ELj1ELj10EEvPKT0_PS4_.uses_flat_scratch, 0
	.set _Z16sort_keys_kernelI22helper_blocked_blockedN15benchmark_utils11custom_typeIiiEELj512ELj1ELj10EEvPKT0_PS4_.has_dyn_sized_stack, 0
	.set _Z16sort_keys_kernelI22helper_blocked_blockedN15benchmark_utils11custom_typeIiiEELj512ELj1ELj10EEvPKT0_PS4_.has_recursion, 0
	.set _Z16sort_keys_kernelI22helper_blocked_blockedN15benchmark_utils11custom_typeIiiEELj512ELj1ELj10EEvPKT0_PS4_.has_indirect_call, 0
	.section	.AMDGPU.csdata,"",@progbits
; Kernel info:
; codeLenInByte = 7476
; TotalNumSgprs: 46
; NumVgprs: 33
; ScratchSize: 0
; MemoryBound: 0
; FloatMode: 240
; IeeeMode: 1
; LDSByteSize: 8224 bytes/workgroup (compile time only)
; SGPRBlocks: 5
; VGPRBlocks: 8
; NumSGPRsForWavesPerEU: 46
; NumVGPRsForWavesPerEU: 33
; Occupancy: 7
; WaveLimiterHint : 0
; COMPUTE_PGM_RSRC2:SCRATCH_EN: 0
; COMPUTE_PGM_RSRC2:USER_SGPR: 6
; COMPUTE_PGM_RSRC2:TRAP_HANDLER: 0
; COMPUTE_PGM_RSRC2:TGID_X_EN: 1
; COMPUTE_PGM_RSRC2:TGID_Y_EN: 0
; COMPUTE_PGM_RSRC2:TGID_Z_EN: 0
; COMPUTE_PGM_RSRC2:TIDIG_COMP_CNT: 2
	.section	.text._Z17sort_pairs_kernelI22helper_blocked_blockedN15benchmark_utils11custom_typeIiiEELj512ELj1ELj10EEvPKT0_PS4_,"axG",@progbits,_Z17sort_pairs_kernelI22helper_blocked_blockedN15benchmark_utils11custom_typeIiiEELj512ELj1ELj10EEvPKT0_PS4_,comdat
	.protected	_Z17sort_pairs_kernelI22helper_blocked_blockedN15benchmark_utils11custom_typeIiiEELj512ELj1ELj10EEvPKT0_PS4_ ; -- Begin function _Z17sort_pairs_kernelI22helper_blocked_blockedN15benchmark_utils11custom_typeIiiEELj512ELj1ELj10EEvPKT0_PS4_
	.globl	_Z17sort_pairs_kernelI22helper_blocked_blockedN15benchmark_utils11custom_typeIiiEELj512ELj1ELj10EEvPKT0_PS4_
	.p2align	8
	.type	_Z17sort_pairs_kernelI22helper_blocked_blockedN15benchmark_utils11custom_typeIiiEELj512ELj1ELj10EEvPKT0_PS4_,@function
_Z17sort_pairs_kernelI22helper_blocked_blockedN15benchmark_utils11custom_typeIiiEELj512ELj1ELj10EEvPKT0_PS4_: ; @_Z17sort_pairs_kernelI22helper_blocked_blockedN15benchmark_utils11custom_typeIiiEELj512ELj1ELj10EEvPKT0_PS4_
; %bb.0:
	s_load_dwordx4 s[28:31], s[4:5], 0x0
	s_load_dword s41, s[4:5], 0x1c
	s_lshl_b32 s36, s6, 9
	s_mov_b32 s37, 0
	s_lshl_b64 s[34:35], s[36:37], 3
	s_waitcnt lgkmcnt(0)
	s_add_u32 s0, s28, s34
	s_addc_u32 s1, s29, s35
	v_lshlrev_b32_e32 v3, 3, v0
	global_load_dwordx2 v[3:4], v3, s[0:1]
	s_lshr_b32 s28, s41, 16
	v_mbcnt_lo_u32_b32 v6, -1, 0
	s_and_b32 s29, s41, 0xffff
	v_mad_u32_u24 v1, v2, s28, v1
	v_mbcnt_hi_u32_b32 v6, -1, v6
	v_mad_u64_u32 v[1:2], s[28:29], v1, s29, v[0:1]
	v_subrev_co_u32_e64 v13, s[6:7], 1, v6
	v_and_b32_e32 v14, 64, v6
	v_lshlrev_b32_e32 v20, 4, v0
	v_and_b32_e32 v7, 0x1c0, v0
	v_and_b32_e32 v10, 15, v6
	v_cmp_lt_i32_e32 vcc, v13, v14
	v_lshrrev_b32_e32 v8, 4, v0
	v_lshlrev_b32_e32 v9, 2, v0
	s_mov_b32 s38, s37
	v_or_b32_e32 v12, 63, v7
	v_and_b32_e32 v23, 7, v6
	v_lshlrev_b32_e32 v7, 3, v7
	v_mad_i32_i24 v22, v0, -12, v20
	s_mov_b32 s36, s37
	v_cmp_eq_u32_e64 s[10:11], 0, v10
	v_cmp_lt_u32_e64 s[12:13], 1, v10
	v_cmp_lt_u32_e64 s[14:15], 3, v10
	;; [unrolled: 1-line block ×3, first 2 shown]
	v_cndmask_b32_e32 v10, v13, v6, vcc
	s_mov_b32 s39, s37
	v_and_b32_e32 v11, 16, v6
	v_and_b32_e32 v21, 28, v8
	v_cmp_eq_u32_e64 s[22:23], 0, v23
	v_cmp_lt_u32_e64 s[24:25], 1, v23
	v_cmp_lt_u32_e64 s[26:27], 3, v23
	v_lshl_add_u32 v23, v6, 3, v7
	v_add_u32_e32 v24, v22, v9
	v_mov_b32_e32 v7, s36
	v_lshlrev_b32_e32 v26, 2, v10
	v_lshrrev_b32_e32 v1, 4, v1
	v_mov_b32_e32 v9, s38
	s_movk_i32 s33, 0xff
	v_mov_b32_e32 v15, 5
	v_mov_b32_e32 v16, 27
	;; [unrolled: 1-line block ×6, first 2 shown]
	v_cmp_gt_u32_e64 s[0:1], 8, v0
	v_cmp_lt_u32_e64 s[2:3], 63, v0
	v_cmp_eq_u32_e64 s[4:5], 0, v0
	s_mov_b32 s40, s37
	v_cmp_lt_u32_e64 s[8:9], 31, v6
	v_cmp_eq_u32_e64 s[18:19], 0, v11
	v_cmp_eq_u32_e64 s[20:21], v0, v12
	v_add_u32_e32 v25, -4, v21
	v_mov_b32_e32 v8, s37
	v_and_b32_e32 v27, 0xffffffc, v1
	v_mov_b32_e32 v10, s39
	s_waitcnt vmcnt(0)
	v_add_u32_e32 v14, 1, v4
	v_add_u32_e32 v13, 1, v3
	v_xor_b32_e32 v11, 0x80000000, v3
	v_xor_b32_e32 v12, 0x80000000, v4
	s_branch .LBB185_2
.LBB185_1:                              ;   in Loop: Header=BB185_2 Depth=1
	s_barrier
	ds_write_b64 v6, v[3:4]
	s_waitcnt lgkmcnt(0)
	s_barrier
	ds_read_b64 v[11:12], v24
	s_waitcnt lgkmcnt(0)
	s_barrier
	ds_write_b64 v6, v[1:2]
	s_waitcnt lgkmcnt(0)
	s_barrier
	ds_read_b64 v[13:14], v24
	s_add_i32 s40, s40, 1
	s_cmp_eq_u32 s40, 10
	s_cbranch_scc1 .LBB185_38
.LBB185_2:                              ; =>This Loop Header: Depth=1
                                        ;     Child Loop BB185_28 Depth 2
	v_and_b32_e32 v1, 1, v12
	v_add_co_u32_e32 v2, vcc, -1, v1
	v_addc_co_u32_e64 v4, s[28:29], 0, -1, vcc
	v_cmp_ne_u32_e32 vcc, 0, v1
	v_lshlrev_b32_e32 v6, 30, v12
	v_xor_b32_e32 v1, vcc_hi, v4
	v_xor_b32_e32 v2, vcc_lo, v2
	v_cmp_gt_i64_e32 vcc, 0, v[5:6]
	v_not_b32_e32 v4, v6
	v_ashrrev_i32_e32 v4, 31, v4
	v_and_b32_e32 v1, exec_hi, v1
	v_xor_b32_e32 v6, vcc_hi, v4
	v_and_b32_e32 v2, exec_lo, v2
	v_xor_b32_e32 v4, vcc_lo, v4
	v_and_b32_e32 v1, v1, v6
	v_lshlrev_b32_e32 v6, 29, v12
	v_and_b32_e32 v2, v2, v4
	v_cmp_gt_i64_e32 vcc, 0, v[5:6]
	v_not_b32_e32 v4, v6
	v_ashrrev_i32_e32 v4, 31, v4
	v_xor_b32_e32 v6, vcc_hi, v4
	v_xor_b32_e32 v4, vcc_lo, v4
	v_and_b32_e32 v1, v1, v6
	v_lshlrev_b32_e32 v6, 28, v12
	v_and_b32_e32 v2, v2, v4
	v_cmp_gt_i64_e32 vcc, 0, v[5:6]
	v_not_b32_e32 v4, v6
	v_ashrrev_i32_e32 v4, 31, v4
	v_xor_b32_e32 v6, vcc_hi, v4
	;; [unrolled: 8-line block ×6, first 2 shown]
	v_xor_b32_e32 v28, vcc_lo, v2
	v_and_b32_e32 v2, v1, v6
	v_and_b32_e32 v1, v4, v28
	v_mbcnt_lo_u32_b32 v4, v1, 0
	v_mbcnt_hi_u32_b32 v6, v2, v4
	v_cmp_ne_u64_e32 vcc, 0, v[1:2]
	v_lshlrev_b32_sdwa v3, v15, v12 dst_sel:DWORD dst_unused:UNUSED_PAD src0_sel:DWORD src1_sel:BYTE_0
	v_cmp_eq_u32_e64 s[28:29], 0, v6
	s_and_b64 s[42:43], s[28:29], vcc
	v_add_u32_e32 v28, v27, v3
	ds_write2_b64 v20, v[7:8], v[9:10] offset0:4 offset1:5
	s_waitcnt lgkmcnt(0)
	s_barrier
	; wave barrier
	s_and_saveexec_b64 s[28:29], s[42:43]
; %bb.3:                                ;   in Loop: Header=BB185_2 Depth=1
	v_bcnt_u32_b32 v1, v1, 0
	v_bcnt_u32_b32 v1, v2, v1
	ds_write_b32 v28, v1 offset:32
; %bb.4:                                ;   in Loop: Header=BB185_2 Depth=1
	s_or_b64 exec, exec, s[28:29]
	; wave barrier
	s_waitcnt lgkmcnt(0)
	s_barrier
	ds_read2_b64 v[1:4], v20 offset0:4 offset1:5
	s_waitcnt lgkmcnt(0)
	v_add_u32_e32 v29, v2, v1
	v_add3_u32 v4, v29, v3, v4
	s_nop 1
	v_mov_b32_dpp v29, v4 row_shr:1 row_mask:0xf bank_mask:0xf
	v_cndmask_b32_e64 v29, v29, 0, s[10:11]
	v_add_u32_e32 v4, v29, v4
	s_nop 1
	v_mov_b32_dpp v29, v4 row_shr:2 row_mask:0xf bank_mask:0xf
	v_cndmask_b32_e64 v29, 0, v29, s[12:13]
	v_add_u32_e32 v4, v4, v29
	;; [unrolled: 4-line block ×4, first 2 shown]
	s_nop 1
	v_mov_b32_dpp v29, v4 row_bcast:15 row_mask:0xf bank_mask:0xf
	v_cndmask_b32_e64 v29, v29, 0, s[18:19]
	v_add_u32_e32 v4, v4, v29
	s_nop 1
	v_mov_b32_dpp v29, v4 row_bcast:31 row_mask:0xf bank_mask:0xf
	v_cndmask_b32_e64 v29, 0, v29, s[8:9]
	v_add_u32_e32 v4, v4, v29
	s_and_saveexec_b64 s[28:29], s[20:21]
; %bb.5:                                ;   in Loop: Header=BB185_2 Depth=1
	ds_write_b32 v21, v4
; %bb.6:                                ;   in Loop: Header=BB185_2 Depth=1
	s_or_b64 exec, exec, s[28:29]
	s_waitcnt lgkmcnt(0)
	s_barrier
	s_and_saveexec_b64 s[28:29], s[0:1]
	s_cbranch_execz .LBB185_8
; %bb.7:                                ;   in Loop: Header=BB185_2 Depth=1
	ds_read_b32 v29, v22
	s_waitcnt lgkmcnt(0)
	s_nop 0
	v_mov_b32_dpp v30, v29 row_shr:1 row_mask:0xf bank_mask:0xf
	v_cndmask_b32_e64 v30, v30, 0, s[22:23]
	v_add_u32_e32 v29, v30, v29
	s_nop 1
	v_mov_b32_dpp v30, v29 row_shr:2 row_mask:0xf bank_mask:0xf
	v_cndmask_b32_e64 v30, 0, v30, s[24:25]
	v_add_u32_e32 v29, v29, v30
	;; [unrolled: 4-line block ×3, first 2 shown]
	ds_write_b32 v22, v29
.LBB185_8:                              ;   in Loop: Header=BB185_2 Depth=1
	s_or_b64 exec, exec, s[28:29]
	v_mov_b32_e32 v29, 0
	s_waitcnt lgkmcnt(0)
	s_barrier
	s_and_saveexec_b64 s[28:29], s[2:3]
; %bb.9:                                ;   in Loop: Header=BB185_2 Depth=1
	ds_read_b32 v29, v25
; %bb.10:                               ;   in Loop: Header=BB185_2 Depth=1
	s_or_b64 exec, exec, s[28:29]
	s_waitcnt lgkmcnt(0)
	v_add_u32_e32 v4, v29, v4
	ds_bpermute_b32 v4, v26, v4
	s_waitcnt lgkmcnt(0)
	v_cndmask_b32_e64 v4, v4, v29, s[6:7]
	v_cndmask_b32_e64 v29, v4, 0, s[4:5]
	v_add_u32_e32 v30, v29, v1
	v_add_u32_e32 v1, v30, v2
	;; [unrolled: 1-line block ×3, first 2 shown]
	ds_write2_b64 v20, v[29:30], v[1:2] offset0:4 offset1:5
	s_waitcnt lgkmcnt(0)
	s_barrier
	ds_read_b32 v1, v28 offset:32
	v_lshlrev_b32_e32 v2, 3, v6
	s_waitcnt lgkmcnt(0)
	s_barrier
	v_lshl_add_u32 v1, v1, 3, v2
	ds_write_b64 v1, v[11:12]
	s_waitcnt lgkmcnt(0)
	s_barrier
	ds_read_b64 v[11:12], v23
	s_waitcnt lgkmcnt(0)
	s_barrier
	ds_write_b64 v1, v[13:14]
	v_lshrrev_b32_e32 v1, 8, v12
	v_and_b32_e32 v2, 1, v1
	v_add_co_u32_e32 v4, vcc, -1, v2
	v_addc_co_u32_e64 v6, s[28:29], 0, -1, vcc
	v_cmp_ne_u32_e32 vcc, 0, v2
	v_xor_b32_e32 v2, vcc_hi, v6
	v_lshlrev_b32_e32 v6, 30, v1
	v_xor_b32_e32 v4, vcc_lo, v4
	v_cmp_gt_i64_e32 vcc, 0, v[5:6]
	v_not_b32_e32 v6, v6
	v_ashrrev_i32_e32 v6, 31, v6
	v_and_b32_e32 v4, exec_lo, v4
	v_xor_b32_e32 v28, vcc_hi, v6
	v_xor_b32_e32 v6, vcc_lo, v6
	v_and_b32_e32 v4, v4, v6
	v_lshlrev_b32_e32 v6, 29, v1
	v_cmp_gt_i64_e32 vcc, 0, v[5:6]
	v_not_b32_e32 v6, v6
	v_and_b32_e32 v2, exec_hi, v2
	v_ashrrev_i32_e32 v6, 31, v6
	v_and_b32_e32 v2, v2, v28
	v_xor_b32_e32 v28, vcc_hi, v6
	v_xor_b32_e32 v6, vcc_lo, v6
	v_and_b32_e32 v4, v4, v6
	v_lshlrev_b32_e32 v6, 28, v1
	v_cmp_gt_i64_e32 vcc, 0, v[5:6]
	v_not_b32_e32 v6, v6
	v_ashrrev_i32_e32 v6, 31, v6
	v_and_b32_e32 v2, v2, v28
	v_xor_b32_e32 v28, vcc_hi, v6
	v_xor_b32_e32 v6, vcc_lo, v6
	v_and_b32_e32 v4, v4, v6
	v_lshlrev_b32_e32 v6, 27, v1
	v_cmp_gt_i64_e32 vcc, 0, v[5:6]
	v_not_b32_e32 v6, v6
	v_ashrrev_i32_e32 v6, 31, v6
	v_and_b32_e32 v2, v2, v28
	v_xor_b32_e32 v28, vcc_hi, v6
	v_xor_b32_e32 v6, vcc_lo, v6
	v_and_b32_e32 v4, v4, v6
	v_lshlrev_b32_e32 v6, 26, v1
	v_cmp_gt_i64_e32 vcc, 0, v[5:6]
	v_not_b32_e32 v6, v6
	v_ashrrev_i32_e32 v6, 31, v6
	v_and_b32_e32 v2, v2, v28
	v_xor_b32_e32 v28, vcc_hi, v6
	v_xor_b32_e32 v6, vcc_lo, v6
	v_and_b32_e32 v4, v4, v6
	v_lshlrev_b32_e32 v6, 25, v1
	v_cmp_gt_i64_e32 vcc, 0, v[5:6]
	v_not_b32_e32 v6, v6
	v_ashrrev_i32_e32 v6, 31, v6
	v_and_b32_e32 v2, v2, v28
	v_xor_b32_e32 v28, vcc_hi, v6
	v_xor_b32_e32 v6, vcc_lo, v6
	v_and_b32_e32 v4, v4, v6
	v_lshlrev_b32_e32 v6, 24, v1
	v_lshlrev_b32_sdwa v3, v15, v1 dst_sel:DWORD dst_unused:UNUSED_PAD src0_sel:DWORD src1_sel:BYTE_0
	v_cmp_gt_i64_e32 vcc, 0, v[5:6]
	v_not_b32_e32 v1, v6
	v_ashrrev_i32_e32 v1, 31, v1
	v_xor_b32_e32 v6, vcc_hi, v1
	v_xor_b32_e32 v1, vcc_lo, v1
	s_waitcnt lgkmcnt(0)
	s_barrier
	ds_read_b64 v[13:14], v23
	v_and_b32_e32 v2, v2, v28
	v_and_b32_e32 v1, v4, v1
	;; [unrolled: 1-line block ×3, first 2 shown]
	v_mbcnt_lo_u32_b32 v4, v1, 0
	v_mbcnt_hi_u32_b32 v6, v2, v4
	v_cmp_ne_u64_e32 vcc, 0, v[1:2]
	v_cmp_eq_u32_e64 s[28:29], 0, v6
	s_and_b64 s[42:43], s[28:29], vcc
	v_add_u32_e32 v28, v27, v3
	s_waitcnt lgkmcnt(0)
	s_barrier
	ds_write2_b64 v20, v[7:8], v[9:10] offset0:4 offset1:5
	s_waitcnt lgkmcnt(0)
	s_barrier
	; wave barrier
	s_and_saveexec_b64 s[28:29], s[42:43]
; %bb.11:                               ;   in Loop: Header=BB185_2 Depth=1
	v_bcnt_u32_b32 v1, v1, 0
	v_bcnt_u32_b32 v1, v2, v1
	ds_write_b32 v28, v1 offset:32
; %bb.12:                               ;   in Loop: Header=BB185_2 Depth=1
	s_or_b64 exec, exec, s[28:29]
	; wave barrier
	s_waitcnt lgkmcnt(0)
	s_barrier
	ds_read2_b64 v[1:4], v20 offset0:4 offset1:5
	s_waitcnt lgkmcnt(0)
	v_add_u32_e32 v29, v2, v1
	v_add3_u32 v4, v29, v3, v4
	s_nop 1
	v_mov_b32_dpp v29, v4 row_shr:1 row_mask:0xf bank_mask:0xf
	v_cndmask_b32_e64 v29, v29, 0, s[10:11]
	v_add_u32_e32 v4, v29, v4
	s_nop 1
	v_mov_b32_dpp v29, v4 row_shr:2 row_mask:0xf bank_mask:0xf
	v_cndmask_b32_e64 v29, 0, v29, s[12:13]
	v_add_u32_e32 v4, v4, v29
	;; [unrolled: 4-line block ×4, first 2 shown]
	s_nop 1
	v_mov_b32_dpp v29, v4 row_bcast:15 row_mask:0xf bank_mask:0xf
	v_cndmask_b32_e64 v29, v29, 0, s[18:19]
	v_add_u32_e32 v4, v4, v29
	s_nop 1
	v_mov_b32_dpp v29, v4 row_bcast:31 row_mask:0xf bank_mask:0xf
	v_cndmask_b32_e64 v29, 0, v29, s[8:9]
	v_add_u32_e32 v4, v4, v29
	s_and_saveexec_b64 s[28:29], s[20:21]
; %bb.13:                               ;   in Loop: Header=BB185_2 Depth=1
	ds_write_b32 v21, v4
; %bb.14:                               ;   in Loop: Header=BB185_2 Depth=1
	s_or_b64 exec, exec, s[28:29]
	s_waitcnt lgkmcnt(0)
	s_barrier
	s_and_saveexec_b64 s[28:29], s[0:1]
	s_cbranch_execz .LBB185_16
; %bb.15:                               ;   in Loop: Header=BB185_2 Depth=1
	ds_read_b32 v29, v22
	s_waitcnt lgkmcnt(0)
	s_nop 0
	v_mov_b32_dpp v30, v29 row_shr:1 row_mask:0xf bank_mask:0xf
	v_cndmask_b32_e64 v30, v30, 0, s[22:23]
	v_add_u32_e32 v29, v30, v29
	s_nop 1
	v_mov_b32_dpp v30, v29 row_shr:2 row_mask:0xf bank_mask:0xf
	v_cndmask_b32_e64 v30, 0, v30, s[24:25]
	v_add_u32_e32 v29, v29, v30
	;; [unrolled: 4-line block ×3, first 2 shown]
	ds_write_b32 v22, v29
.LBB185_16:                             ;   in Loop: Header=BB185_2 Depth=1
	s_or_b64 exec, exec, s[28:29]
	v_mov_b32_e32 v29, 0
	s_waitcnt lgkmcnt(0)
	s_barrier
	s_and_saveexec_b64 s[28:29], s[2:3]
; %bb.17:                               ;   in Loop: Header=BB185_2 Depth=1
	ds_read_b32 v29, v25
; %bb.18:                               ;   in Loop: Header=BB185_2 Depth=1
	s_or_b64 exec, exec, s[28:29]
	s_waitcnt lgkmcnt(0)
	v_add_u32_e32 v4, v29, v4
	ds_bpermute_b32 v4, v26, v4
	s_waitcnt lgkmcnt(0)
	v_cndmask_b32_e64 v4, v4, v29, s[6:7]
	v_cndmask_b32_e64 v29, v4, 0, s[4:5]
	v_add_u32_e32 v30, v29, v1
	v_add_u32_e32 v1, v30, v2
	;; [unrolled: 1-line block ×3, first 2 shown]
	ds_write2_b64 v20, v[29:30], v[1:2] offset0:4 offset1:5
	s_waitcnt lgkmcnt(0)
	s_barrier
	ds_read_b32 v1, v28 offset:32
	v_lshlrev_b32_e32 v2, 3, v6
	s_waitcnt lgkmcnt(0)
	s_barrier
	v_lshl_add_u32 v1, v1, 3, v2
	ds_write_b64 v1, v[11:12]
	s_waitcnt lgkmcnt(0)
	s_barrier
	ds_read_b64 v[11:12], v23
	s_waitcnt lgkmcnt(0)
	s_barrier
	ds_write_b64 v1, v[13:14]
	v_and_b32_sdwa v1, v12, s33 dst_sel:DWORD dst_unused:UNUSED_PAD src0_sel:WORD_1 src1_sel:DWORD
	v_lshlrev_b32_e32 v3, 5, v1
	v_mov_b32_e32 v1, 1
	v_and_b32_sdwa v1, v12, v1 dst_sel:DWORD dst_unused:UNUSED_PAD src0_sel:WORD_1 src1_sel:DWORD
	v_add_co_u32_e32 v2, vcc, -1, v1
	v_addc_co_u32_e64 v4, s[28:29], 0, -1, vcc
	v_cmp_ne_u32_e32 vcc, 0, v1
	v_xor_b32_e32 v1, vcc_hi, v4
	v_mov_b32_e32 v4, 30
	v_lshlrev_b32_sdwa v6, v4, v12 dst_sel:DWORD dst_unused:UNUSED_PAD src0_sel:DWORD src1_sel:WORD_1
	v_xor_b32_e32 v2, vcc_lo, v2
	v_cmp_gt_i64_e32 vcc, 0, v[5:6]
	v_not_b32_e32 v4, v6
	v_ashrrev_i32_e32 v4, 31, v4
	v_and_b32_e32 v2, exec_lo, v2
	v_xor_b32_e32 v6, vcc_hi, v4
	v_xor_b32_e32 v4, vcc_lo, v4
	v_and_b32_e32 v1, exec_hi, v1
	v_and_b32_e32 v2, v2, v4
	v_mov_b32_e32 v4, 29
	v_and_b32_e32 v1, v1, v6
	v_lshlrev_b32_sdwa v6, v4, v12 dst_sel:DWORD dst_unused:UNUSED_PAD src0_sel:DWORD src1_sel:WORD_1
	v_cmp_gt_i64_e32 vcc, 0, v[5:6]
	v_not_b32_e32 v4, v6
	v_ashrrev_i32_e32 v4, 31, v4
	v_xor_b32_e32 v6, vcc_hi, v4
	v_xor_b32_e32 v4, vcc_lo, v4
	v_and_b32_e32 v2, v2, v4
	v_mov_b32_e32 v4, 28
	v_and_b32_e32 v1, v1, v6
	v_lshlrev_b32_sdwa v6, v4, v12 dst_sel:DWORD dst_unused:UNUSED_PAD src0_sel:DWORD src1_sel:WORD_1
	v_cmp_gt_i64_e32 vcc, 0, v[5:6]
	v_not_b32_e32 v4, v6
	v_ashrrev_i32_e32 v4, 31, v4
	v_xor_b32_e32 v6, vcc_hi, v4
	v_xor_b32_e32 v4, vcc_lo, v4
	v_and_b32_e32 v1, v1, v6
	v_lshlrev_b32_sdwa v6, v16, v12 dst_sel:DWORD dst_unused:UNUSED_PAD src0_sel:DWORD src1_sel:WORD_1
	v_and_b32_e32 v2, v2, v4
	v_cmp_gt_i64_e32 vcc, 0, v[5:6]
	v_not_b32_e32 v4, v6
	v_ashrrev_i32_e32 v4, 31, v4
	v_xor_b32_e32 v6, vcc_hi, v4
	v_xor_b32_e32 v4, vcc_lo, v4
	v_and_b32_e32 v1, v1, v6
	v_lshlrev_b32_sdwa v6, v17, v12 dst_sel:DWORD dst_unused:UNUSED_PAD src0_sel:DWORD src1_sel:WORD_1
	v_and_b32_e32 v2, v2, v4
	;; [unrolled: 8-line block ×4, first 2 shown]
	v_cmp_gt_i64_e32 vcc, 0, v[5:6]
	v_not_b32_e32 v2, v6
	v_ashrrev_i32_e32 v2, 31, v2
	v_xor_b32_e32 v6, vcc_hi, v2
	v_xor_b32_e32 v28, vcc_lo, v2
	s_waitcnt lgkmcnt(0)
	s_barrier
	ds_read_b64 v[13:14], v23
	v_and_b32_e32 v2, v1, v6
	v_and_b32_e32 v1, v4, v28
	v_mbcnt_lo_u32_b32 v4, v1, 0
	v_mbcnt_hi_u32_b32 v6, v2, v4
	v_cmp_ne_u64_e32 vcc, 0, v[1:2]
	v_cmp_eq_u32_e64 s[28:29], 0, v6
	s_and_b64 s[42:43], s[28:29], vcc
	v_add_u32_e32 v28, v27, v3
	s_waitcnt lgkmcnt(0)
	s_barrier
	ds_write2_b64 v20, v[7:8], v[9:10] offset0:4 offset1:5
	s_waitcnt lgkmcnt(0)
	s_barrier
	; wave barrier
	s_and_saveexec_b64 s[28:29], s[42:43]
; %bb.19:                               ;   in Loop: Header=BB185_2 Depth=1
	v_bcnt_u32_b32 v1, v1, 0
	v_bcnt_u32_b32 v1, v2, v1
	ds_write_b32 v28, v1 offset:32
; %bb.20:                               ;   in Loop: Header=BB185_2 Depth=1
	s_or_b64 exec, exec, s[28:29]
	; wave barrier
	s_waitcnt lgkmcnt(0)
	s_barrier
	ds_read2_b64 v[1:4], v20 offset0:4 offset1:5
	s_waitcnt lgkmcnt(0)
	v_add_u32_e32 v29, v2, v1
	v_add3_u32 v4, v29, v3, v4
	s_nop 1
	v_mov_b32_dpp v29, v4 row_shr:1 row_mask:0xf bank_mask:0xf
	v_cndmask_b32_e64 v29, v29, 0, s[10:11]
	v_add_u32_e32 v4, v29, v4
	s_nop 1
	v_mov_b32_dpp v29, v4 row_shr:2 row_mask:0xf bank_mask:0xf
	v_cndmask_b32_e64 v29, 0, v29, s[12:13]
	v_add_u32_e32 v4, v4, v29
	s_nop 1
	v_mov_b32_dpp v29, v4 row_shr:4 row_mask:0xf bank_mask:0xf
	v_cndmask_b32_e64 v29, 0, v29, s[14:15]
	v_add_u32_e32 v4, v4, v29
	s_nop 1
	v_mov_b32_dpp v29, v4 row_shr:8 row_mask:0xf bank_mask:0xf
	v_cndmask_b32_e64 v29, 0, v29, s[16:17]
	v_add_u32_e32 v4, v4, v29
	s_nop 1
	v_mov_b32_dpp v29, v4 row_bcast:15 row_mask:0xf bank_mask:0xf
	v_cndmask_b32_e64 v29, v29, 0, s[18:19]
	v_add_u32_e32 v4, v4, v29
	s_nop 1
	v_mov_b32_dpp v29, v4 row_bcast:31 row_mask:0xf bank_mask:0xf
	v_cndmask_b32_e64 v29, 0, v29, s[8:9]
	v_add_u32_e32 v4, v4, v29
	s_and_saveexec_b64 s[28:29], s[20:21]
; %bb.21:                               ;   in Loop: Header=BB185_2 Depth=1
	ds_write_b32 v21, v4
; %bb.22:                               ;   in Loop: Header=BB185_2 Depth=1
	s_or_b64 exec, exec, s[28:29]
	s_waitcnt lgkmcnt(0)
	s_barrier
	s_and_saveexec_b64 s[28:29], s[0:1]
	s_cbranch_execz .LBB185_24
; %bb.23:                               ;   in Loop: Header=BB185_2 Depth=1
	ds_read_b32 v29, v22
	s_waitcnt lgkmcnt(0)
	s_nop 0
	v_mov_b32_dpp v30, v29 row_shr:1 row_mask:0xf bank_mask:0xf
	v_cndmask_b32_e64 v30, v30, 0, s[22:23]
	v_add_u32_e32 v29, v30, v29
	s_nop 1
	v_mov_b32_dpp v30, v29 row_shr:2 row_mask:0xf bank_mask:0xf
	v_cndmask_b32_e64 v30, 0, v30, s[24:25]
	v_add_u32_e32 v29, v29, v30
	;; [unrolled: 4-line block ×3, first 2 shown]
	ds_write_b32 v22, v29
.LBB185_24:                             ;   in Loop: Header=BB185_2 Depth=1
	s_or_b64 exec, exec, s[28:29]
	v_mov_b32_e32 v29, 0
	s_waitcnt lgkmcnt(0)
	s_barrier
	s_and_saveexec_b64 s[28:29], s[2:3]
; %bb.25:                               ;   in Loop: Header=BB185_2 Depth=1
	ds_read_b32 v29, v25
; %bb.26:                               ;   in Loop: Header=BB185_2 Depth=1
	s_or_b64 exec, exec, s[28:29]
	s_waitcnt lgkmcnt(0)
	v_add_u32_e32 v4, v29, v4
	ds_bpermute_b32 v4, v26, v4
	s_mov_b32 s41, 24
	s_mov_b32 s42, 8
	s_waitcnt lgkmcnt(0)
	v_cndmask_b32_e64 v4, v4, v29, s[6:7]
	v_cndmask_b32_e64 v29, v4, 0, s[4:5]
	v_add_u32_e32 v30, v29, v1
	v_add_u32_e32 v1, v30, v2
	;; [unrolled: 1-line block ×3, first 2 shown]
	ds_write2_b64 v20, v[29:30], v[1:2] offset0:4 offset1:5
	s_waitcnt lgkmcnt(0)
	s_barrier
	ds_read_b32 v1, v28 offset:32
	v_lshlrev_b32_e32 v2, 3, v6
	s_waitcnt lgkmcnt(0)
	s_barrier
	v_lshl_add_u32 v1, v1, 3, v2
	ds_write_b64 v1, v[11:12]
	s_waitcnt lgkmcnt(0)
	s_barrier
	ds_read_b64 v[11:12], v23
	s_waitcnt lgkmcnt(0)
	s_barrier
	ds_write_b64 v1, v[13:14]
	s_waitcnt lgkmcnt(0)
	s_barrier
	ds_read_b64 v[13:14], v23
	s_waitcnt lgkmcnt(0)
	s_barrier
	s_branch .LBB185_28
.LBB185_27:                             ;   in Loop: Header=BB185_28 Depth=2
	s_barrier
	ds_write_b64 v6, v[3:4]
	s_waitcnt lgkmcnt(0)
	s_barrier
	ds_read_b64 v[11:12], v23
	s_waitcnt lgkmcnt(0)
	s_barrier
	ds_write_b64 v6, v[1:2]
	s_waitcnt lgkmcnt(0)
	s_barrier
	ds_read_b64 v[13:14], v23
	s_add_i32 s42, s42, -8
	s_add_i32 s41, s41, 8
	s_waitcnt lgkmcnt(0)
	s_barrier
	s_cbranch_execz .LBB185_1
.LBB185_28:                             ;   Parent Loop BB185_2 Depth=1
                                        ; =>  This Inner Loop Header: Depth=2
	s_cmp_lt_u32 s41, 32
	s_cselect_b64 vcc, -1, 0
	s_cmp_gt_u32 s41, 31
	s_cselect_b64 s[28:29], -1, 0
	s_max_i32 s43, s42, 0
	s_max_i32 s44, s41, 32
	s_sub_i32 s45, s44, 32
	s_sub_i32 s44, s44, s43
	;; [unrolled: 1-line block ×3, first 2 shown]
	s_min_i32 s44, s44, 32
	s_sub_i32 s44, s44, s45
	s_lshl_b32 s46, -1, s44
	v_mov_b32_e32 v1, s36
	v_mov_b32_e32 v3, s38
	s_not_b32 s46, s46
	v_mov_b32_e32 v2, s37
	v_mov_b32_e32 v4, s39
	s_cmp_lg_u32 s44, 32
	ds_write2_b64 v20, v[1:2], v[3:4] offset0:4 offset1:5
	s_cselect_b32 s44, s46, -1
	v_lshrrev_b32_e32 v2, s45, v11
	v_lshrrev_b32_e32 v1, s41, v12
	v_and_b32_e32 v2, s44, v2
	v_bfe_u32 v1, v1, 0, s42
	v_lshlrev_b32_e32 v2, s43, v2
	v_cndmask_b32_e32 v1, 0, v1, vcc
	v_cndmask_b32_e64 v2, 0, v2, s[28:29]
	v_or_b32_e32 v1, v1, v2
	v_and_b32_e32 v2, 1, v1
	v_add_co_u32_e32 v4, vcc, -1, v2
	v_addc_co_u32_e64 v6, s[28:29], 0, -1, vcc
	v_cmp_ne_u32_e32 vcc, 0, v2
	v_xor_b32_e32 v2, vcc_hi, v6
	v_lshlrev_b32_e32 v6, 30, v1
	v_xor_b32_e32 v4, vcc_lo, v4
	v_cmp_gt_i64_e32 vcc, 0, v[5:6]
	v_not_b32_e32 v6, v6
	v_ashrrev_i32_e32 v6, 31, v6
	v_and_b32_e32 v4, exec_lo, v4
	v_xor_b32_e32 v28, vcc_hi, v6
	v_xor_b32_e32 v6, vcc_lo, v6
	v_and_b32_e32 v4, v4, v6
	v_lshlrev_b32_e32 v6, 29, v1
	v_cmp_gt_i64_e32 vcc, 0, v[5:6]
	v_not_b32_e32 v6, v6
	v_and_b32_e32 v2, exec_hi, v2
	v_ashrrev_i32_e32 v6, 31, v6
	v_and_b32_e32 v2, v2, v28
	v_xor_b32_e32 v28, vcc_hi, v6
	v_xor_b32_e32 v6, vcc_lo, v6
	v_and_b32_e32 v4, v4, v6
	v_lshlrev_b32_e32 v6, 28, v1
	v_cmp_gt_i64_e32 vcc, 0, v[5:6]
	v_not_b32_e32 v6, v6
	v_ashrrev_i32_e32 v6, 31, v6
	v_and_b32_e32 v2, v2, v28
	v_xor_b32_e32 v28, vcc_hi, v6
	v_xor_b32_e32 v6, vcc_lo, v6
	v_and_b32_e32 v4, v4, v6
	v_lshlrev_b32_e32 v6, 27, v1
	v_cmp_gt_i64_e32 vcc, 0, v[5:6]
	v_not_b32_e32 v6, v6
	;; [unrolled: 8-line block ×4, first 2 shown]
	v_ashrrev_i32_e32 v6, 31, v6
	v_and_b32_e32 v2, v2, v28
	v_xor_b32_e32 v28, vcc_hi, v6
	v_xor_b32_e32 v6, vcc_lo, v6
	v_and_b32_e32 v4, v4, v6
	v_lshlrev_b32_e32 v6, 24, v1
	v_lshlrev_b32_e32 v3, 5, v1
	v_cmp_gt_i64_e32 vcc, 0, v[5:6]
	v_not_b32_e32 v1, v6
	v_ashrrev_i32_e32 v1, 31, v1
	v_xor_b32_e32 v6, vcc_hi, v1
	v_xor_b32_e32 v1, vcc_lo, v1
	v_and_b32_e32 v2, v2, v28
	v_and_b32_e32 v1, v4, v1
	;; [unrolled: 1-line block ×3, first 2 shown]
	v_mbcnt_lo_u32_b32 v4, v1, 0
	v_mbcnt_hi_u32_b32 v6, v2, v4
	v_cmp_ne_u64_e32 vcc, 0, v[1:2]
	v_cmp_eq_u32_e64 s[28:29], 0, v6
	s_and_b64 s[44:45], s[28:29], vcc
	v_add_u32_e32 v28, v27, v3
	s_waitcnt lgkmcnt(0)
	s_barrier
	; wave barrier
	s_and_saveexec_b64 s[28:29], s[44:45]
; %bb.29:                               ;   in Loop: Header=BB185_28 Depth=2
	v_bcnt_u32_b32 v1, v1, 0
	v_bcnt_u32_b32 v1, v2, v1
	ds_write_b32 v28, v1 offset:32
; %bb.30:                               ;   in Loop: Header=BB185_28 Depth=2
	s_or_b64 exec, exec, s[28:29]
	; wave barrier
	s_waitcnt lgkmcnt(0)
	s_barrier
	ds_read2_b64 v[1:4], v20 offset0:4 offset1:5
	s_waitcnt lgkmcnt(0)
	v_add_u32_e32 v29, v2, v1
	v_add3_u32 v4, v29, v3, v4
	s_nop 1
	v_mov_b32_dpp v29, v4 row_shr:1 row_mask:0xf bank_mask:0xf
	v_cndmask_b32_e64 v29, v29, 0, s[10:11]
	v_add_u32_e32 v4, v29, v4
	s_nop 1
	v_mov_b32_dpp v29, v4 row_shr:2 row_mask:0xf bank_mask:0xf
	v_cndmask_b32_e64 v29, 0, v29, s[12:13]
	v_add_u32_e32 v4, v4, v29
	;; [unrolled: 4-line block ×4, first 2 shown]
	s_nop 1
	v_mov_b32_dpp v29, v4 row_bcast:15 row_mask:0xf bank_mask:0xf
	v_cndmask_b32_e64 v29, v29, 0, s[18:19]
	v_add_u32_e32 v4, v4, v29
	s_nop 1
	v_mov_b32_dpp v29, v4 row_bcast:31 row_mask:0xf bank_mask:0xf
	v_cndmask_b32_e64 v29, 0, v29, s[8:9]
	v_add_u32_e32 v4, v4, v29
	s_and_saveexec_b64 s[28:29], s[20:21]
; %bb.31:                               ;   in Loop: Header=BB185_28 Depth=2
	ds_write_b32 v21, v4
; %bb.32:                               ;   in Loop: Header=BB185_28 Depth=2
	s_or_b64 exec, exec, s[28:29]
	s_waitcnt lgkmcnt(0)
	s_barrier
	s_and_saveexec_b64 s[28:29], s[0:1]
	s_cbranch_execz .LBB185_34
; %bb.33:                               ;   in Loop: Header=BB185_28 Depth=2
	ds_read_b32 v29, v22
	s_waitcnt lgkmcnt(0)
	s_nop 0
	v_mov_b32_dpp v30, v29 row_shr:1 row_mask:0xf bank_mask:0xf
	v_cndmask_b32_e64 v30, v30, 0, s[22:23]
	v_add_u32_e32 v29, v30, v29
	s_nop 1
	v_mov_b32_dpp v30, v29 row_shr:2 row_mask:0xf bank_mask:0xf
	v_cndmask_b32_e64 v30, 0, v30, s[24:25]
	v_add_u32_e32 v29, v29, v30
	;; [unrolled: 4-line block ×3, first 2 shown]
	ds_write_b32 v22, v29
.LBB185_34:                             ;   in Loop: Header=BB185_28 Depth=2
	s_or_b64 exec, exec, s[28:29]
	v_mov_b32_e32 v29, 0
	s_waitcnt lgkmcnt(0)
	s_barrier
	s_and_saveexec_b64 s[28:29], s[2:3]
; %bb.35:                               ;   in Loop: Header=BB185_28 Depth=2
	ds_read_b32 v29, v25
; %bb.36:                               ;   in Loop: Header=BB185_28 Depth=2
	s_or_b64 exec, exec, s[28:29]
	s_waitcnt lgkmcnt(0)
	v_add_u32_e32 v4, v29, v4
	ds_bpermute_b32 v4, v26, v4
	s_cmp_gt_u32 s41, 55
	s_waitcnt lgkmcnt(0)
	v_cndmask_b32_e64 v4, v4, v29, s[6:7]
	v_cndmask_b32_e64 v29, v4, 0, s[4:5]
	v_add_u32_e32 v30, v29, v1
	v_add_u32_e32 v1, v30, v2
	;; [unrolled: 1-line block ×3, first 2 shown]
	ds_write2_b64 v20, v[29:30], v[1:2] offset0:4 offset1:5
	s_waitcnt lgkmcnt(0)
	s_barrier
	ds_read_b32 v1, v28 offset:32
	v_lshlrev_b32_e32 v2, 3, v6
	v_mov_b32_e32 v3, v11
	v_mov_b32_e32 v4, v12
	s_waitcnt lgkmcnt(0)
	v_lshl_add_u32 v6, v1, 3, v2
	v_mov_b32_e32 v1, v13
	v_mov_b32_e32 v2, v14
	s_cbranch_scc0 .LBB185_27
; %bb.37:                               ;   in Loop: Header=BB185_2 Depth=1
                                        ; implicit-def: $sgpr41
                                        ; implicit-def: $vgpr13
                                        ; implicit-def: $vgpr11
                                        ; implicit-def: $sgpr42
	s_branch .LBB185_1
.LBB185_38:
	s_brev_b32 s0, 1
	s_waitcnt lgkmcnt(0)
	v_add3_u32 v1, v13, v11, s0
	v_add3_u32 v2, v14, v12, s0
	s_add_u32 s0, s30, s34
	s_addc_u32 s1, s31, s35
	v_lshlrev_b32_e32 v0, 3, v0
	global_store_dwordx2 v0, v[1:2], s[0:1]
	s_endpgm
	.section	.rodata,"a",@progbits
	.p2align	6, 0x0
	.amdhsa_kernel _Z17sort_pairs_kernelI22helper_blocked_blockedN15benchmark_utils11custom_typeIiiEELj512ELj1ELj10EEvPKT0_PS4_
		.amdhsa_group_segment_fixed_size 8224
		.amdhsa_private_segment_fixed_size 0
		.amdhsa_kernarg_size 272
		.amdhsa_user_sgpr_count 6
		.amdhsa_user_sgpr_private_segment_buffer 1
		.amdhsa_user_sgpr_dispatch_ptr 0
		.amdhsa_user_sgpr_queue_ptr 0
		.amdhsa_user_sgpr_kernarg_segment_ptr 1
		.amdhsa_user_sgpr_dispatch_id 0
		.amdhsa_user_sgpr_flat_scratch_init 0
		.amdhsa_user_sgpr_private_segment_size 0
		.amdhsa_uses_dynamic_stack 0
		.amdhsa_system_sgpr_private_segment_wavefront_offset 0
		.amdhsa_system_sgpr_workgroup_id_x 1
		.amdhsa_system_sgpr_workgroup_id_y 0
		.amdhsa_system_sgpr_workgroup_id_z 0
		.amdhsa_system_sgpr_workgroup_info 0
		.amdhsa_system_vgpr_workitem_id 2
		.amdhsa_next_free_vgpr 31
		.amdhsa_next_free_sgpr 47
		.amdhsa_reserve_vcc 1
		.amdhsa_reserve_flat_scratch 0
		.amdhsa_float_round_mode_32 0
		.amdhsa_float_round_mode_16_64 0
		.amdhsa_float_denorm_mode_32 3
		.amdhsa_float_denorm_mode_16_64 3
		.amdhsa_dx10_clamp 1
		.amdhsa_ieee_mode 1
		.amdhsa_fp16_overflow 0
		.amdhsa_exception_fp_ieee_invalid_op 0
		.amdhsa_exception_fp_denorm_src 0
		.amdhsa_exception_fp_ieee_div_zero 0
		.amdhsa_exception_fp_ieee_overflow 0
		.amdhsa_exception_fp_ieee_underflow 0
		.amdhsa_exception_fp_ieee_inexact 0
		.amdhsa_exception_int_div_zero 0
	.end_amdhsa_kernel
	.section	.text._Z17sort_pairs_kernelI22helper_blocked_blockedN15benchmark_utils11custom_typeIiiEELj512ELj1ELj10EEvPKT0_PS4_,"axG",@progbits,_Z17sort_pairs_kernelI22helper_blocked_blockedN15benchmark_utils11custom_typeIiiEELj512ELj1ELj10EEvPKT0_PS4_,comdat
.Lfunc_end185:
	.size	_Z17sort_pairs_kernelI22helper_blocked_blockedN15benchmark_utils11custom_typeIiiEELj512ELj1ELj10EEvPKT0_PS4_, .Lfunc_end185-_Z17sort_pairs_kernelI22helper_blocked_blockedN15benchmark_utils11custom_typeIiiEELj512ELj1ELj10EEvPKT0_PS4_
                                        ; -- End function
	.set _Z17sort_pairs_kernelI22helper_blocked_blockedN15benchmark_utils11custom_typeIiiEELj512ELj1ELj10EEvPKT0_PS4_.num_vgpr, 31
	.set _Z17sort_pairs_kernelI22helper_blocked_blockedN15benchmark_utils11custom_typeIiiEELj512ELj1ELj10EEvPKT0_PS4_.num_agpr, 0
	.set _Z17sort_pairs_kernelI22helper_blocked_blockedN15benchmark_utils11custom_typeIiiEELj512ELj1ELj10EEvPKT0_PS4_.numbered_sgpr, 47
	.set _Z17sort_pairs_kernelI22helper_blocked_blockedN15benchmark_utils11custom_typeIiiEELj512ELj1ELj10EEvPKT0_PS4_.num_named_barrier, 0
	.set _Z17sort_pairs_kernelI22helper_blocked_blockedN15benchmark_utils11custom_typeIiiEELj512ELj1ELj10EEvPKT0_PS4_.private_seg_size, 0
	.set _Z17sort_pairs_kernelI22helper_blocked_blockedN15benchmark_utils11custom_typeIiiEELj512ELj1ELj10EEvPKT0_PS4_.uses_vcc, 1
	.set _Z17sort_pairs_kernelI22helper_blocked_blockedN15benchmark_utils11custom_typeIiiEELj512ELj1ELj10EEvPKT0_PS4_.uses_flat_scratch, 0
	.set _Z17sort_pairs_kernelI22helper_blocked_blockedN15benchmark_utils11custom_typeIiiEELj512ELj1ELj10EEvPKT0_PS4_.has_dyn_sized_stack, 0
	.set _Z17sort_pairs_kernelI22helper_blocked_blockedN15benchmark_utils11custom_typeIiiEELj512ELj1ELj10EEvPKT0_PS4_.has_recursion, 0
	.set _Z17sort_pairs_kernelI22helper_blocked_blockedN15benchmark_utils11custom_typeIiiEELj512ELj1ELj10EEvPKT0_PS4_.has_indirect_call, 0
	.section	.AMDGPU.csdata,"",@progbits
; Kernel info:
; codeLenInByte = 4096
; TotalNumSgprs: 51
; NumVgprs: 31
; ScratchSize: 0
; MemoryBound: 0
; FloatMode: 240
; IeeeMode: 1
; LDSByteSize: 8224 bytes/workgroup (compile time only)
; SGPRBlocks: 6
; VGPRBlocks: 7
; NumSGPRsForWavesPerEU: 51
; NumVGPRsForWavesPerEU: 31
; Occupancy: 8
; WaveLimiterHint : 0
; COMPUTE_PGM_RSRC2:SCRATCH_EN: 0
; COMPUTE_PGM_RSRC2:USER_SGPR: 6
; COMPUTE_PGM_RSRC2:TRAP_HANDLER: 0
; COMPUTE_PGM_RSRC2:TGID_X_EN: 1
; COMPUTE_PGM_RSRC2:TGID_Y_EN: 0
; COMPUTE_PGM_RSRC2:TGID_Z_EN: 0
; COMPUTE_PGM_RSRC2:TIDIG_COMP_CNT: 2
	.section	.text._Z16sort_keys_kernelI22helper_blocked_blockedN15benchmark_utils11custom_typeIiiEELj512ELj3ELj10EEvPKT0_PS4_,"axG",@progbits,_Z16sort_keys_kernelI22helper_blocked_blockedN15benchmark_utils11custom_typeIiiEELj512ELj3ELj10EEvPKT0_PS4_,comdat
	.protected	_Z16sort_keys_kernelI22helper_blocked_blockedN15benchmark_utils11custom_typeIiiEELj512ELj3ELj10EEvPKT0_PS4_ ; -- Begin function _Z16sort_keys_kernelI22helper_blocked_blockedN15benchmark_utils11custom_typeIiiEELj512ELj3ELj10EEvPKT0_PS4_
	.globl	_Z16sort_keys_kernelI22helper_blocked_blockedN15benchmark_utils11custom_typeIiiEELj512ELj3ELj10EEvPKT0_PS4_
	.p2align	8
	.type	_Z16sort_keys_kernelI22helper_blocked_blockedN15benchmark_utils11custom_typeIiiEELj512ELj3ELj10EEvPKT0_PS4_,@function
_Z16sort_keys_kernelI22helper_blocked_blockedN15benchmark_utils11custom_typeIiiEELj512ELj3ELj10EEvPKT0_PS4_: ; @_Z16sort_keys_kernelI22helper_blocked_blockedN15benchmark_utils11custom_typeIiiEELj512ELj3ELj10EEvPKT0_PS4_
; %bb.0:
	s_load_dwordx4 s[36:39], s[4:5], 0x0
	s_load_dword s2, s[4:5], 0x1c
	s_mul_i32 s40, s6, 0x600
	s_mov_b32 s41, 0
	s_lshl_b64 s[42:43], s[40:41], 3
	s_waitcnt lgkmcnt(0)
	s_add_u32 s0, s36, s42
	s_addc_u32 s1, s37, s43
	v_lshlrev_b32_e32 v7, 3, v0
	v_mov_b32_e32 v3, s1
	v_add_co_u32_e32 v4, vcc, s0, v7
	v_addc_co_u32_e32 v3, vcc, 0, v3, vcc
	s_movk_i32 s3, 0x2000
	v_add_co_u32_e32 v5, vcc, s3, v4
	v_addc_co_u32_e32 v6, vcc, 0, v3, vcc
	global_load_dwordx2 v[13:14], v7, s[0:1]
	global_load_dwordx2 v[11:12], v[5:6], off offset:-4096
	global_load_dwordx2 v[3:4], v[5:6], off
	s_lshr_b32 s0, s2, 16
	v_mbcnt_lo_u32_b32 v6, -1, 0
	s_and_b32 s1, s2, 0xffff
	v_mad_u32_u24 v1, v2, s0, v1
	v_mbcnt_hi_u32_b32 v6, -1, v6
	v_mad_u64_u32 v[1:2], s[0:1], v1, s1, v[0:1]
	v_lshrrev_b32_e32 v7, 6, v0
	v_and_b32_e32 v2, 15, v6
	v_mul_u32_u24_e32 v8, 0xc0, v7
	v_cmp_eq_u32_e64 s[0:1], 0, v2
	v_cmp_lt_u32_e64 s[2:3], 1, v2
	v_cmp_lt_u32_e64 s[4:5], 3, v2
	;; [unrolled: 1-line block ×3, first 2 shown]
	v_and_b32_e32 v2, 16, v6
	v_lshlrev_b32_e32 v8, 3, v8
	v_lshlrev_b32_e32 v9, 3, v6
	v_cmp_eq_u32_e64 s[8:9], 0, v2
	v_and_b32_e32 v2, 0x1c0, v0
	v_mad_u32_u24 v19, v6, 24, v8
	v_add_u32_e32 v20, v9, v8
	v_or_b32_e32 v8, 63, v2
	v_cmp_eq_u32_e64 s[10:11], v0, v8
	v_subrev_co_u32_e64 v8, s[12:13], 1, v6
	v_and_b32_e32 v10, 64, v6
	v_cmp_lt_i32_e32 vcc, v8, v10
	v_lshlrev_b32_e32 v21, 4, v0
	v_cndmask_b32_e32 v8, v8, v6, vcc
	v_lshrrev_b32_e32 v1, 4, v1
	v_mul_u32_u24_e32 v2, 24, v2
	s_mov_b32 s40, s41
	s_mov_b32 s28, s41
	v_cmp_lt_u32_e64 s[14:15], 31, v6
	v_lshlrev_b32_e32 v22, 2, v8
	v_lshlrev_b32_e32 v23, 2, v7
	v_and_b32_e32 v6, 7, v6
	v_mad_i32_i24 v24, v0, -12, v21
	v_and_b32_e32 v25, 0xffffffc, v1
	v_add_u32_e32 v26, v9, v2
	v_mul_u32_u24_e32 v1, 20, v0
	s_mov_b32 s29, s41
	v_mov_b32_e32 v7, s40
	v_mov_b32_e32 v9, s28
	;; [unrolled: 1-line block ×3, first 2 shown]
	v_cmp_gt_u32_e64 s[16:17], 8, v0
	v_cmp_lt_u32_e64 s[18:19], 63, v0
	v_cmp_eq_u32_e64 s[20:21], 0, v0
	v_cmp_eq_u32_e64 s[22:23], 0, v6
	v_cmp_lt_u32_e64 s[24:25], 1, v6
	v_cmp_lt_u32_e64 s[26:27], 3, v6
	v_add_u32_e32 v27, v24, v1
	v_mov_b32_e32 v8, s41
	v_mov_b32_e32 v10, s29
	s_branch .LBB186_2
.LBB186_1:                              ;   in Loop: Header=BB186_2 Depth=1
	s_barrier
	ds_write_b64 v29, v[15:16]
	ds_write_b64 v28, v[13:14]
	;; [unrolled: 1-line block ×3, first 2 shown]
	s_waitcnt lgkmcnt(0)
	s_barrier
	ds_read2_b64 v[1:4], v27 offset1:1
	ds_read_b64 v[15:16], v27 offset:16
	s_add_i32 s41, s41, 1
	s_cmp_eq_u32 s41, 10
	s_waitcnt lgkmcnt(1)
	v_xor_b32_e32 v13, 0x80000000, v1
	v_xor_b32_e32 v14, 0x80000000, v2
	;; [unrolled: 1-line block ×4, first 2 shown]
	s_waitcnt lgkmcnt(0)
	v_xor_b32_e32 v3, 0x80000000, v15
	v_xor_b32_e32 v4, 0x80000000, v16
	s_cbranch_scc1 .LBB186_18
.LBB186_2:                              ; =>This Loop Header: Depth=1
                                        ;     Child Loop BB186_4 Depth 2
	s_waitcnt vmcnt(2)
	v_xor_b32_e32 v2, 0x80000000, v14
	v_xor_b32_e32 v1, 0x80000000, v13
	s_waitcnt vmcnt(1)
	v_xor_b32_e32 v12, 0x80000000, v12
	v_xor_b32_e32 v11, 0x80000000, v11
	;; [unrolled: 3-line block ×3, first 2 shown]
	ds_write2_b64 v19, v[1:2], v[11:12] offset1:1
	ds_write_b64 v19, v[3:4] offset:16
	; wave barrier
	ds_read2st64_b64 v[1:4], v20 offset1:1
	ds_read_b64 v[17:18], v20 offset:1024
	s_mov_b32 s33, 8
	s_mov_b32 s36, 32
	;; [unrolled: 1-line block ×3, first 2 shown]
	s_waitcnt lgkmcnt(0)
	s_barrier
	; wave barrier
	s_barrier
	s_branch .LBB186_4
.LBB186_3:                              ;   in Loop: Header=BB186_4 Depth=2
	s_andn2_b64 vcc, exec, s[28:29]
	s_cbranch_vccz .LBB186_1
.LBB186_4:                              ;   Parent Loop BB186_2 Depth=1
                                        ; =>  This Inner Loop Header: Depth=2
	s_min_i32 s30, s33, 32
	s_cmp_lt_u32 s37, 32
	s_cselect_b64 s[28:29], -1, 0
	s_cmp_gt_u32 s37, 31
	s_cselect_b64 vcc, -1, 0
	s_sub_i32 s30, s30, 32
	s_add_i32 s31, s30, s36
	s_lshl_b32 s31, -1, s31
	s_not_b32 s31, s31
	s_cmp_lg_u32 s30, s37
	s_cselect_b32 s44, s31, -1
	s_max_i32 s40, s36, 0
	s_max_i32 s30, s37, 32
	s_sub_i32 s45, s30, 32
	s_sub_i32 s30, s30, s40
	;; [unrolled: 1-line block ×3, first 2 shown]
	s_min_i32 s30, s30, 32
	s_sub_i32 s30, s30, s45
	s_lshl_b32 s31, -1, s30
	v_mov_b32_e32 v16, v2
	s_not_b32 s31, s31
	v_mov_b32_e32 v15, v1
	s_cmp_lg_u32 s30, 32
	s_cselect_b32 s46, s31, -1
	v_lshrrev_b32_e32 v2, s45, v15
	v_lshrrev_b32_e32 v1, s37, v16
	v_and_b32_e32 v2, s46, v2
	v_and_b32_e32 v1, s44, v1
	v_lshlrev_b32_e32 v2, s40, v2
	v_cndmask_b32_e64 v1, 0, v1, s[28:29]
	v_cndmask_b32_e32 v2, 0, v2, vcc
	v_or_b32_e32 v1, v1, v2
	v_mov_b32_e32 v14, v4
	v_and_b32_e32 v2, 1, v1
	v_mov_b32_e32 v13, v3
	v_add_co_u32_e64 v4, s[30:31], -1, v2
	v_addc_co_u32_e64 v6, s[30:31], 0, -1, s[30:31]
	v_cmp_ne_u32_e64 s[30:31], 0, v2
	v_xor_b32_e32 v2, s31, v6
	v_lshlrev_b32_e32 v6, 30, v1
	v_xor_b32_e32 v4, s30, v4
	v_cmp_gt_i64_e64 s[30:31], 0, v[5:6]
	v_not_b32_e32 v6, v6
	v_mov_b32_e32 v11, v17
	v_ashrrev_i32_e32 v6, 31, v6
	v_mov_b32_e32 v12, v18
	v_and_b32_e32 v4, exec_lo, v4
	v_xor_b32_e32 v17, s31, v6
	v_xor_b32_e32 v6, s30, v6
	v_and_b32_e32 v4, v4, v6
	v_lshlrev_b32_e32 v6, 29, v1
	v_cmp_gt_i64_e64 s[30:31], 0, v[5:6]
	v_not_b32_e32 v6, v6
	v_and_b32_e32 v2, exec_hi, v2
	v_ashrrev_i32_e32 v6, 31, v6
	v_and_b32_e32 v2, v2, v17
	v_xor_b32_e32 v17, s31, v6
	v_xor_b32_e32 v6, s30, v6
	v_and_b32_e32 v4, v4, v6
	v_lshlrev_b32_e32 v6, 28, v1
	v_cmp_gt_i64_e64 s[30:31], 0, v[5:6]
	v_not_b32_e32 v6, v6
	v_ashrrev_i32_e32 v6, 31, v6
	v_and_b32_e32 v2, v2, v17
	v_xor_b32_e32 v17, s31, v6
	v_xor_b32_e32 v6, s30, v6
	v_and_b32_e32 v4, v4, v6
	v_lshlrev_b32_e32 v6, 27, v1
	v_cmp_gt_i64_e64 s[30:31], 0, v[5:6]
	v_not_b32_e32 v6, v6
	;; [unrolled: 8-line block ×4, first 2 shown]
	v_ashrrev_i32_e32 v6, 31, v6
	v_and_b32_e32 v2, v2, v17
	v_xor_b32_e32 v17, s31, v6
	v_xor_b32_e32 v6, s30, v6
	v_and_b32_e32 v4, v4, v6
	v_lshlrev_b32_e32 v6, 24, v1
	v_lshlrev_b32_e32 v3, 5, v1
	v_cmp_gt_i64_e64 s[30:31], 0, v[5:6]
	v_not_b32_e32 v1, v6
	v_ashrrev_i32_e32 v1, 31, v1
	v_xor_b32_e32 v6, s31, v1
	v_xor_b32_e32 v1, s30, v1
	v_and_b32_e32 v2, v2, v17
	v_and_b32_e32 v1, v4, v1
	;; [unrolled: 1-line block ×3, first 2 shown]
	v_mbcnt_lo_u32_b32 v4, v1, 0
	v_mbcnt_hi_u32_b32 v17, v2, v4
	v_cmp_ne_u64_e64 s[30:31], 0, v[1:2]
	v_cmp_eq_u32_e64 s[34:35], 0, v17
	s_and_b64 s[34:35], s[34:35], s[30:31]
	v_add_u32_e32 v18, v25, v3
	ds_write2_b64 v21, v[7:8], v[9:10] offset0:4 offset1:5
	s_waitcnt lgkmcnt(0)
	s_barrier
	; wave barrier
	s_and_saveexec_b64 s[30:31], s[34:35]
; %bb.5:                                ;   in Loop: Header=BB186_4 Depth=2
	v_bcnt_u32_b32 v1, v1, 0
	v_bcnt_u32_b32 v1, v2, v1
	ds_write_b32 v18, v1 offset:32
; %bb.6:                                ;   in Loop: Header=BB186_4 Depth=2
	s_or_b64 exec, exec, s[30:31]
	v_lshrrev_b32_e32 v2, s45, v13
	v_lshrrev_b32_e32 v1, s37, v14
	v_and_b32_e32 v2, s46, v2
	v_and_b32_e32 v1, s44, v1
	v_lshlrev_b32_e32 v2, s40, v2
	v_cndmask_b32_e64 v1, 0, v1, s[28:29]
	v_cndmask_b32_e32 v2, 0, v2, vcc
	v_or_b32_e32 v1, v1, v2
	v_lshlrev_b32_e32 v2, 5, v1
	v_add_u32_e32 v29, v25, v2
	v_and_b32_e32 v2, 1, v1
	v_add_co_u32_e64 v3, s[30:31], -1, v2
	v_addc_co_u32_e64 v4, s[30:31], 0, -1, s[30:31]
	v_cmp_ne_u32_e64 s[30:31], 0, v2
	v_lshlrev_b32_e32 v6, 30, v1
	v_xor_b32_e32 v2, s31, v4
	v_xor_b32_e32 v3, s30, v3
	v_cmp_gt_i64_e64 s[30:31], 0, v[5:6]
	v_not_b32_e32 v4, v6
	v_ashrrev_i32_e32 v4, 31, v4
	v_and_b32_e32 v2, exec_hi, v2
	v_xor_b32_e32 v6, s31, v4
	v_and_b32_e32 v3, exec_lo, v3
	v_xor_b32_e32 v4, s30, v4
	v_and_b32_e32 v2, v2, v6
	v_lshlrev_b32_e32 v6, 29, v1
	v_and_b32_e32 v3, v3, v4
	v_cmp_gt_i64_e64 s[30:31], 0, v[5:6]
	v_not_b32_e32 v4, v6
	v_ashrrev_i32_e32 v4, 31, v4
	v_xor_b32_e32 v6, s31, v4
	v_xor_b32_e32 v4, s30, v4
	v_and_b32_e32 v2, v2, v6
	v_lshlrev_b32_e32 v6, 28, v1
	v_and_b32_e32 v3, v3, v4
	v_cmp_gt_i64_e64 s[30:31], 0, v[5:6]
	v_not_b32_e32 v4, v6
	v_ashrrev_i32_e32 v4, 31, v4
	v_xor_b32_e32 v6, s31, v4
	v_xor_b32_e32 v4, s30, v4
	v_and_b32_e32 v2, v2, v6
	v_lshlrev_b32_e32 v6, 27, v1
	v_and_b32_e32 v3, v3, v4
	v_cmp_gt_i64_e64 s[30:31], 0, v[5:6]
	v_not_b32_e32 v4, v6
	v_ashrrev_i32_e32 v4, 31, v4
	v_xor_b32_e32 v6, s31, v4
	v_xor_b32_e32 v4, s30, v4
	v_and_b32_e32 v2, v2, v6
	v_lshlrev_b32_e32 v6, 26, v1
	v_and_b32_e32 v3, v3, v4
	v_cmp_gt_i64_e64 s[30:31], 0, v[5:6]
	v_not_b32_e32 v4, v6
	v_ashrrev_i32_e32 v4, 31, v4
	v_xor_b32_e32 v6, s31, v4
	v_xor_b32_e32 v4, s30, v4
	v_and_b32_e32 v2, v2, v6
	v_lshlrev_b32_e32 v6, 25, v1
	v_and_b32_e32 v3, v3, v4
	v_cmp_gt_i64_e64 s[30:31], 0, v[5:6]
	v_not_b32_e32 v4, v6
	v_ashrrev_i32_e32 v4, 31, v4
	v_xor_b32_e32 v6, s31, v4
	v_and_b32_e32 v2, v2, v6
	v_lshlrev_b32_e32 v6, 24, v1
	v_xor_b32_e32 v4, s30, v4
	v_cmp_gt_i64_e64 s[30:31], 0, v[5:6]
	v_not_b32_e32 v1, v6
	v_ashrrev_i32_e32 v1, 31, v1
	v_and_b32_e32 v3, v3, v4
	v_xor_b32_e32 v4, s31, v1
	v_xor_b32_e32 v1, s30, v1
	; wave barrier
	ds_read_b32 v28, v29 offset:32
	v_and_b32_e32 v1, v3, v1
	v_and_b32_e32 v2, v2, v4
	v_mbcnt_lo_u32_b32 v3, v1, 0
	v_mbcnt_hi_u32_b32 v30, v2, v3
	v_cmp_ne_u64_e64 s[30:31], 0, v[1:2]
	v_cmp_eq_u32_e64 s[34:35], 0, v30
	s_and_b64 s[34:35], s[34:35], s[30:31]
	; wave barrier
	s_and_saveexec_b64 s[30:31], s[34:35]
	s_cbranch_execz .LBB186_8
; %bb.7:                                ;   in Loop: Header=BB186_4 Depth=2
	v_bcnt_u32_b32 v1, v1, 0
	v_bcnt_u32_b32 v1, v2, v1
	s_waitcnt lgkmcnt(0)
	v_add_u32_e32 v1, v28, v1
	ds_write_b32 v29, v1 offset:32
.LBB186_8:                              ;   in Loop: Header=BB186_4 Depth=2
	s_or_b64 exec, exec, s[30:31]
	v_lshrrev_b32_e32 v2, s45, v11
	v_lshrrev_b32_e32 v1, s37, v12
	v_and_b32_e32 v2, s46, v2
	v_and_b32_e32 v1, s44, v1
	v_lshlrev_b32_e32 v2, s40, v2
	v_cndmask_b32_e64 v1, 0, v1, s[28:29]
	v_cndmask_b32_e32 v2, 0, v2, vcc
	v_or_b32_e32 v1, v1, v2
	v_lshlrev_b32_e32 v2, 5, v1
	v_add_u32_e32 v32, v25, v2
	v_and_b32_e32 v2, 1, v1
	v_add_co_u32_e32 v3, vcc, -1, v2
	v_addc_co_u32_e64 v4, s[28:29], 0, -1, vcc
	v_cmp_ne_u32_e32 vcc, 0, v2
	v_lshlrev_b32_e32 v6, 30, v1
	v_xor_b32_e32 v2, vcc_hi, v4
	v_xor_b32_e32 v3, vcc_lo, v3
	v_cmp_gt_i64_e32 vcc, 0, v[5:6]
	v_not_b32_e32 v4, v6
	v_ashrrev_i32_e32 v4, 31, v4
	v_and_b32_e32 v2, exec_hi, v2
	v_xor_b32_e32 v6, vcc_hi, v4
	v_and_b32_e32 v3, exec_lo, v3
	v_xor_b32_e32 v4, vcc_lo, v4
	v_and_b32_e32 v2, v2, v6
	v_lshlrev_b32_e32 v6, 29, v1
	v_and_b32_e32 v3, v3, v4
	v_cmp_gt_i64_e32 vcc, 0, v[5:6]
	v_not_b32_e32 v4, v6
	v_ashrrev_i32_e32 v4, 31, v4
	v_xor_b32_e32 v6, vcc_hi, v4
	v_xor_b32_e32 v4, vcc_lo, v4
	v_and_b32_e32 v2, v2, v6
	v_lshlrev_b32_e32 v6, 28, v1
	v_and_b32_e32 v3, v3, v4
	v_cmp_gt_i64_e32 vcc, 0, v[5:6]
	v_not_b32_e32 v4, v6
	v_ashrrev_i32_e32 v4, 31, v4
	v_xor_b32_e32 v6, vcc_hi, v4
	;; [unrolled: 8-line block ×5, first 2 shown]
	v_and_b32_e32 v2, v2, v6
	v_lshlrev_b32_e32 v6, 24, v1
	v_xor_b32_e32 v4, vcc_lo, v4
	v_cmp_gt_i64_e32 vcc, 0, v[5:6]
	v_not_b32_e32 v1, v6
	v_ashrrev_i32_e32 v1, 31, v1
	v_and_b32_e32 v3, v3, v4
	v_xor_b32_e32 v4, vcc_hi, v1
	v_xor_b32_e32 v1, vcc_lo, v1
	; wave barrier
	ds_read_b32 v31, v32 offset:32
	v_and_b32_e32 v1, v3, v1
	v_and_b32_e32 v2, v2, v4
	v_mbcnt_lo_u32_b32 v3, v1, 0
	v_mbcnt_hi_u32_b32 v6, v2, v3
	v_cmp_ne_u64_e32 vcc, 0, v[1:2]
	v_cmp_eq_u32_e64 s[28:29], 0, v6
	s_and_b64 s[30:31], s[28:29], vcc
	; wave barrier
	s_and_saveexec_b64 s[28:29], s[30:31]
	s_cbranch_execz .LBB186_10
; %bb.9:                                ;   in Loop: Header=BB186_4 Depth=2
	v_bcnt_u32_b32 v1, v1, 0
	v_bcnt_u32_b32 v1, v2, v1
	s_waitcnt lgkmcnt(0)
	v_add_u32_e32 v1, v31, v1
	ds_write_b32 v32, v1 offset:32
.LBB186_10:                             ;   in Loop: Header=BB186_4 Depth=2
	s_or_b64 exec, exec, s[28:29]
	; wave barrier
	s_waitcnt lgkmcnt(0)
	s_barrier
	ds_read2_b64 v[1:4], v21 offset0:4 offset1:5
	s_waitcnt lgkmcnt(0)
	v_add_u32_e32 v33, v2, v1
	v_add3_u32 v4, v33, v3, v4
	s_nop 1
	v_mov_b32_dpp v33, v4 row_shr:1 row_mask:0xf bank_mask:0xf
	v_cndmask_b32_e64 v33, v33, 0, s[0:1]
	v_add_u32_e32 v4, v33, v4
	s_nop 1
	v_mov_b32_dpp v33, v4 row_shr:2 row_mask:0xf bank_mask:0xf
	v_cndmask_b32_e64 v33, 0, v33, s[2:3]
	v_add_u32_e32 v4, v4, v33
	;; [unrolled: 4-line block ×4, first 2 shown]
	s_nop 1
	v_mov_b32_dpp v33, v4 row_bcast:15 row_mask:0xf bank_mask:0xf
	v_cndmask_b32_e64 v33, v33, 0, s[8:9]
	v_add_u32_e32 v4, v4, v33
	s_nop 1
	v_mov_b32_dpp v33, v4 row_bcast:31 row_mask:0xf bank_mask:0xf
	v_cndmask_b32_e64 v33, 0, v33, s[14:15]
	v_add_u32_e32 v4, v4, v33
	s_and_saveexec_b64 s[28:29], s[10:11]
; %bb.11:                               ;   in Loop: Header=BB186_4 Depth=2
	ds_write_b32 v23, v4
; %bb.12:                               ;   in Loop: Header=BB186_4 Depth=2
	s_or_b64 exec, exec, s[28:29]
	s_waitcnt lgkmcnt(0)
	s_barrier
	s_and_saveexec_b64 s[28:29], s[16:17]
	s_cbranch_execz .LBB186_14
; %bb.13:                               ;   in Loop: Header=BB186_4 Depth=2
	ds_read_b32 v33, v24
	s_waitcnt lgkmcnt(0)
	s_nop 0
	v_mov_b32_dpp v34, v33 row_shr:1 row_mask:0xf bank_mask:0xf
	v_cndmask_b32_e64 v34, v34, 0, s[22:23]
	v_add_u32_e32 v33, v34, v33
	s_nop 1
	v_mov_b32_dpp v34, v33 row_shr:2 row_mask:0xf bank_mask:0xf
	v_cndmask_b32_e64 v34, 0, v34, s[24:25]
	v_add_u32_e32 v33, v33, v34
	;; [unrolled: 4-line block ×3, first 2 shown]
	ds_write_b32 v24, v33
.LBB186_14:                             ;   in Loop: Header=BB186_4 Depth=2
	s_or_b64 exec, exec, s[28:29]
	v_mov_b32_e32 v33, 0
	s_waitcnt lgkmcnt(0)
	s_barrier
	s_and_saveexec_b64 s[28:29], s[18:19]
; %bb.15:                               ;   in Loop: Header=BB186_4 Depth=2
	v_add_u32_e32 v33, -4, v23
	ds_read_b32 v33, v33
; %bb.16:                               ;   in Loop: Header=BB186_4 Depth=2
	s_or_b64 exec, exec, s[28:29]
	s_waitcnt lgkmcnt(0)
	v_add_u32_e32 v4, v33, v4
	ds_bpermute_b32 v4, v22, v4
	s_cmp_gt_u32 s37, 55
	s_mov_b64 s[28:29], -1
	s_waitcnt lgkmcnt(0)
	v_cndmask_b32_e64 v4, v4, v33, s[12:13]
	v_cndmask_b32_e64 v33, v4, 0, s[20:21]
	v_add_u32_e32 v34, v33, v1
	v_add_u32_e32 v1, v34, v2
	;; [unrolled: 1-line block ×3, first 2 shown]
	ds_write2_b64 v21, v[33:34], v[1:2] offset0:4 offset1:5
	s_waitcnt lgkmcnt(0)
	s_barrier
	ds_read_b32 v1, v18 offset:32
	ds_read_b32 v2, v29 offset:32
	;; [unrolled: 1-line block ×3, first 2 shown]
	v_lshlrev_b32_e32 v4, 3, v17
	s_waitcnt lgkmcnt(0)
	v_lshl_add_u32 v29, v1, 3, v4
	v_lshlrev_b32_e32 v1, 3, v30
	v_lshlrev_b32_e32 v4, 3, v28
	v_lshlrev_b32_e32 v2, 3, v2
	v_add3_u32 v28, v1, v4, v2
	v_lshlrev_b32_e32 v1, 3, v6
	v_lshlrev_b32_e32 v2, 3, v31
	;; [unrolled: 1-line block ×3, first 2 shown]
	v_add3_u32 v6, v1, v2, v3
                                        ; implicit-def: $vgpr1_vgpr2
                                        ; implicit-def: $vgpr17_vgpr18
	s_cbranch_scc1 .LBB186_3
; %bb.17:                               ;   in Loop: Header=BB186_4 Depth=2
	s_barrier
	ds_write_b64 v29, v[15:16]
	ds_write_b64 v28, v[13:14]
	;; [unrolled: 1-line block ×3, first 2 shown]
	s_waitcnt lgkmcnt(0)
	s_barrier
	ds_read2st64_b64 v[1:4], v26 offset1:1
	ds_read_b64 v[17:18], v26 offset:1024
	s_add_i32 s36, s36, -8
	s_add_i32 s33, s33, 8
	s_add_i32 s37, s37, 8
	s_mov_b64 s[28:29], 0
	s_waitcnt lgkmcnt(0)
	s_barrier
	s_branch .LBB186_3
.LBB186_18:
	s_add_u32 s0, s38, s42
	s_addc_u32 s1, s39, s43
	v_lshlrev_b32_e32 v0, 3, v0
	v_mov_b32_e32 v1, s1
	v_add_co_u32_e32 v2, vcc, s0, v0
	v_addc_co_u32_e32 v5, vcc, 0, v1, vcc
	global_store_dwordx2 v0, v[13:14], s[0:1]
	v_add_co_u32_e32 v0, vcc, 0x1000, v2
	v_addc_co_u32_e32 v1, vcc, 0, v5, vcc
	global_store_dwordx2 v[0:1], v[11:12], off
	v_add_co_u32_e32 v0, vcc, 0x2000, v2
	v_addc_co_u32_e32 v1, vcc, 0, v5, vcc
	global_store_dwordx2 v[0:1], v[3:4], off
	s_endpgm
	.section	.rodata,"a",@progbits
	.p2align	6, 0x0
	.amdhsa_kernel _Z16sort_keys_kernelI22helper_blocked_blockedN15benchmark_utils11custom_typeIiiEELj512ELj3ELj10EEvPKT0_PS4_
		.amdhsa_group_segment_fixed_size 12288
		.amdhsa_private_segment_fixed_size 0
		.amdhsa_kernarg_size 272
		.amdhsa_user_sgpr_count 6
		.amdhsa_user_sgpr_private_segment_buffer 1
		.amdhsa_user_sgpr_dispatch_ptr 0
		.amdhsa_user_sgpr_queue_ptr 0
		.amdhsa_user_sgpr_kernarg_segment_ptr 1
		.amdhsa_user_sgpr_dispatch_id 0
		.amdhsa_user_sgpr_flat_scratch_init 0
		.amdhsa_user_sgpr_private_segment_size 0
		.amdhsa_uses_dynamic_stack 0
		.amdhsa_system_sgpr_private_segment_wavefront_offset 0
		.amdhsa_system_sgpr_workgroup_id_x 1
		.amdhsa_system_sgpr_workgroup_id_y 0
		.amdhsa_system_sgpr_workgroup_id_z 0
		.amdhsa_system_sgpr_workgroup_info 0
		.amdhsa_system_vgpr_workitem_id 2
		.amdhsa_next_free_vgpr 35
		.amdhsa_next_free_sgpr 47
		.amdhsa_reserve_vcc 1
		.amdhsa_reserve_flat_scratch 0
		.amdhsa_float_round_mode_32 0
		.amdhsa_float_round_mode_16_64 0
		.amdhsa_float_denorm_mode_32 3
		.amdhsa_float_denorm_mode_16_64 3
		.amdhsa_dx10_clamp 1
		.amdhsa_ieee_mode 1
		.amdhsa_fp16_overflow 0
		.amdhsa_exception_fp_ieee_invalid_op 0
		.amdhsa_exception_fp_denorm_src 0
		.amdhsa_exception_fp_ieee_div_zero 0
		.amdhsa_exception_fp_ieee_overflow 0
		.amdhsa_exception_fp_ieee_underflow 0
		.amdhsa_exception_fp_ieee_inexact 0
		.amdhsa_exception_int_div_zero 0
	.end_amdhsa_kernel
	.section	.text._Z16sort_keys_kernelI22helper_blocked_blockedN15benchmark_utils11custom_typeIiiEELj512ELj3ELj10EEvPKT0_PS4_,"axG",@progbits,_Z16sort_keys_kernelI22helper_blocked_blockedN15benchmark_utils11custom_typeIiiEELj512ELj3ELj10EEvPKT0_PS4_,comdat
.Lfunc_end186:
	.size	_Z16sort_keys_kernelI22helper_blocked_blockedN15benchmark_utils11custom_typeIiiEELj512ELj3ELj10EEvPKT0_PS4_, .Lfunc_end186-_Z16sort_keys_kernelI22helper_blocked_blockedN15benchmark_utils11custom_typeIiiEELj512ELj3ELj10EEvPKT0_PS4_
                                        ; -- End function
	.set _Z16sort_keys_kernelI22helper_blocked_blockedN15benchmark_utils11custom_typeIiiEELj512ELj3ELj10EEvPKT0_PS4_.num_vgpr, 35
	.set _Z16sort_keys_kernelI22helper_blocked_blockedN15benchmark_utils11custom_typeIiiEELj512ELj3ELj10EEvPKT0_PS4_.num_agpr, 0
	.set _Z16sort_keys_kernelI22helper_blocked_blockedN15benchmark_utils11custom_typeIiiEELj512ELj3ELj10EEvPKT0_PS4_.numbered_sgpr, 47
	.set _Z16sort_keys_kernelI22helper_blocked_blockedN15benchmark_utils11custom_typeIiiEELj512ELj3ELj10EEvPKT0_PS4_.num_named_barrier, 0
	.set _Z16sort_keys_kernelI22helper_blocked_blockedN15benchmark_utils11custom_typeIiiEELj512ELj3ELj10EEvPKT0_PS4_.private_seg_size, 0
	.set _Z16sort_keys_kernelI22helper_blocked_blockedN15benchmark_utils11custom_typeIiiEELj512ELj3ELj10EEvPKT0_PS4_.uses_vcc, 1
	.set _Z16sort_keys_kernelI22helper_blocked_blockedN15benchmark_utils11custom_typeIiiEELj512ELj3ELj10EEvPKT0_PS4_.uses_flat_scratch, 0
	.set _Z16sort_keys_kernelI22helper_blocked_blockedN15benchmark_utils11custom_typeIiiEELj512ELj3ELj10EEvPKT0_PS4_.has_dyn_sized_stack, 0
	.set _Z16sort_keys_kernelI22helper_blocked_blockedN15benchmark_utils11custom_typeIiiEELj512ELj3ELj10EEvPKT0_PS4_.has_recursion, 0
	.set _Z16sort_keys_kernelI22helper_blocked_blockedN15benchmark_utils11custom_typeIiiEELj512ELj3ELj10EEvPKT0_PS4_.has_indirect_call, 0
	.section	.AMDGPU.csdata,"",@progbits
; Kernel info:
; codeLenInByte = 2652
; TotalNumSgprs: 51
; NumVgprs: 35
; ScratchSize: 0
; MemoryBound: 0
; FloatMode: 240
; IeeeMode: 1
; LDSByteSize: 12288 bytes/workgroup (compile time only)
; SGPRBlocks: 6
; VGPRBlocks: 8
; NumSGPRsForWavesPerEU: 51
; NumVGPRsForWavesPerEU: 35
; Occupancy: 7
; WaveLimiterHint : 1
; COMPUTE_PGM_RSRC2:SCRATCH_EN: 0
; COMPUTE_PGM_RSRC2:USER_SGPR: 6
; COMPUTE_PGM_RSRC2:TRAP_HANDLER: 0
; COMPUTE_PGM_RSRC2:TGID_X_EN: 1
; COMPUTE_PGM_RSRC2:TGID_Y_EN: 0
; COMPUTE_PGM_RSRC2:TGID_Z_EN: 0
; COMPUTE_PGM_RSRC2:TIDIG_COMP_CNT: 2
	.section	.text._Z17sort_pairs_kernelI22helper_blocked_blockedN15benchmark_utils11custom_typeIiiEELj512ELj3ELj10EEvPKT0_PS4_,"axG",@progbits,_Z17sort_pairs_kernelI22helper_blocked_blockedN15benchmark_utils11custom_typeIiiEELj512ELj3ELj10EEvPKT0_PS4_,comdat
	.protected	_Z17sort_pairs_kernelI22helper_blocked_blockedN15benchmark_utils11custom_typeIiiEELj512ELj3ELj10EEvPKT0_PS4_ ; -- Begin function _Z17sort_pairs_kernelI22helper_blocked_blockedN15benchmark_utils11custom_typeIiiEELj512ELj3ELj10EEvPKT0_PS4_
	.globl	_Z17sort_pairs_kernelI22helper_blocked_blockedN15benchmark_utils11custom_typeIiiEELj512ELj3ELj10EEvPKT0_PS4_
	.p2align	8
	.type	_Z17sort_pairs_kernelI22helper_blocked_blockedN15benchmark_utils11custom_typeIiiEELj512ELj3ELj10EEvPKT0_PS4_,@function
_Z17sort_pairs_kernelI22helper_blocked_blockedN15benchmark_utils11custom_typeIiiEELj512ELj3ELj10EEvPKT0_PS4_: ; @_Z17sort_pairs_kernelI22helper_blocked_blockedN15benchmark_utils11custom_typeIiiEELj512ELj3ELj10EEvPKT0_PS4_
; %bb.0:
	s_load_dwordx4 s[36:39], s[4:5], 0x0
	s_load_dword s30, s[4:5], 0x1c
	s_mul_i32 s42, s6, 0x600
	s_mov_b32 s43, 0
	s_lshl_b64 s[40:41], s[42:43], 3
	s_waitcnt lgkmcnt(0)
	s_add_u32 s0, s36, s40
	s_addc_u32 s1, s37, s41
	v_lshlrev_b32_e32 v3, 3, v0
	v_mov_b32_e32 v4, s1
	v_add_co_u32_e32 v5, vcc, s0, v3
	v_addc_co_u32_e32 v6, vcc, 0, v4, vcc
	global_load_dwordx2 v[3:4], v3, s[0:1]
	s_movk_i32 s0, 0x2000
	v_add_co_u32_e32 v5, vcc, s0, v5
	v_addc_co_u32_e32 v6, vcc, 0, v6, vcc
	global_load_dwordx2 v[15:16], v[5:6], off offset:-4096
	global_load_dwordx2 v[17:18], v[5:6], off
	s_lshr_b32 s31, s30, 16
	v_mbcnt_lo_u32_b32 v5, -1, 0
	s_and_b32 s30, s30, 0xffff
	v_mad_u32_u24 v1, v2, s31, v1
	v_mbcnt_hi_u32_b32 v5, -1, v5
	v_mad_u64_u32 v[1:2], s[30:31], v1, s30, v[0:1]
	v_lshrrev_b32_e32 v6, 6, v0
	v_and_b32_e32 v7, 0x1c0, v0
	v_subrev_co_u32_e64 v19, s[8:9], 1, v5
	v_and_b32_e32 v20, 64, v5
	v_mul_u32_u24_e32 v10, 0xc0, v6
	v_or_b32_e32 v14, 63, v7
	v_cmp_lt_i32_e32 vcc, v19, v20
	v_lshlrev_b32_e32 v31, 4, v0
	s_mov_b32 s28, s43
	v_lshlrev_b32_e32 v13, 3, v5
	v_and_b32_e32 v11, 15, v5
	v_and_b32_e32 v12, 16, v5
	v_mul_u32_u24_e32 v7, 24, v7
	s_mov_b32 s42, s43
	v_cmp_eq_u32_e64 s[20:21], v0, v14
	v_lshlrev_b32_e32 v10, 3, v10
	v_cndmask_b32_e32 v14, v19, v5, vcc
	v_mul_u32_u24_e32 v8, 20, v0
	s_mov_b32 s29, s43
	v_lshlrev_b32_e32 v32, 2, v6
	v_mad_i32_i24 v33, v0, -12, v31
	v_and_b32_e32 v6, 7, v5
	v_cmp_eq_u32_e64 s[10:11], 0, v11
	v_cmp_lt_u32_e64 s[12:13], 1, v11
	v_cmp_lt_u32_e64 s[14:15], 3, v11
	v_cmp_lt_u32_e64 s[16:17], 7, v11
	v_cmp_eq_u32_e64 s[18:19], 0, v12
	v_add_u32_e32 v34, v13, v7
	v_mov_b32_e32 v11, s42
	v_add_u32_e32 v38, v13, v10
	v_lshlrev_b32_e32 v39, 2, v14
	v_lshrrev_b32_e32 v1, 4, v1
	v_mov_b32_e32 v13, s28
	v_mov_b32_e32 v9, 0
	v_cmp_gt_u32_e64 s[0:1], 8, v0
	v_cmp_lt_u32_e64 s[2:3], 63, v0
	v_cmp_eq_u32_e64 s[4:5], 0, v0
	v_cmp_lt_u32_e64 s[6:7], 31, v5
	v_cmp_eq_u32_e64 s[22:23], 0, v6
	v_cmp_lt_u32_e64 s[24:25], 1, v6
	v_cmp_lt_u32_e64 s[26:27], 3, v6
	v_add_u32_e32 v35, v33, v8
	v_add_u32_e32 v36, -4, v32
	v_mov_b32_e32 v12, s43
	v_mad_u32_u24 v37, v5, 24, v10
	v_and_b32_e32 v40, 0xffffffc, v1
	v_mov_b32_e32 v14, s29
	s_waitcnt vmcnt(2)
	v_add_u32_e32 v6, 1, v4
	v_add_u32_e32 v5, 1, v3
	s_waitcnt vmcnt(1)
	v_add_u32_e32 v8, 1, v16
	v_add_u32_e32 v7, 1, v15
	;; [unrolled: 3-line block ×3, first 2 shown]
	s_branch .LBB187_2
.LBB187_1:                              ;   in Loop: Header=BB187_2 Depth=1
	s_barrier
	ds_write_b64 v41, v[25:26]
	ds_write_b64 v42, v[23:24]
	;; [unrolled: 1-line block ×3, first 2 shown]
	s_waitcnt lgkmcnt(0)
	s_barrier
	ds_read2_b64 v[21:24], v35 offset1:1
	ds_read_b64 v[1:2], v35 offset:16
	s_waitcnt lgkmcnt(0)
	s_barrier
	ds_write_b64 v41, v[19:20]
	ds_write_b64 v42, v[17:18]
	;; [unrolled: 1-line block ×3, first 2 shown]
	s_waitcnt lgkmcnt(0)
	s_barrier
	ds_read2_b64 v[5:8], v35 offset1:1
	ds_read_b64 v[19:20], v35 offset:16
	s_add_i32 s43, s43, 1
	v_xor_b32_e32 v3, 0x80000000, v21
	v_xor_b32_e32 v4, 0x80000000, v22
	;; [unrolled: 1-line block ×5, first 2 shown]
	s_cmp_lg_u32 s43, 10
	v_xor_b32_e32 v18, 0x80000000, v2
	s_cbranch_scc0 .LBB187_18
.LBB187_2:                              ; =>This Loop Header: Depth=1
                                        ;     Child Loop BB187_4 Depth 2
	v_xor_b32_e32 v2, 0x80000000, v4
	v_xor_b32_e32 v1, 0x80000000, v3
	;; [unrolled: 1-line block ×6, first 2 shown]
	ds_write2_b64 v37, v[1:2], v[3:4] offset1:1
	ds_write_b64 v37, v[15:16] offset:16
	; wave barrier
	ds_read2st64_b64 v[1:4], v38 offset1:1
	ds_read_b64 v[27:28], v38 offset:1024
	; wave barrier
	s_waitcnt lgkmcnt(5)
	ds_write2_b64 v37, v[5:6], v[7:8] offset1:1
	s_waitcnt lgkmcnt(5)
	ds_write_b64 v37, v[19:20] offset:16
	; wave barrier
	ds_read2st64_b64 v[5:8], v38 offset1:1
	ds_read_b64 v[29:30], v38 offset:1024
	s_mov_b32 s33, 8
	s_mov_b32 s36, 32
	;; [unrolled: 1-line block ×3, first 2 shown]
	s_waitcnt lgkmcnt(0)
	s_barrier
	s_branch .LBB187_4
.LBB187_3:                              ;   in Loop: Header=BB187_4 Depth=2
	s_andn2_b64 vcc, exec, s[28:29]
	s_cbranch_vccz .LBB187_1
.LBB187_4:                              ;   Parent Loop BB187_2 Depth=1
                                        ; =>  This Inner Loop Header: Depth=2
	s_min_i32 s30, s33, 32
	s_cmp_lt_u32 s37, 32
	s_cselect_b64 s[28:29], -1, 0
	s_cmp_gt_u32 s37, 31
	s_cselect_b64 vcc, -1, 0
	s_sub_i32 s30, s30, 32
	s_add_i32 s31, s30, s36
	s_lshl_b32 s31, -1, s31
	s_not_b32 s31, s31
	s_cmp_lg_u32 s30, s37
	s_cselect_b32 s44, s31, -1
	s_max_i32 s42, s36, 0
	s_max_i32 s30, s37, 32
	s_sub_i32 s45, s30, 32
	s_sub_i32 s30, s30, s42
	;; [unrolled: 1-line block ×3, first 2 shown]
	s_min_i32 s30, s30, 32
	s_sub_i32 s30, s30, s45
	s_lshl_b32 s31, -1, s30
	v_mov_b32_e32 v26, v2
	s_not_b32 s31, s31
	v_mov_b32_e32 v25, v1
	s_cmp_lg_u32 s30, 32
	s_cselect_b32 s46, s31, -1
	v_lshrrev_b32_e32 v2, s45, v25
	v_lshrrev_b32_e32 v1, s37, v26
	v_and_b32_e32 v2, s46, v2
	v_and_b32_e32 v1, s44, v1
	v_lshlrev_b32_e32 v2, s42, v2
	v_cndmask_b32_e64 v1, 0, v1, s[28:29]
	v_cndmask_b32_e32 v2, 0, v2, vcc
	v_or_b32_e32 v1, v1, v2
	v_mov_b32_e32 v24, v4
	v_and_b32_e32 v2, 1, v1
	v_mov_b32_e32 v20, v6
	v_mov_b32_e32 v23, v3
	v_add_co_u32_e64 v4, s[30:31], -1, v2
	v_mov_b32_e32 v19, v5
	v_addc_co_u32_e64 v5, s[30:31], 0, -1, s[30:31]
	v_cmp_ne_u32_e64 s[30:31], 0, v2
	v_lshlrev_b32_e32 v10, 30, v1
	v_xor_b32_e32 v2, s31, v5
	v_xor_b32_e32 v4, s30, v4
	v_cmp_gt_i64_e64 s[30:31], 0, v[9:10]
	v_not_b32_e32 v5, v10
	v_ashrrev_i32_e32 v5, 31, v5
	v_and_b32_e32 v4, exec_lo, v4
	v_xor_b32_e32 v6, s31, v5
	v_xor_b32_e32 v5, s30, v5
	v_lshlrev_b32_e32 v10, 29, v1
	v_and_b32_e32 v4, v4, v5
	v_cmp_gt_i64_e64 s[30:31], 0, v[9:10]
	v_not_b32_e32 v5, v10
	v_and_b32_e32 v2, exec_hi, v2
	v_ashrrev_i32_e32 v5, 31, v5
	v_and_b32_e32 v2, v2, v6
	v_xor_b32_e32 v6, s31, v5
	v_xor_b32_e32 v5, s30, v5
	v_lshlrev_b32_e32 v10, 28, v1
	v_and_b32_e32 v4, v4, v5
	v_cmp_gt_i64_e64 s[30:31], 0, v[9:10]
	v_not_b32_e32 v5, v10
	v_ashrrev_i32_e32 v5, 31, v5
	v_and_b32_e32 v2, v2, v6
	v_xor_b32_e32 v6, s31, v5
	v_xor_b32_e32 v5, s30, v5
	v_lshlrev_b32_e32 v10, 27, v1
	v_and_b32_e32 v4, v4, v5
	v_cmp_gt_i64_e64 s[30:31], 0, v[9:10]
	v_not_b32_e32 v5, v10
	;; [unrolled: 8-line block ×4, first 2 shown]
	v_ashrrev_i32_e32 v5, 31, v5
	v_lshlrev_b32_e32 v10, 24, v1
	v_lshlrev_b32_e32 v3, 5, v1
	v_and_b32_e32 v2, v2, v6
	v_xor_b32_e32 v6, s31, v5
	v_xor_b32_e32 v5, s30, v5
	v_cmp_gt_i64_e64 s[30:31], 0, v[9:10]
	v_not_b32_e32 v1, v10
	v_ashrrev_i32_e32 v1, 31, v1
	v_and_b32_e32 v4, v4, v5
	v_xor_b32_e32 v5, s31, v1
	v_xor_b32_e32 v1, s30, v1
	v_and_b32_e32 v2, v2, v6
	v_and_b32_e32 v1, v4, v1
	;; [unrolled: 1-line block ×3, first 2 shown]
	v_mbcnt_lo_u32_b32 v4, v1, 0
	v_mbcnt_hi_u32_b32 v5, v2, v4
	v_cmp_ne_u64_e64 s[30:31], 0, v[1:2]
	v_mov_b32_e32 v18, v8
	v_mov_b32_e32 v15, v29
	;; [unrolled: 1-line block ×3, first 2 shown]
	v_cmp_eq_u32_e64 s[34:35], 0, v5
	v_mov_b32_e32 v17, v7
	v_mov_b32_e32 v16, v30
	;; [unrolled: 1-line block ×3, first 2 shown]
	s_and_b64 s[34:35], s[34:35], s[30:31]
	v_add_u32_e32 v6, v40, v3
	ds_write2_b64 v31, v[11:12], v[13:14] offset0:4 offset1:5
	s_waitcnt lgkmcnt(0)
	s_barrier
	; wave barrier
	s_and_saveexec_b64 s[30:31], s[34:35]
; %bb.5:                                ;   in Loop: Header=BB187_4 Depth=2
	v_bcnt_u32_b32 v1, v1, 0
	v_bcnt_u32_b32 v1, v2, v1
	ds_write_b32 v6, v1 offset:32
; %bb.6:                                ;   in Loop: Header=BB187_4 Depth=2
	s_or_b64 exec, exec, s[30:31]
	v_lshrrev_b32_e32 v2, s45, v23
	v_lshrrev_b32_e32 v1, s37, v24
	v_and_b32_e32 v2, s46, v2
	v_and_b32_e32 v1, s44, v1
	v_lshlrev_b32_e32 v2, s42, v2
	v_cndmask_b32_e64 v1, 0, v1, s[28:29]
	v_cndmask_b32_e32 v2, 0, v2, vcc
	v_or_b32_e32 v1, v1, v2
	v_lshlrev_b32_e32 v2, 5, v1
	v_add_u32_e32 v8, v40, v2
	v_and_b32_e32 v2, 1, v1
	v_add_co_u32_e64 v3, s[30:31], -1, v2
	v_addc_co_u32_e64 v4, s[30:31], 0, -1, s[30:31]
	v_cmp_ne_u32_e64 s[30:31], 0, v2
	v_lshlrev_b32_e32 v10, 30, v1
	v_xor_b32_e32 v2, s31, v4
	v_xor_b32_e32 v3, s30, v3
	v_cmp_gt_i64_e64 s[30:31], 0, v[9:10]
	v_not_b32_e32 v4, v10
	v_ashrrev_i32_e32 v4, 31, v4
	v_and_b32_e32 v2, exec_hi, v2
	v_xor_b32_e32 v10, s31, v4
	v_and_b32_e32 v3, exec_lo, v3
	v_xor_b32_e32 v4, s30, v4
	v_and_b32_e32 v2, v2, v10
	v_lshlrev_b32_e32 v10, 29, v1
	v_and_b32_e32 v3, v3, v4
	v_cmp_gt_i64_e64 s[30:31], 0, v[9:10]
	v_not_b32_e32 v4, v10
	v_ashrrev_i32_e32 v4, 31, v4
	v_xor_b32_e32 v10, s31, v4
	v_xor_b32_e32 v4, s30, v4
	v_and_b32_e32 v2, v2, v10
	v_lshlrev_b32_e32 v10, 28, v1
	v_and_b32_e32 v3, v3, v4
	v_cmp_gt_i64_e64 s[30:31], 0, v[9:10]
	v_not_b32_e32 v4, v10
	v_ashrrev_i32_e32 v4, 31, v4
	v_xor_b32_e32 v10, s31, v4
	;; [unrolled: 8-line block ×5, first 2 shown]
	v_and_b32_e32 v2, v2, v10
	v_lshlrev_b32_e32 v10, 24, v1
	v_xor_b32_e32 v4, s30, v4
	v_cmp_gt_i64_e64 s[30:31], 0, v[9:10]
	v_not_b32_e32 v1, v10
	v_ashrrev_i32_e32 v1, 31, v1
	v_and_b32_e32 v3, v3, v4
	v_xor_b32_e32 v4, s31, v1
	v_xor_b32_e32 v1, s30, v1
	; wave barrier
	ds_read_b32 v7, v8 offset:32
	v_and_b32_e32 v1, v3, v1
	v_and_b32_e32 v2, v2, v4
	v_mbcnt_lo_u32_b32 v3, v1, 0
	v_mbcnt_hi_u32_b32 v27, v2, v3
	v_cmp_ne_u64_e64 s[30:31], 0, v[1:2]
	v_cmp_eq_u32_e64 s[34:35], 0, v27
	s_and_b64 s[34:35], s[34:35], s[30:31]
	; wave barrier
	s_and_saveexec_b64 s[30:31], s[34:35]
	s_cbranch_execz .LBB187_8
; %bb.7:                                ;   in Loop: Header=BB187_4 Depth=2
	v_bcnt_u32_b32 v1, v1, 0
	v_bcnt_u32_b32 v1, v2, v1
	s_waitcnt lgkmcnt(0)
	v_add_u32_e32 v1, v7, v1
	ds_write_b32 v8, v1 offset:32
.LBB187_8:                              ;   in Loop: Header=BB187_4 Depth=2
	s_or_b64 exec, exec, s[30:31]
	v_lshrrev_b32_e32 v2, s45, v21
	v_lshrrev_b32_e32 v1, s37, v22
	v_and_b32_e32 v2, s46, v2
	v_and_b32_e32 v1, s44, v1
	v_lshlrev_b32_e32 v2, s42, v2
	v_cndmask_b32_e64 v1, 0, v1, s[28:29]
	v_cndmask_b32_e32 v2, 0, v2, vcc
	v_or_b32_e32 v1, v1, v2
	v_lshlrev_b32_e32 v2, 5, v1
	v_add_u32_e32 v29, v40, v2
	v_and_b32_e32 v2, 1, v1
	v_add_co_u32_e32 v3, vcc, -1, v2
	v_addc_co_u32_e64 v4, s[28:29], 0, -1, vcc
	v_cmp_ne_u32_e32 vcc, 0, v2
	v_lshlrev_b32_e32 v10, 30, v1
	v_xor_b32_e32 v2, vcc_hi, v4
	v_xor_b32_e32 v3, vcc_lo, v3
	v_cmp_gt_i64_e32 vcc, 0, v[9:10]
	v_not_b32_e32 v4, v10
	v_ashrrev_i32_e32 v4, 31, v4
	v_and_b32_e32 v2, exec_hi, v2
	v_xor_b32_e32 v10, vcc_hi, v4
	v_and_b32_e32 v3, exec_lo, v3
	v_xor_b32_e32 v4, vcc_lo, v4
	v_and_b32_e32 v2, v2, v10
	v_lshlrev_b32_e32 v10, 29, v1
	v_and_b32_e32 v3, v3, v4
	v_cmp_gt_i64_e32 vcc, 0, v[9:10]
	v_not_b32_e32 v4, v10
	v_ashrrev_i32_e32 v4, 31, v4
	v_xor_b32_e32 v10, vcc_hi, v4
	v_xor_b32_e32 v4, vcc_lo, v4
	v_and_b32_e32 v2, v2, v10
	v_lshlrev_b32_e32 v10, 28, v1
	v_and_b32_e32 v3, v3, v4
	v_cmp_gt_i64_e32 vcc, 0, v[9:10]
	v_not_b32_e32 v4, v10
	v_ashrrev_i32_e32 v4, 31, v4
	v_xor_b32_e32 v10, vcc_hi, v4
	;; [unrolled: 8-line block ×5, first 2 shown]
	v_and_b32_e32 v2, v2, v10
	v_lshlrev_b32_e32 v10, 24, v1
	v_xor_b32_e32 v4, vcc_lo, v4
	v_cmp_gt_i64_e32 vcc, 0, v[9:10]
	v_not_b32_e32 v1, v10
	v_ashrrev_i32_e32 v1, 31, v1
	v_and_b32_e32 v3, v3, v4
	v_xor_b32_e32 v4, vcc_hi, v1
	v_xor_b32_e32 v1, vcc_lo, v1
	; wave barrier
	ds_read_b32 v28, v29 offset:32
	v_and_b32_e32 v1, v3, v1
	v_and_b32_e32 v2, v2, v4
	v_mbcnt_lo_u32_b32 v3, v1, 0
	v_mbcnt_hi_u32_b32 v10, v2, v3
	v_cmp_ne_u64_e32 vcc, 0, v[1:2]
	v_cmp_eq_u32_e64 s[28:29], 0, v10
	s_and_b64 s[30:31], s[28:29], vcc
	; wave barrier
	s_and_saveexec_b64 s[28:29], s[30:31]
	s_cbranch_execz .LBB187_10
; %bb.9:                                ;   in Loop: Header=BB187_4 Depth=2
	v_bcnt_u32_b32 v1, v1, 0
	v_bcnt_u32_b32 v1, v2, v1
	s_waitcnt lgkmcnt(0)
	v_add_u32_e32 v1, v28, v1
	ds_write_b32 v29, v1 offset:32
.LBB187_10:                             ;   in Loop: Header=BB187_4 Depth=2
	s_or_b64 exec, exec, s[28:29]
	; wave barrier
	s_waitcnt lgkmcnt(0)
	s_barrier
	ds_read2_b64 v[1:4], v31 offset0:4 offset1:5
	s_waitcnt lgkmcnt(0)
	v_add_u32_e32 v30, v2, v1
	v_add3_u32 v4, v30, v3, v4
	s_nop 1
	v_mov_b32_dpp v30, v4 row_shr:1 row_mask:0xf bank_mask:0xf
	v_cndmask_b32_e64 v30, v30, 0, s[10:11]
	v_add_u32_e32 v4, v30, v4
	s_nop 1
	v_mov_b32_dpp v30, v4 row_shr:2 row_mask:0xf bank_mask:0xf
	v_cndmask_b32_e64 v30, 0, v30, s[12:13]
	v_add_u32_e32 v4, v4, v30
	;; [unrolled: 4-line block ×4, first 2 shown]
	s_nop 1
	v_mov_b32_dpp v30, v4 row_bcast:15 row_mask:0xf bank_mask:0xf
	v_cndmask_b32_e64 v30, v30, 0, s[18:19]
	v_add_u32_e32 v4, v4, v30
	s_nop 1
	v_mov_b32_dpp v30, v4 row_bcast:31 row_mask:0xf bank_mask:0xf
	v_cndmask_b32_e64 v30, 0, v30, s[6:7]
	v_add_u32_e32 v4, v4, v30
	s_and_saveexec_b64 s[28:29], s[20:21]
; %bb.11:                               ;   in Loop: Header=BB187_4 Depth=2
	ds_write_b32 v32, v4
; %bb.12:                               ;   in Loop: Header=BB187_4 Depth=2
	s_or_b64 exec, exec, s[28:29]
	s_waitcnt lgkmcnt(0)
	s_barrier
	s_and_saveexec_b64 s[28:29], s[0:1]
	s_cbranch_execz .LBB187_14
; %bb.13:                               ;   in Loop: Header=BB187_4 Depth=2
	ds_read_b32 v30, v33
	s_waitcnt lgkmcnt(0)
	s_nop 0
	v_mov_b32_dpp v41, v30 row_shr:1 row_mask:0xf bank_mask:0xf
	v_cndmask_b32_e64 v41, v41, 0, s[22:23]
	v_add_u32_e32 v30, v41, v30
	s_nop 1
	v_mov_b32_dpp v41, v30 row_shr:2 row_mask:0xf bank_mask:0xf
	v_cndmask_b32_e64 v41, 0, v41, s[24:25]
	v_add_u32_e32 v30, v30, v41
	;; [unrolled: 4-line block ×3, first 2 shown]
	ds_write_b32 v33, v30
.LBB187_14:                             ;   in Loop: Header=BB187_4 Depth=2
	s_or_b64 exec, exec, s[28:29]
	v_mov_b32_e32 v30, 0
	s_waitcnt lgkmcnt(0)
	s_barrier
	s_and_saveexec_b64 s[28:29], s[2:3]
; %bb.15:                               ;   in Loop: Header=BB187_4 Depth=2
	ds_read_b32 v30, v36
; %bb.16:                               ;   in Loop: Header=BB187_4 Depth=2
	s_or_b64 exec, exec, s[28:29]
	s_waitcnt lgkmcnt(0)
	v_add_u32_e32 v4, v30, v4
	ds_bpermute_b32 v4, v39, v4
	s_cmp_gt_u32 s37, 55
	s_mov_b64 s[28:29], -1
	s_waitcnt lgkmcnt(0)
	v_cndmask_b32_e64 v4, v4, v30, s[8:9]
	v_cndmask_b32_e64 v41, v4, 0, s[4:5]
	v_add_u32_e32 v42, v41, v1
	v_add_u32_e32 v1, v42, v2
	;; [unrolled: 1-line block ×3, first 2 shown]
	ds_write2_b64 v31, v[41:42], v[1:2] offset0:4 offset1:5
	s_waitcnt lgkmcnt(0)
	s_barrier
	ds_read_b32 v1, v6 offset:32
	ds_read_b32 v2, v8 offset:32
	;; [unrolled: 1-line block ×3, first 2 shown]
	v_lshlrev_b32_e32 v4, 3, v5
	s_waitcnt lgkmcnt(0)
	v_lshl_add_u32 v41, v1, 3, v4
	v_lshlrev_b32_e32 v1, 3, v27
	v_lshlrev_b32_e32 v4, 3, v7
	;; [unrolled: 1-line block ×3, first 2 shown]
	v_add3_u32 v42, v1, v4, v2
	v_lshlrev_b32_e32 v1, 3, v10
	v_lshlrev_b32_e32 v2, 3, v28
	v_lshlrev_b32_e32 v3, 3, v3
	v_add3_u32 v10, v1, v2, v3
                                        ; implicit-def: $vgpr5_vgpr6
                                        ; implicit-def: $vgpr29_vgpr30
                                        ; implicit-def: $vgpr1_vgpr2
                                        ; implicit-def: $vgpr27_vgpr28
	s_cbranch_scc1 .LBB187_3
; %bb.17:                               ;   in Loop: Header=BB187_4 Depth=2
	s_barrier
	ds_write_b64 v41, v[25:26]
	ds_write_b64 v42, v[23:24]
	;; [unrolled: 1-line block ×3, first 2 shown]
	s_waitcnt lgkmcnt(0)
	s_barrier
	ds_read2st64_b64 v[1:4], v34 offset1:1
	ds_read_b64 v[27:28], v34 offset:1024
	s_waitcnt lgkmcnt(0)
	s_barrier
	ds_write_b64 v41, v[19:20]
	ds_write_b64 v42, v[17:18]
	;; [unrolled: 1-line block ×3, first 2 shown]
	s_waitcnt lgkmcnt(0)
	s_barrier
	ds_read2st64_b64 v[5:8], v34 offset1:1
	ds_read_b64 v[29:30], v34 offset:1024
	s_add_i32 s36, s36, -8
	s_add_i32 s33, s33, 8
	s_add_i32 s37, s37, 8
	s_mov_b64 s[28:29], 0
	s_waitcnt lgkmcnt(0)
	s_barrier
	s_branch .LBB187_3
.LBB187_18:
	s_add_u32 s0, s38, s40
	s_addc_u32 s1, s39, s41
	v_lshlrev_b32_e32 v0, 3, v0
	s_waitcnt lgkmcnt(1)
	v_add_u32_e32 v1, v3, v5
	v_add_u32_e32 v2, v4, v6
	;; [unrolled: 1-line block ×4, first 2 shown]
	v_mov_b32_e32 v7, s1
	v_add_co_u32_e32 v8, vcc, s0, v0
	v_addc_co_u32_e32 v7, vcc, 0, v7, vcc
	global_store_dwordx2 v0, v[1:2], s[0:1]
	v_add_co_u32_e32 v0, vcc, 0x1000, v8
	v_addc_co_u32_e32 v1, vcc, 0, v7, vcc
	global_store_dwordx2 v[0:1], v[3:4], off
	v_add_co_u32_e32 v0, vcc, 0x2000, v8
	s_waitcnt lgkmcnt(0)
	v_add_u32_e32 v5, v17, v19
	v_add_u32_e32 v6, v18, v20
	v_addc_co_u32_e32 v1, vcc, 0, v7, vcc
	global_store_dwordx2 v[0:1], v[5:6], off
	s_endpgm
	.section	.rodata,"a",@progbits
	.p2align	6, 0x0
	.amdhsa_kernel _Z17sort_pairs_kernelI22helper_blocked_blockedN15benchmark_utils11custom_typeIiiEELj512ELj3ELj10EEvPKT0_PS4_
		.amdhsa_group_segment_fixed_size 12288
		.amdhsa_private_segment_fixed_size 0
		.amdhsa_kernarg_size 272
		.amdhsa_user_sgpr_count 6
		.amdhsa_user_sgpr_private_segment_buffer 1
		.amdhsa_user_sgpr_dispatch_ptr 0
		.amdhsa_user_sgpr_queue_ptr 0
		.amdhsa_user_sgpr_kernarg_segment_ptr 1
		.amdhsa_user_sgpr_dispatch_id 0
		.amdhsa_user_sgpr_flat_scratch_init 0
		.amdhsa_user_sgpr_private_segment_size 0
		.amdhsa_uses_dynamic_stack 0
		.amdhsa_system_sgpr_private_segment_wavefront_offset 0
		.amdhsa_system_sgpr_workgroup_id_x 1
		.amdhsa_system_sgpr_workgroup_id_y 0
		.amdhsa_system_sgpr_workgroup_id_z 0
		.amdhsa_system_sgpr_workgroup_info 0
		.amdhsa_system_vgpr_workitem_id 2
		.amdhsa_next_free_vgpr 43
		.amdhsa_next_free_sgpr 47
		.amdhsa_reserve_vcc 1
		.amdhsa_reserve_flat_scratch 0
		.amdhsa_float_round_mode_32 0
		.amdhsa_float_round_mode_16_64 0
		.amdhsa_float_denorm_mode_32 3
		.amdhsa_float_denorm_mode_16_64 3
		.amdhsa_dx10_clamp 1
		.amdhsa_ieee_mode 1
		.amdhsa_fp16_overflow 0
		.amdhsa_exception_fp_ieee_invalid_op 0
		.amdhsa_exception_fp_denorm_src 0
		.amdhsa_exception_fp_ieee_div_zero 0
		.amdhsa_exception_fp_ieee_overflow 0
		.amdhsa_exception_fp_ieee_underflow 0
		.amdhsa_exception_fp_ieee_inexact 0
		.amdhsa_exception_int_div_zero 0
	.end_amdhsa_kernel
	.section	.text._Z17sort_pairs_kernelI22helper_blocked_blockedN15benchmark_utils11custom_typeIiiEELj512ELj3ELj10EEvPKT0_PS4_,"axG",@progbits,_Z17sort_pairs_kernelI22helper_blocked_blockedN15benchmark_utils11custom_typeIiiEELj512ELj3ELj10EEvPKT0_PS4_,comdat
.Lfunc_end187:
	.size	_Z17sort_pairs_kernelI22helper_blocked_blockedN15benchmark_utils11custom_typeIiiEELj512ELj3ELj10EEvPKT0_PS4_, .Lfunc_end187-_Z17sort_pairs_kernelI22helper_blocked_blockedN15benchmark_utils11custom_typeIiiEELj512ELj3ELj10EEvPKT0_PS4_
                                        ; -- End function
	.set _Z17sort_pairs_kernelI22helper_blocked_blockedN15benchmark_utils11custom_typeIiiEELj512ELj3ELj10EEvPKT0_PS4_.num_vgpr, 43
	.set _Z17sort_pairs_kernelI22helper_blocked_blockedN15benchmark_utils11custom_typeIiiEELj512ELj3ELj10EEvPKT0_PS4_.num_agpr, 0
	.set _Z17sort_pairs_kernelI22helper_blocked_blockedN15benchmark_utils11custom_typeIiiEELj512ELj3ELj10EEvPKT0_PS4_.numbered_sgpr, 47
	.set _Z17sort_pairs_kernelI22helper_blocked_blockedN15benchmark_utils11custom_typeIiiEELj512ELj3ELj10EEvPKT0_PS4_.num_named_barrier, 0
	.set _Z17sort_pairs_kernelI22helper_blocked_blockedN15benchmark_utils11custom_typeIiiEELj512ELj3ELj10EEvPKT0_PS4_.private_seg_size, 0
	.set _Z17sort_pairs_kernelI22helper_blocked_blockedN15benchmark_utils11custom_typeIiiEELj512ELj3ELj10EEvPKT0_PS4_.uses_vcc, 1
	.set _Z17sort_pairs_kernelI22helper_blocked_blockedN15benchmark_utils11custom_typeIiiEELj512ELj3ELj10EEvPKT0_PS4_.uses_flat_scratch, 0
	.set _Z17sort_pairs_kernelI22helper_blocked_blockedN15benchmark_utils11custom_typeIiiEELj512ELj3ELj10EEvPKT0_PS4_.has_dyn_sized_stack, 0
	.set _Z17sort_pairs_kernelI22helper_blocked_blockedN15benchmark_utils11custom_typeIiiEELj512ELj3ELj10EEvPKT0_PS4_.has_recursion, 0
	.set _Z17sort_pairs_kernelI22helper_blocked_blockedN15benchmark_utils11custom_typeIiiEELj512ELj3ELj10EEvPKT0_PS4_.has_indirect_call, 0
	.section	.AMDGPU.csdata,"",@progbits
; Kernel info:
; codeLenInByte = 2872
; TotalNumSgprs: 51
; NumVgprs: 43
; ScratchSize: 0
; MemoryBound: 0
; FloatMode: 240
; IeeeMode: 1
; LDSByteSize: 12288 bytes/workgroup (compile time only)
; SGPRBlocks: 6
; VGPRBlocks: 10
; NumSGPRsForWavesPerEU: 51
; NumVGPRsForWavesPerEU: 43
; Occupancy: 5
; WaveLimiterHint : 1
; COMPUTE_PGM_RSRC2:SCRATCH_EN: 0
; COMPUTE_PGM_RSRC2:USER_SGPR: 6
; COMPUTE_PGM_RSRC2:TRAP_HANDLER: 0
; COMPUTE_PGM_RSRC2:TGID_X_EN: 1
; COMPUTE_PGM_RSRC2:TGID_Y_EN: 0
; COMPUTE_PGM_RSRC2:TGID_Z_EN: 0
; COMPUTE_PGM_RSRC2:TIDIG_COMP_CNT: 2
	.section	.text._Z16sort_keys_kernelI22helper_blocked_blockedN15benchmark_utils11custom_typeIiiEELj512ELj4ELj10EEvPKT0_PS4_,"axG",@progbits,_Z16sort_keys_kernelI22helper_blocked_blockedN15benchmark_utils11custom_typeIiiEELj512ELj4ELj10EEvPKT0_PS4_,comdat
	.protected	_Z16sort_keys_kernelI22helper_blocked_blockedN15benchmark_utils11custom_typeIiiEELj512ELj4ELj10EEvPKT0_PS4_ ; -- Begin function _Z16sort_keys_kernelI22helper_blocked_blockedN15benchmark_utils11custom_typeIiiEELj512ELj4ELj10EEvPKT0_PS4_
	.globl	_Z16sort_keys_kernelI22helper_blocked_blockedN15benchmark_utils11custom_typeIiiEELj512ELj4ELj10EEvPKT0_PS4_
	.p2align	8
	.type	_Z16sort_keys_kernelI22helper_blocked_blockedN15benchmark_utils11custom_typeIiiEELj512ELj4ELj10EEvPKT0_PS4_,@function
_Z16sort_keys_kernelI22helper_blocked_blockedN15benchmark_utils11custom_typeIiiEELj512ELj4ELj10EEvPKT0_PS4_: ; @_Z16sort_keys_kernelI22helper_blocked_blockedN15benchmark_utils11custom_typeIiiEELj512ELj4ELj10EEvPKT0_PS4_
; %bb.0:
	s_load_dwordx4 s[44:47], s[4:5], 0x0
	s_load_dword s8, s[4:5], 0x1c
	s_lshl_b32 s48, s6, 11
	s_mov_b32 s49, 0
	s_lshl_b64 s[50:51], s[48:49], 3
	s_waitcnt lgkmcnt(0)
	s_add_u32 s0, s44, s50
	s_addc_u32 s1, s45, s51
	v_lshlrev_b32_e32 v13, 3, v0
	v_mov_b32_e32 v3, s1
	v_add_co_u32_e32 v4, vcc, s0, v13
	v_addc_co_u32_e32 v3, vcc, 0, v3, vcc
	s_movk_i32 s2, 0x2000
	v_add_co_u32_e32 v9, vcc, s2, v4
	v_addc_co_u32_e32 v10, vcc, 0, v3, vcc
	s_movk_i32 s2, 0x3000
	v_add_co_u32_e32 v11, vcc, s2, v4
	v_addc_co_u32_e32 v12, vcc, 0, v3, vcc
	global_load_dwordx2 v[15:16], v13, s[0:1]
	global_load_dwordx2 v[7:8], v[9:10], off offset:-4096
	global_load_dwordx2 v[5:6], v[9:10], off
	global_load_dwordx2 v[3:4], v[11:12], off
	s_lshr_b32 s9, s8, 16
	v_mbcnt_lo_u32_b32 v10, -1, 0
	s_and_b32 s8, s8, 0xffff
	v_mad_u32_u24 v1, v2, s9, v1
	v_mbcnt_hi_u32_b32 v10, -1, v10
	v_mad_u64_u32 v[1:2], s[8:9], v1, s8, v[0:1]
	v_and_b32_e32 v2, 15, v10
	v_cmp_eq_u32_e64 s[8:9], 0, v2
	v_cmp_lt_u32_e64 s[10:11], 1, v2
	v_cmp_lt_u32_e64 s[12:13], 3, v2
	;; [unrolled: 1-line block ×3, first 2 shown]
	v_and_b32_e32 v2, 16, v10
	v_cmp_eq_u32_e64 s[16:17], 0, v2
	v_or_b32_e32 v2, 63, v0
	v_and_b32_e32 v13, 64, v10
	v_cmp_eq_u32_e64 s[20:21], v0, v2
	v_subrev_co_u32_e64 v2, s[26:27], 1, v10
	v_cmp_lt_i32_e32 vcc, v2, v13
	v_cndmask_b32_e32 v2, v2, v10, vcc
	v_lshrrev_b32_e32 v11, 2, v10
	v_lshlrev_b32_e32 v28, 2, v2
	v_lshrrev_b32_e32 v2, 4, v0
	v_or_b32_e32 v14, v11, v13
	v_add_u32_e32 v11, 48, v11
	v_and_b32_e32 v29, 28, v2
	v_and_b32_e32 v2, 7, v10
	;; [unrolled: 1-line block ×3, first 2 shown]
	v_and_or_b32 v11, v11, 63, v13
	v_lshlrev_b32_e32 v27, 4, v0
	v_cmp_eq_u32_e64 s[30:31], 0, v2
	v_cmp_lt_u32_e64 s[34:35], 1, v2
	v_cmp_lt_u32_e64 s[36:37], 3, v2
	v_lshlrev_b32_e32 v2, 5, v0
	v_lshrrev_b32_e32 v1, 4, v1
	s_mov_b32 s48, s49
	s_mov_b32 s38, s49
	v_lshlrev_b32_e32 v23, 2, v14
	v_cmp_eq_u32_e64 s[0:1], 0, v12
	v_cmp_eq_u32_e64 s[2:3], 1, v12
	;; [unrolled: 1-line block ×4, first 2 shown]
	v_lshlrev_b32_e32 v26, 2, v11
	v_mad_i32_i24 v30, v0, -12, v27
	v_and_b32_e32 v2, 0x3800, v2
	v_and_b32_e32 v33, 0xffffffc, v1
	v_mul_u32_u24_e32 v1, 28, v0
	s_mov_b32 s39, s49
	v_mov_b32_e32 v11, s48
	v_mov_b32_e32 v13, s38
	;; [unrolled: 1-line block ×3, first 2 shown]
	v_add_u32_e32 v24, 64, v23
	v_or_b32_e32 v25, 0x80, v23
	v_cmp_lt_u32_e64 s[18:19], 31, v10
	v_cmp_gt_u32_e64 s[22:23], 8, v0
	v_cmp_lt_u32_e64 s[24:25], 63, v0
	v_cmp_eq_u32_e64 s[28:29], 0, v0
	v_add_u32_e32 v31, -4, v29
	v_lshl_or_b32 v32, v10, 3, v2
	v_mov_b32_e32 v12, s49
	v_mov_b32_e32 v14, s39
	v_add_u32_e32 v34, v30, v1
	s_branch .LBB188_2
.LBB188_1:                              ;   in Loop: Header=BB188_2 Depth=1
	s_barrier
	ds_write_b64 v37, v[21:22]
	ds_write_b64 v35, v[19:20]
	;; [unrolled: 1-line block ×4, first 2 shown]
	s_waitcnt lgkmcnt(0)
	s_barrier
	ds_read2_b64 v[1:4], v34 offset1:1
	ds_read2_b64 v[17:20], v34 offset0:2 offset1:3
	s_add_i32 s49, s49, 1
	s_cmp_eq_u32 s49, 10
	s_waitcnt lgkmcnt(1)
	v_xor_b32_e32 v15, 0x80000000, v1
	v_xor_b32_e32 v16, 0x80000000, v2
	;; [unrolled: 1-line block ×4, first 2 shown]
	s_waitcnt lgkmcnt(0)
	v_xor_b32_e32 v5, 0x80000000, v17
	v_xor_b32_e32 v6, 0x80000000, v18
	;; [unrolled: 1-line block ×4, first 2 shown]
	s_cbranch_scc1 .LBB188_20
.LBB188_2:                              ; =>This Loop Header: Depth=1
                                        ;     Child Loop BB188_4 Depth 2
	s_waitcnt vmcnt(3)
	v_xor_b32_e32 v10, 0x80000000, v15
	v_xor_b32_e32 v15, 0x80000000, v16
	s_waitcnt vmcnt(2)
	v_xor_b32_e32 v8, 0x80000000, v8
	ds_bpermute_b32 v1, v23, v15
	s_waitcnt vmcnt(1)
	v_xor_b32_e32 v17, 0x80000000, v6
	s_waitcnt vmcnt(0)
	v_xor_b32_e32 v18, 0x80000000, v3
	ds_bpermute_b32 v3, v23, v8
	v_xor_b32_e32 v16, 0x80000000, v5
	ds_bpermute_b32 v5, v23, v17
	;; [unrolled: 2-line block ×3, first 2 shown]
	v_xor_b32_e32 v19, 0x80000000, v4
	s_waitcnt lgkmcnt(3)
	v_cndmask_b32_e64 v1, 0, v1, s[0:1]
	ds_bpermute_b32 v4, v23, v7
	ds_bpermute_b32 v6, v23, v16
	s_waitcnt lgkmcnt(4)
	v_cndmask_b32_e64 v1, v1, v3, s[2:3]
	ds_bpermute_b32 v3, v23, v19
	s_waitcnt lgkmcnt(4)
	v_cndmask_b32_e64 v1, v1, v5, s[4:5]
	;; [unrolled: 3-line block ×3, first 2 shown]
	s_waitcnt lgkmcnt(3)
	v_cndmask_b32_e64 v2, v2, v4, s[2:3]
	s_waitcnt lgkmcnt(2)
	v_cndmask_b32_e64 v4, v2, v6, s[4:5]
	ds_bpermute_b32 v6, v24, v10
	s_waitcnt lgkmcnt(2)
	v_cndmask_b32_e64 v2, v1, v3, s[6:7]
	ds_bpermute_b32 v3, v24, v15
	;; [unrolled: 3-line block ×3, first 2 shown]
	ds_bpermute_b32 v20, v24, v8
	s_waitcnt lgkmcnt(3)
	v_cndmask_b32_e64 v5, 0, v6, s[0:1]
	s_waitcnt lgkmcnt(2)
	v_cndmask_b32_e64 v3, 0, v3, s[0:1]
	ds_bpermute_b32 v6, v24, v17
	s_waitcnt lgkmcnt(2)
	v_cndmask_b32_e64 v4, v5, v4, s[2:3]
	ds_bpermute_b32 v5, v24, v16
	;; [unrolled: 3-line block ×3, first 2 shown]
	ds_bpermute_b32 v21, v24, v18
	s_waitcnt lgkmcnt(3)
	v_cndmask_b32_e64 v3, v3, v6, s[4:5]
	ds_bpermute_b32 v6, v25, v15
	s_waitcnt lgkmcnt(3)
	v_cndmask_b32_e64 v5, v4, v5, s[4:5]
	;; [unrolled: 3-line block ×3, first 2 shown]
	s_waitcnt lgkmcnt(2)
	v_cndmask_b32_e64 v3, v5, v21, s[6:7]
	ds_bpermute_b32 v5, v25, v10
	ds_bpermute_b32 v20, v25, v8
	;; [unrolled: 1-line block ×5, first 2 shown]
	s_waitcnt lgkmcnt(5)
	v_cndmask_b32_e64 v15, 0, v15, s[0:1]
	ds_bpermute_b32 v7, v26, v7
	v_cndmask_b32_e64 v6, 0, v6, s[0:1]
	ds_bpermute_b32 v22, v25, v17
	s_waitcnt lgkmcnt(6)
	v_cndmask_b32_e64 v5, 0, v5, s[0:1]
	ds_bpermute_b32 v35, v25, v16
	s_waitcnt lgkmcnt(5)
	v_cndmask_b32_e64 v8, v15, v8, s[2:3]
	ds_bpermute_b32 v15, v26, v17
	ds_bpermute_b32 v16, v26, v16
	v_cndmask_b32_e64 v6, v6, v20, s[2:3]
	s_waitcnt lgkmcnt(6)
	v_cndmask_b32_e64 v5, v5, v21, s[2:3]
	ds_bpermute_b32 v20, v25, v19
	ds_bpermute_b32 v21, v25, v18
	;; [unrolled: 1-line block ×4, first 2 shown]
	s_waitcnt lgkmcnt(9)
	v_cndmask_b32_e64 v10, 0, v10, s[0:1]
	s_waitcnt lgkmcnt(8)
	v_cndmask_b32_e64 v7, v10, v7, s[2:3]
	;; [unrolled: 2-line block ×10, first 2 shown]
	s_mov_b32 s33, 8
	s_mov_b32 s44, 32
	;; [unrolled: 1-line block ×3, first 2 shown]
	s_barrier
	s_branch .LBB188_4
.LBB188_3:                              ;   in Loop: Header=BB188_4 Depth=2
	s_andn2_b64 vcc, exec, s[38:39]
	s_cbranch_vccz .LBB188_1
.LBB188_4:                              ;   Parent Loop BB188_2 Depth=1
                                        ; =>  This Inner Loop Header: Depth=2
	s_min_i32 s40, s33, 32
	s_cmp_lt_u32 s45, 32
	s_cselect_b64 s[38:39], -1, 0
	s_cmp_gt_u32 s45, 31
	s_cselect_b64 vcc, -1, 0
	s_sub_i32 s40, s40, 32
	s_add_i32 s41, s40, s44
	s_lshl_b32 s41, -1, s41
	s_not_b32 s41, s41
	s_cmp_lg_u32 s40, s45
	s_cselect_b32 s52, s41, -1
	s_max_i32 s48, s44, 0
	s_max_i32 s40, s45, 32
	s_sub_i32 s53, s40, 32
	s_sub_i32 s40, s40, s48
	;; [unrolled: 1-line block ×3, first 2 shown]
	s_min_i32 s40, s40, 32
	s_sub_i32 s40, s40, s53
	s_lshl_b32 s41, -1, s40
	v_mov_b32_e32 v22, v2
	s_not_b32 s41, s41
	v_mov_b32_e32 v21, v1
	s_cmp_lg_u32 s40, 32
	s_cselect_b32 s54, s41, -1
	v_lshrrev_b32_e32 v2, s53, v21
	v_lshrrev_b32_e32 v1, s45, v22
	v_and_b32_e32 v2, s54, v2
	v_and_b32_e32 v1, s52, v1
	v_lshlrev_b32_e32 v2, s48, v2
	v_cndmask_b32_e64 v1, 0, v1, s[38:39]
	v_cndmask_b32_e32 v2, 0, v2, vcc
	v_or_b32_e32 v1, v1, v2
	v_mov_b32_e32 v20, v4
	v_and_b32_e32 v2, 1, v1
	v_mov_b32_e32 v19, v3
	v_mov_b32_e32 v18, v6
	v_add_co_u32_e64 v4, s[40:41], -1, v2
	v_mov_b32_e32 v17, v5
	v_addc_co_u32_e64 v5, s[40:41], 0, -1, s[40:41]
	v_cmp_ne_u32_e64 s[40:41], 0, v2
	v_lshlrev_b32_e32 v10, 30, v1
	v_xor_b32_e32 v2, s41, v5
	v_xor_b32_e32 v4, s40, v4
	v_cmp_gt_i64_e64 s[40:41], 0, v[9:10]
	v_not_b32_e32 v5, v10
	v_ashrrev_i32_e32 v5, 31, v5
	v_and_b32_e32 v4, exec_lo, v4
	v_xor_b32_e32 v6, s41, v5
	v_xor_b32_e32 v5, s40, v5
	v_lshlrev_b32_e32 v10, 29, v1
	v_and_b32_e32 v4, v4, v5
	v_cmp_gt_i64_e64 s[40:41], 0, v[9:10]
	v_not_b32_e32 v5, v10
	v_and_b32_e32 v2, exec_hi, v2
	v_ashrrev_i32_e32 v5, 31, v5
	v_and_b32_e32 v2, v2, v6
	v_xor_b32_e32 v6, s41, v5
	v_xor_b32_e32 v5, s40, v5
	v_lshlrev_b32_e32 v10, 28, v1
	v_and_b32_e32 v4, v4, v5
	v_cmp_gt_i64_e64 s[40:41], 0, v[9:10]
	v_not_b32_e32 v5, v10
	v_ashrrev_i32_e32 v5, 31, v5
	v_and_b32_e32 v2, v2, v6
	v_xor_b32_e32 v6, s41, v5
	v_xor_b32_e32 v5, s40, v5
	v_lshlrev_b32_e32 v10, 27, v1
	v_and_b32_e32 v4, v4, v5
	v_cmp_gt_i64_e64 s[40:41], 0, v[9:10]
	v_not_b32_e32 v5, v10
	;; [unrolled: 8-line block ×4, first 2 shown]
	v_ashrrev_i32_e32 v5, 31, v5
	v_lshlrev_b32_e32 v10, 24, v1
	v_lshlrev_b32_e32 v3, 5, v1
	v_and_b32_e32 v2, v2, v6
	v_xor_b32_e32 v6, s41, v5
	v_xor_b32_e32 v5, s40, v5
	v_cmp_gt_i64_e64 s[40:41], 0, v[9:10]
	v_not_b32_e32 v1, v10
	v_ashrrev_i32_e32 v1, 31, v1
	v_and_b32_e32 v4, v4, v5
	v_xor_b32_e32 v5, s41, v1
	v_xor_b32_e32 v1, s40, v1
	v_and_b32_e32 v2, v2, v6
	v_and_b32_e32 v1, v4, v1
	;; [unrolled: 1-line block ×3, first 2 shown]
	v_mbcnt_lo_u32_b32 v4, v1, 0
	v_mbcnt_hi_u32_b32 v5, v2, v4
	v_cmp_ne_u64_e64 s[40:41], 0, v[1:2]
	v_mov_b32_e32 v16, v8
	v_cmp_eq_u32_e64 s[42:43], 0, v5
	v_mov_b32_e32 v15, v7
	s_and_b64 s[42:43], s[42:43], s[40:41]
	v_add_u32_e32 v6, v33, v3
	ds_write2_b64 v27, v[11:12], v[13:14] offset0:4 offset1:5
	s_waitcnt lgkmcnt(0)
	s_barrier
	; wave barrier
	s_and_saveexec_b64 s[40:41], s[42:43]
; %bb.5:                                ;   in Loop: Header=BB188_4 Depth=2
	v_bcnt_u32_b32 v1, v1, 0
	v_bcnt_u32_b32 v1, v2, v1
	ds_write_b32 v6, v1 offset:32
; %bb.6:                                ;   in Loop: Header=BB188_4 Depth=2
	s_or_b64 exec, exec, s[40:41]
	v_lshrrev_b32_e32 v2, s53, v19
	v_lshrrev_b32_e32 v1, s45, v20
	v_and_b32_e32 v2, s54, v2
	v_and_b32_e32 v1, s52, v1
	v_lshlrev_b32_e32 v2, s48, v2
	v_cndmask_b32_e64 v1, 0, v1, s[38:39]
	v_cndmask_b32_e32 v2, 0, v2, vcc
	v_or_b32_e32 v1, v1, v2
	v_lshlrev_b32_e32 v2, 5, v1
	v_add_u32_e32 v8, v33, v2
	v_and_b32_e32 v2, 1, v1
	v_add_co_u32_e64 v3, s[40:41], -1, v2
	v_addc_co_u32_e64 v4, s[40:41], 0, -1, s[40:41]
	v_cmp_ne_u32_e64 s[40:41], 0, v2
	v_lshlrev_b32_e32 v10, 30, v1
	v_xor_b32_e32 v2, s41, v4
	v_xor_b32_e32 v3, s40, v3
	v_cmp_gt_i64_e64 s[40:41], 0, v[9:10]
	v_not_b32_e32 v4, v10
	v_ashrrev_i32_e32 v4, 31, v4
	v_and_b32_e32 v2, exec_hi, v2
	v_xor_b32_e32 v10, s41, v4
	v_and_b32_e32 v3, exec_lo, v3
	v_xor_b32_e32 v4, s40, v4
	v_and_b32_e32 v2, v2, v10
	v_lshlrev_b32_e32 v10, 29, v1
	v_and_b32_e32 v3, v3, v4
	v_cmp_gt_i64_e64 s[40:41], 0, v[9:10]
	v_not_b32_e32 v4, v10
	v_ashrrev_i32_e32 v4, 31, v4
	v_xor_b32_e32 v10, s41, v4
	v_xor_b32_e32 v4, s40, v4
	v_and_b32_e32 v2, v2, v10
	v_lshlrev_b32_e32 v10, 28, v1
	v_and_b32_e32 v3, v3, v4
	v_cmp_gt_i64_e64 s[40:41], 0, v[9:10]
	v_not_b32_e32 v4, v10
	v_ashrrev_i32_e32 v4, 31, v4
	v_xor_b32_e32 v10, s41, v4
	;; [unrolled: 8-line block ×5, first 2 shown]
	v_and_b32_e32 v2, v2, v10
	v_lshlrev_b32_e32 v10, 24, v1
	v_xor_b32_e32 v4, s40, v4
	v_cmp_gt_i64_e64 s[40:41], 0, v[9:10]
	v_not_b32_e32 v1, v10
	v_ashrrev_i32_e32 v1, 31, v1
	v_and_b32_e32 v3, v3, v4
	v_xor_b32_e32 v4, s41, v1
	v_xor_b32_e32 v1, s40, v1
	; wave barrier
	ds_read_b32 v7, v8 offset:32
	v_and_b32_e32 v1, v3, v1
	v_and_b32_e32 v2, v2, v4
	v_mbcnt_lo_u32_b32 v3, v1, 0
	v_mbcnt_hi_u32_b32 v35, v2, v3
	v_cmp_ne_u64_e64 s[40:41], 0, v[1:2]
	v_cmp_eq_u32_e64 s[42:43], 0, v35
	s_and_b64 s[42:43], s[42:43], s[40:41]
	; wave barrier
	s_and_saveexec_b64 s[40:41], s[42:43]
	s_cbranch_execz .LBB188_8
; %bb.7:                                ;   in Loop: Header=BB188_4 Depth=2
	v_bcnt_u32_b32 v1, v1, 0
	v_bcnt_u32_b32 v1, v2, v1
	s_waitcnt lgkmcnt(0)
	v_add_u32_e32 v1, v7, v1
	ds_write_b32 v8, v1 offset:32
.LBB188_8:                              ;   in Loop: Header=BB188_4 Depth=2
	s_or_b64 exec, exec, s[40:41]
	v_lshrrev_b32_e32 v2, s53, v17
	v_lshrrev_b32_e32 v1, s45, v18
	v_and_b32_e32 v2, s54, v2
	v_and_b32_e32 v1, s52, v1
	v_lshlrev_b32_e32 v2, s48, v2
	v_cndmask_b32_e64 v1, 0, v1, s[38:39]
	v_cndmask_b32_e32 v2, 0, v2, vcc
	v_or_b32_e32 v1, v1, v2
	v_lshlrev_b32_e32 v2, 5, v1
	v_add_u32_e32 v37, v33, v2
	v_and_b32_e32 v2, 1, v1
	v_add_co_u32_e64 v3, s[40:41], -1, v2
	v_addc_co_u32_e64 v4, s[40:41], 0, -1, s[40:41]
	v_cmp_ne_u32_e64 s[40:41], 0, v2
	v_lshlrev_b32_e32 v10, 30, v1
	v_xor_b32_e32 v2, s41, v4
	v_xor_b32_e32 v3, s40, v3
	v_cmp_gt_i64_e64 s[40:41], 0, v[9:10]
	v_not_b32_e32 v4, v10
	v_ashrrev_i32_e32 v4, 31, v4
	v_and_b32_e32 v2, exec_hi, v2
	v_xor_b32_e32 v10, s41, v4
	v_and_b32_e32 v3, exec_lo, v3
	v_xor_b32_e32 v4, s40, v4
	v_and_b32_e32 v2, v2, v10
	v_lshlrev_b32_e32 v10, 29, v1
	v_and_b32_e32 v3, v3, v4
	v_cmp_gt_i64_e64 s[40:41], 0, v[9:10]
	v_not_b32_e32 v4, v10
	v_ashrrev_i32_e32 v4, 31, v4
	v_xor_b32_e32 v10, s41, v4
	v_xor_b32_e32 v4, s40, v4
	v_and_b32_e32 v2, v2, v10
	v_lshlrev_b32_e32 v10, 28, v1
	v_and_b32_e32 v3, v3, v4
	v_cmp_gt_i64_e64 s[40:41], 0, v[9:10]
	v_not_b32_e32 v4, v10
	v_ashrrev_i32_e32 v4, 31, v4
	v_xor_b32_e32 v10, s41, v4
	;; [unrolled: 8-line block ×5, first 2 shown]
	v_and_b32_e32 v2, v2, v10
	v_lshlrev_b32_e32 v10, 24, v1
	v_xor_b32_e32 v4, s40, v4
	v_cmp_gt_i64_e64 s[40:41], 0, v[9:10]
	v_not_b32_e32 v1, v10
	v_ashrrev_i32_e32 v1, 31, v1
	v_and_b32_e32 v3, v3, v4
	v_xor_b32_e32 v4, s41, v1
	v_xor_b32_e32 v1, s40, v1
	; wave barrier
	ds_read_b32 v36, v37 offset:32
	v_and_b32_e32 v1, v3, v1
	v_and_b32_e32 v2, v2, v4
	v_mbcnt_lo_u32_b32 v3, v1, 0
	v_mbcnt_hi_u32_b32 v38, v2, v3
	v_cmp_ne_u64_e64 s[40:41], 0, v[1:2]
	v_cmp_eq_u32_e64 s[42:43], 0, v38
	s_and_b64 s[42:43], s[42:43], s[40:41]
	; wave barrier
	s_and_saveexec_b64 s[40:41], s[42:43]
	s_cbranch_execz .LBB188_10
; %bb.9:                                ;   in Loop: Header=BB188_4 Depth=2
	v_bcnt_u32_b32 v1, v1, 0
	v_bcnt_u32_b32 v1, v2, v1
	s_waitcnt lgkmcnt(0)
	v_add_u32_e32 v1, v36, v1
	ds_write_b32 v37, v1 offset:32
.LBB188_10:                             ;   in Loop: Header=BB188_4 Depth=2
	s_or_b64 exec, exec, s[40:41]
	v_lshrrev_b32_e32 v2, s53, v15
	v_lshrrev_b32_e32 v1, s45, v16
	v_and_b32_e32 v2, s54, v2
	v_and_b32_e32 v1, s52, v1
	v_lshlrev_b32_e32 v2, s48, v2
	v_cndmask_b32_e64 v1, 0, v1, s[38:39]
	v_cndmask_b32_e32 v2, 0, v2, vcc
	v_or_b32_e32 v1, v1, v2
	v_lshlrev_b32_e32 v2, 5, v1
	v_add_u32_e32 v40, v33, v2
	v_and_b32_e32 v2, 1, v1
	v_add_co_u32_e32 v3, vcc, -1, v2
	v_addc_co_u32_e64 v4, s[38:39], 0, -1, vcc
	v_cmp_ne_u32_e32 vcc, 0, v2
	v_lshlrev_b32_e32 v10, 30, v1
	v_xor_b32_e32 v2, vcc_hi, v4
	v_xor_b32_e32 v3, vcc_lo, v3
	v_cmp_gt_i64_e32 vcc, 0, v[9:10]
	v_not_b32_e32 v4, v10
	v_ashrrev_i32_e32 v4, 31, v4
	v_and_b32_e32 v2, exec_hi, v2
	v_xor_b32_e32 v10, vcc_hi, v4
	v_and_b32_e32 v3, exec_lo, v3
	v_xor_b32_e32 v4, vcc_lo, v4
	v_and_b32_e32 v2, v2, v10
	v_lshlrev_b32_e32 v10, 29, v1
	v_and_b32_e32 v3, v3, v4
	v_cmp_gt_i64_e32 vcc, 0, v[9:10]
	v_not_b32_e32 v4, v10
	v_ashrrev_i32_e32 v4, 31, v4
	v_xor_b32_e32 v10, vcc_hi, v4
	v_xor_b32_e32 v4, vcc_lo, v4
	v_and_b32_e32 v2, v2, v10
	v_lshlrev_b32_e32 v10, 28, v1
	v_and_b32_e32 v3, v3, v4
	v_cmp_gt_i64_e32 vcc, 0, v[9:10]
	v_not_b32_e32 v4, v10
	v_ashrrev_i32_e32 v4, 31, v4
	v_xor_b32_e32 v10, vcc_hi, v4
	;; [unrolled: 8-line block ×5, first 2 shown]
	v_and_b32_e32 v2, v2, v10
	v_lshlrev_b32_e32 v10, 24, v1
	v_xor_b32_e32 v4, vcc_lo, v4
	v_cmp_gt_i64_e32 vcc, 0, v[9:10]
	v_not_b32_e32 v1, v10
	v_ashrrev_i32_e32 v1, 31, v1
	v_and_b32_e32 v3, v3, v4
	v_xor_b32_e32 v4, vcc_hi, v1
	v_xor_b32_e32 v1, vcc_lo, v1
	; wave barrier
	ds_read_b32 v39, v40 offset:32
	v_and_b32_e32 v1, v3, v1
	v_and_b32_e32 v2, v2, v4
	v_mbcnt_lo_u32_b32 v3, v1, 0
	v_mbcnt_hi_u32_b32 v10, v2, v3
	v_cmp_ne_u64_e32 vcc, 0, v[1:2]
	v_cmp_eq_u32_e64 s[38:39], 0, v10
	s_and_b64 s[40:41], s[38:39], vcc
	; wave barrier
	s_and_saveexec_b64 s[38:39], s[40:41]
	s_cbranch_execz .LBB188_12
; %bb.11:                               ;   in Loop: Header=BB188_4 Depth=2
	v_bcnt_u32_b32 v1, v1, 0
	v_bcnt_u32_b32 v1, v2, v1
	s_waitcnt lgkmcnt(0)
	v_add_u32_e32 v1, v39, v1
	ds_write_b32 v40, v1 offset:32
.LBB188_12:                             ;   in Loop: Header=BB188_4 Depth=2
	s_or_b64 exec, exec, s[38:39]
	; wave barrier
	s_waitcnt lgkmcnt(0)
	s_barrier
	ds_read2_b64 v[1:4], v27 offset0:4 offset1:5
	s_waitcnt lgkmcnt(0)
	v_add_u32_e32 v41, v2, v1
	v_add3_u32 v4, v41, v3, v4
	s_nop 1
	v_mov_b32_dpp v41, v4 row_shr:1 row_mask:0xf bank_mask:0xf
	v_cndmask_b32_e64 v41, v41, 0, s[8:9]
	v_add_u32_e32 v4, v41, v4
	s_nop 1
	v_mov_b32_dpp v41, v4 row_shr:2 row_mask:0xf bank_mask:0xf
	v_cndmask_b32_e64 v41, 0, v41, s[10:11]
	v_add_u32_e32 v4, v4, v41
	s_nop 1
	v_mov_b32_dpp v41, v4 row_shr:4 row_mask:0xf bank_mask:0xf
	v_cndmask_b32_e64 v41, 0, v41, s[12:13]
	v_add_u32_e32 v4, v4, v41
	s_nop 1
	v_mov_b32_dpp v41, v4 row_shr:8 row_mask:0xf bank_mask:0xf
	v_cndmask_b32_e64 v41, 0, v41, s[14:15]
	v_add_u32_e32 v4, v4, v41
	s_nop 1
	v_mov_b32_dpp v41, v4 row_bcast:15 row_mask:0xf bank_mask:0xf
	v_cndmask_b32_e64 v41, v41, 0, s[16:17]
	v_add_u32_e32 v4, v4, v41
	s_nop 1
	v_mov_b32_dpp v41, v4 row_bcast:31 row_mask:0xf bank_mask:0xf
	v_cndmask_b32_e64 v41, 0, v41, s[18:19]
	v_add_u32_e32 v4, v4, v41
	s_and_saveexec_b64 s[38:39], s[20:21]
; %bb.13:                               ;   in Loop: Header=BB188_4 Depth=2
	ds_write_b32 v29, v4
; %bb.14:                               ;   in Loop: Header=BB188_4 Depth=2
	s_or_b64 exec, exec, s[38:39]
	s_waitcnt lgkmcnt(0)
	s_barrier
	s_and_saveexec_b64 s[38:39], s[22:23]
	s_cbranch_execz .LBB188_16
; %bb.15:                               ;   in Loop: Header=BB188_4 Depth=2
	ds_read_b32 v41, v30
	s_waitcnt lgkmcnt(0)
	s_nop 0
	v_mov_b32_dpp v42, v41 row_shr:1 row_mask:0xf bank_mask:0xf
	v_cndmask_b32_e64 v42, v42, 0, s[30:31]
	v_add_u32_e32 v41, v42, v41
	s_nop 1
	v_mov_b32_dpp v42, v41 row_shr:2 row_mask:0xf bank_mask:0xf
	v_cndmask_b32_e64 v42, 0, v42, s[34:35]
	v_add_u32_e32 v41, v41, v42
	;; [unrolled: 4-line block ×3, first 2 shown]
	ds_write_b32 v30, v41
.LBB188_16:                             ;   in Loop: Header=BB188_4 Depth=2
	s_or_b64 exec, exec, s[38:39]
	v_mov_b32_e32 v41, 0
	s_waitcnt lgkmcnt(0)
	s_barrier
	s_and_saveexec_b64 s[38:39], s[24:25]
; %bb.17:                               ;   in Loop: Header=BB188_4 Depth=2
	ds_read_b32 v41, v31
; %bb.18:                               ;   in Loop: Header=BB188_4 Depth=2
	s_or_b64 exec, exec, s[38:39]
	s_waitcnt lgkmcnt(0)
	v_add_u32_e32 v4, v41, v4
	ds_bpermute_b32 v4, v28, v4
	v_lshlrev_b32_e32 v5, 3, v5
	s_cmp_gt_u32 s45, 55
	s_mov_b64 s[38:39], -1
	s_waitcnt lgkmcnt(0)
	v_cndmask_b32_e64 v4, v4, v41, s[26:27]
	v_cndmask_b32_e64 v41, v4, 0, s[28:29]
	v_add_u32_e32 v42, v41, v1
	v_add_u32_e32 v1, v42, v2
	;; [unrolled: 1-line block ×3, first 2 shown]
	ds_write2_b64 v27, v[41:42], v[1:2] offset0:4 offset1:5
	s_waitcnt lgkmcnt(0)
	s_barrier
	ds_read_b32 v1, v6 offset:32
	ds_read_b32 v2, v8 offset:32
	;; [unrolled: 1-line block ×4, first 2 shown]
	s_waitcnt lgkmcnt(0)
	v_lshl_add_u32 v37, v1, 3, v5
	v_lshlrev_b32_e32 v1, 3, v35
	v_lshlrev_b32_e32 v5, 3, v7
	v_lshlrev_b32_e32 v2, 3, v2
	v_add3_u32 v35, v1, v5, v2
	v_lshlrev_b32_e32 v1, 3, v38
	v_lshlrev_b32_e32 v2, 3, v36
	v_lshlrev_b32_e32 v3, 3, v3
	v_add3_u32 v36, v1, v2, v3
	;; [unrolled: 4-line block ×3, first 2 shown]
                                        ; implicit-def: $vgpr1_vgpr2
                                        ; implicit-def: $vgpr5_vgpr6
	s_cbranch_scc1 .LBB188_3
; %bb.19:                               ;   in Loop: Header=BB188_4 Depth=2
	s_barrier
	ds_write_b64 v37, v[21:22]
	ds_write_b64 v35, v[19:20]
	;; [unrolled: 1-line block ×4, first 2 shown]
	s_waitcnt lgkmcnt(0)
	s_barrier
	ds_read2st64_b64 v[1:4], v32 offset1:1
	ds_read2st64_b64 v[5:8], v32 offset0:2 offset1:3
	s_add_i32 s44, s44, -8
	s_add_i32 s33, s33, 8
	s_add_i32 s45, s45, 8
	s_mov_b64 s[38:39], 0
	s_waitcnt lgkmcnt(0)
	s_barrier
	s_branch .LBB188_3
.LBB188_20:
	s_add_u32 s0, s46, s50
	s_addc_u32 s1, s47, s51
	v_lshlrev_b32_e32 v0, 3, v0
	v_mov_b32_e32 v1, s1
	v_add_co_u32_e32 v2, vcc, s0, v0
	v_addc_co_u32_e32 v9, vcc, 0, v1, vcc
	global_store_dwordx2 v0, v[15:16], s[0:1]
	v_add_co_u32_e32 v0, vcc, 0x1000, v2
	v_addc_co_u32_e32 v1, vcc, 0, v9, vcc
	global_store_dwordx2 v[0:1], v[7:8], off
	v_add_co_u32_e32 v0, vcc, 0x2000, v2
	v_addc_co_u32_e32 v1, vcc, 0, v9, vcc
	global_store_dwordx2 v[0:1], v[5:6], off
	;; [unrolled: 3-line block ×3, first 2 shown]
	s_endpgm
	.section	.rodata,"a",@progbits
	.p2align	6, 0x0
	.amdhsa_kernel _Z16sort_keys_kernelI22helper_blocked_blockedN15benchmark_utils11custom_typeIiiEELj512ELj4ELj10EEvPKT0_PS4_
		.amdhsa_group_segment_fixed_size 16384
		.amdhsa_private_segment_fixed_size 0
		.amdhsa_kernarg_size 272
		.amdhsa_user_sgpr_count 6
		.amdhsa_user_sgpr_private_segment_buffer 1
		.amdhsa_user_sgpr_dispatch_ptr 0
		.amdhsa_user_sgpr_queue_ptr 0
		.amdhsa_user_sgpr_kernarg_segment_ptr 1
		.amdhsa_user_sgpr_dispatch_id 0
		.amdhsa_user_sgpr_flat_scratch_init 0
		.amdhsa_user_sgpr_private_segment_size 0
		.amdhsa_uses_dynamic_stack 0
		.amdhsa_system_sgpr_private_segment_wavefront_offset 0
		.amdhsa_system_sgpr_workgroup_id_x 1
		.amdhsa_system_sgpr_workgroup_id_y 0
		.amdhsa_system_sgpr_workgroup_id_z 0
		.amdhsa_system_sgpr_workgroup_info 0
		.amdhsa_system_vgpr_workitem_id 2
		.amdhsa_next_free_vgpr 43
		.amdhsa_next_free_sgpr 61
		.amdhsa_reserve_vcc 1
		.amdhsa_reserve_flat_scratch 0
		.amdhsa_float_round_mode_32 0
		.amdhsa_float_round_mode_16_64 0
		.amdhsa_float_denorm_mode_32 3
		.amdhsa_float_denorm_mode_16_64 3
		.amdhsa_dx10_clamp 1
		.amdhsa_ieee_mode 1
		.amdhsa_fp16_overflow 0
		.amdhsa_exception_fp_ieee_invalid_op 0
		.amdhsa_exception_fp_denorm_src 0
		.amdhsa_exception_fp_ieee_div_zero 0
		.amdhsa_exception_fp_ieee_overflow 0
		.amdhsa_exception_fp_ieee_underflow 0
		.amdhsa_exception_fp_ieee_inexact 0
		.amdhsa_exception_int_div_zero 0
	.end_amdhsa_kernel
	.section	.text._Z16sort_keys_kernelI22helper_blocked_blockedN15benchmark_utils11custom_typeIiiEELj512ELj4ELj10EEvPKT0_PS4_,"axG",@progbits,_Z16sort_keys_kernelI22helper_blocked_blockedN15benchmark_utils11custom_typeIiiEELj512ELj4ELj10EEvPKT0_PS4_,comdat
.Lfunc_end188:
	.size	_Z16sort_keys_kernelI22helper_blocked_blockedN15benchmark_utils11custom_typeIiiEELj512ELj4ELj10EEvPKT0_PS4_, .Lfunc_end188-_Z16sort_keys_kernelI22helper_blocked_blockedN15benchmark_utils11custom_typeIiiEELj512ELj4ELj10EEvPKT0_PS4_
                                        ; -- End function
	.set _Z16sort_keys_kernelI22helper_blocked_blockedN15benchmark_utils11custom_typeIiiEELj512ELj4ELj10EEvPKT0_PS4_.num_vgpr, 43
	.set _Z16sort_keys_kernelI22helper_blocked_blockedN15benchmark_utils11custom_typeIiiEELj512ELj4ELj10EEvPKT0_PS4_.num_agpr, 0
	.set _Z16sort_keys_kernelI22helper_blocked_blockedN15benchmark_utils11custom_typeIiiEELj512ELj4ELj10EEvPKT0_PS4_.numbered_sgpr, 55
	.set _Z16sort_keys_kernelI22helper_blocked_blockedN15benchmark_utils11custom_typeIiiEELj512ELj4ELj10EEvPKT0_PS4_.num_named_barrier, 0
	.set _Z16sort_keys_kernelI22helper_blocked_blockedN15benchmark_utils11custom_typeIiiEELj512ELj4ELj10EEvPKT0_PS4_.private_seg_size, 0
	.set _Z16sort_keys_kernelI22helper_blocked_blockedN15benchmark_utils11custom_typeIiiEELj512ELj4ELj10EEvPKT0_PS4_.uses_vcc, 1
	.set _Z16sort_keys_kernelI22helper_blocked_blockedN15benchmark_utils11custom_typeIiiEELj512ELj4ELj10EEvPKT0_PS4_.uses_flat_scratch, 0
	.set _Z16sort_keys_kernelI22helper_blocked_blockedN15benchmark_utils11custom_typeIiiEELj512ELj4ELj10EEvPKT0_PS4_.has_dyn_sized_stack, 0
	.set _Z16sort_keys_kernelI22helper_blocked_blockedN15benchmark_utils11custom_typeIiiEELj512ELj4ELj10EEvPKT0_PS4_.has_recursion, 0
	.set _Z16sort_keys_kernelI22helper_blocked_blockedN15benchmark_utils11custom_typeIiiEELj512ELj4ELj10EEvPKT0_PS4_.has_indirect_call, 0
	.section	.AMDGPU.csdata,"",@progbits
; Kernel info:
; codeLenInByte = 3848
; TotalNumSgprs: 59
; NumVgprs: 43
; ScratchSize: 0
; MemoryBound: 0
; FloatMode: 240
; IeeeMode: 1
; LDSByteSize: 16384 bytes/workgroup (compile time only)
; SGPRBlocks: 8
; VGPRBlocks: 10
; NumSGPRsForWavesPerEU: 65
; NumVGPRsForWavesPerEU: 43
; Occupancy: 5
; WaveLimiterHint : 1
; COMPUTE_PGM_RSRC2:SCRATCH_EN: 0
; COMPUTE_PGM_RSRC2:USER_SGPR: 6
; COMPUTE_PGM_RSRC2:TRAP_HANDLER: 0
; COMPUTE_PGM_RSRC2:TGID_X_EN: 1
; COMPUTE_PGM_RSRC2:TGID_Y_EN: 0
; COMPUTE_PGM_RSRC2:TGID_Z_EN: 0
; COMPUTE_PGM_RSRC2:TIDIG_COMP_CNT: 2
	.section	.text._Z17sort_pairs_kernelI22helper_blocked_blockedN15benchmark_utils11custom_typeIiiEELj512ELj4ELj10EEvPKT0_PS4_,"axG",@progbits,_Z17sort_pairs_kernelI22helper_blocked_blockedN15benchmark_utils11custom_typeIiiEELj512ELj4ELj10EEvPKT0_PS4_,comdat
	.protected	_Z17sort_pairs_kernelI22helper_blocked_blockedN15benchmark_utils11custom_typeIiiEELj512ELj4ELj10EEvPKT0_PS4_ ; -- Begin function _Z17sort_pairs_kernelI22helper_blocked_blockedN15benchmark_utils11custom_typeIiiEELj512ELj4ELj10EEvPKT0_PS4_
	.globl	_Z17sort_pairs_kernelI22helper_blocked_blockedN15benchmark_utils11custom_typeIiiEELj512ELj4ELj10EEvPKT0_PS4_
	.p2align	8
	.type	_Z17sort_pairs_kernelI22helper_blocked_blockedN15benchmark_utils11custom_typeIiiEELj512ELj4ELj10EEvPKT0_PS4_,@function
_Z17sort_pairs_kernelI22helper_blocked_blockedN15benchmark_utils11custom_typeIiiEELj512ELj4ELj10EEvPKT0_PS4_: ; @_Z17sort_pairs_kernelI22helper_blocked_blockedN15benchmark_utils11custom_typeIiiEELj512ELj4ELj10EEvPKT0_PS4_
; %bb.0:
	s_load_dwordx4 s[44:47], s[4:5], 0x0
	s_load_dword s33, s[4:5], 0x1c
	s_lshl_b32 s50, s6, 11
	s_mov_b32 s51, 0
	s_lshl_b64 s[48:49], s[50:51], 3
	s_waitcnt lgkmcnt(0)
	s_add_u32 s0, s44, s48
	s_addc_u32 s1, s45, s49
	v_lshlrev_b32_e32 v9, 3, v0
	v_mov_b32_e32 v3, s1
	v_add_co_u32_e32 v10, vcc, s0, v9
	v_addc_co_u32_e32 v11, vcc, 0, v3, vcc
	s_movk_i32 s2, 0x2000
	v_add_co_u32_e32 v3, vcc, s2, v10
	v_addc_co_u32_e32 v4, vcc, 0, v11, vcc
	global_load_dwordx2 v[5:6], v9, s[0:1]
	global_load_dwordx2 v[7:8], v[3:4], off offset:-4096
	global_load_dwordx2 v[13:14], v[3:4], off
	s_movk_i32 s0, 0x3000
	v_add_co_u32_e32 v3, vcc, s0, v10
	v_addc_co_u32_e32 v4, vcc, 0, v11, vcc
	global_load_dwordx2 v[15:16], v[3:4], off
	s_lshr_b32 s38, s33, 16
	s_and_b32 s33, s33, 0xffff
	v_mad_u32_u24 v1, v2, s38, v1
	v_mbcnt_lo_u32_b32 v3, -1, 0
	v_mad_u64_u32 v[1:2], s[38:39], v1, s33, v[0:1]
	v_mbcnt_hi_u32_b32 v3, -1, v3
	v_or_b32_e32 v4, 63, v0
	v_lshlrev_b32_e32 v10, 5, v0
	v_lshrrev_b32_e32 v11, 2, v3
	v_and_b32_e32 v18, 64, v3
	v_cmp_eq_u32_e64 s[8:9], v0, v4
	v_subrev_co_u32_e64 v4, s[10:11], 1, v3
	v_lshlrev_b32_e32 v43, 4, v0
	v_lshrrev_b32_e32 v9, 4, v0
	v_and_b32_e32 v10, 0x3800, v10
	v_or_b32_e32 v21, v11, v18
	v_add_u32_e32 v11, 48, v11
	v_cmp_lt_i32_e32 vcc, v4, v18
	s_mov_b32 s50, s51
	s_mov_b32 s38, s51
	v_mul_u32_u24_e32 v17, 28, v0
	v_and_b32_e32 v12, 3, v3
	v_and_b32_e32 v19, 15, v3
	;; [unrolled: 1-line block ×3, first 2 shown]
	v_cmp_lt_u32_e64 s[6:7], 31, v3
	v_and_b32_e32 v44, 28, v9
	v_mad_i32_i24 v45, v0, -12, v43
	v_and_b32_e32 v9, 7, v3
	v_cndmask_b32_e32 v4, v4, v3, vcc
	v_lshl_or_b32 v46, v3, 3, v10
	v_lshlrev_b32_e32 v47, 2, v21
	v_and_or_b32 v3, v11, 63, v18
	v_lshrrev_b32_e32 v1, 4, v1
	s_mov_b32 s39, s51
	v_mov_b32_e32 v23, s50
	v_mov_b32_e32 v25, s38
	v_cmp_gt_u32_e64 s[0:1], 8, v0
	v_cmp_lt_u32_e64 s[2:3], 63, v0
	v_cmp_eq_u32_e64 s[4:5], 0, v0
	v_cmp_eq_u32_e64 s[12:13], 0, v12
	;; [unrolled: 1-line block ×6, first 2 shown]
	v_cmp_lt_u32_e64 s[22:23], 1, v19
	v_cmp_lt_u32_e64 s[24:25], 3, v19
	;; [unrolled: 1-line block ×3, first 2 shown]
	v_cmp_eq_u32_e64 s[28:29], 0, v20
	v_cmp_eq_u32_e64 s[30:31], 0, v9
	v_cmp_lt_u32_e64 s[34:35], 1, v9
	v_cmp_lt_u32_e64 s[36:37], 3, v9
	v_lshlrev_b32_e32 v48, 2, v4
	v_add_u32_e32 v49, 64, v47
	v_lshlrev_b32_e32 v50, 2, v3
	v_and_b32_e32 v51, 0xffffffc, v1
	v_add_u32_e32 v52, v45, v17
	v_or_b32_e32 v53, 0x80, v47
	v_add_u32_e32 v54, -4, v44
	v_mov_b32_e32 v21, 0
	v_mov_b32_e32 v24, s51
	;; [unrolled: 1-line block ×3, first 2 shown]
	s_waitcnt vmcnt(3)
	v_add_u32_e32 v10, 1, v6
	v_add_u32_e32 v9, 1, v5
	s_waitcnt vmcnt(2)
	v_add_u32_e32 v12, 1, v8
	v_add_u32_e32 v11, 1, v7
	s_waitcnt vmcnt(1)
	v_add_u32_e32 v2, 1, v14
	v_add_u32_e32 v1, 1, v13
	s_waitcnt vmcnt(0)
	v_add_u32_e32 v4, 1, v16
	v_add_u32_e32 v3, 1, v15
	s_branch .LBB189_2
.LBB189_1:                              ;   in Loop: Header=BB189_2 Depth=1
	s_barrier
	ds_write_b64 v1, v[41:42]
	ds_write_b64 v2, v[39:40]
	;; [unrolled: 1-line block ×4, first 2 shown]
	s_waitcnt lgkmcnt(0)
	s_barrier
	ds_read2_b64 v[5:8], v52 offset1:1
	ds_read2_b64 v[13:16], v52 offset0:2 offset1:3
	s_waitcnt lgkmcnt(0)
	s_barrier
	ds_write_b64 v1, v[33:34]
	ds_write_b64 v2, v[31:32]
	;; [unrolled: 1-line block ×4, first 2 shown]
	s_waitcnt lgkmcnt(0)
	s_barrier
	ds_read2_b64 v[9:12], v52 offset1:1
	ds_read2_b64 v[1:4], v52 offset0:2 offset1:3
	s_add_i32 s51, s51, 1
	v_xor_b32_e32 v5, 0x80000000, v5
	v_xor_b32_e32 v6, 0x80000000, v6
	;; [unrolled: 1-line block ×7, first 2 shown]
	s_cmp_lg_u32 s51, 10
	v_xor_b32_e32 v16, 0x80000000, v16
	s_cbranch_scc0 .LBB189_20
.LBB189_2:                              ; =>This Loop Header: Depth=1
                                        ;     Child Loop BB189_4 Depth 2
	v_xor_b32_e32 v18, 0x80000000, v6
	v_xor_b32_e32 v17, 0x80000000, v5
	;; [unrolled: 1-line block ×3, first 2 shown]
	ds_bpermute_b32 v5, v47, v18
	v_xor_b32_e32 v19, 0x80000000, v7
	v_xor_b32_e32 v27, 0x80000000, v14
	ds_bpermute_b32 v6, v47, v17
	ds_bpermute_b32 v7, v47, v20
	v_xor_b32_e32 v22, 0x80000000, v13
	ds_bpermute_b32 v8, v47, v19
	ds_bpermute_b32 v13, v47, v27
	s_waitcnt lgkmcnt(4)
	v_cndmask_b32_e64 v5, 0, v5, s[12:13]
	v_xor_b32_e32 v15, 0x80000000, v15
	v_xor_b32_e32 v16, 0x80000000, v16
	s_waitcnt lgkmcnt(3)
	v_cndmask_b32_e64 v6, 0, v6, s[12:13]
	s_waitcnt lgkmcnt(2)
	v_cndmask_b32_e64 v5, v5, v7, s[14:15]
	ds_bpermute_b32 v7, v47, v22
	s_waitcnt lgkmcnt(2)
	v_cndmask_b32_e64 v6, v6, v8, s[14:15]
	s_waitcnt lgkmcnt(1)
	v_cndmask_b32_e64 v5, v5, v13, s[16:17]
	ds_bpermute_b32 v8, v47, v16
	ds_bpermute_b32 v13, v47, v15
	;; [unrolled: 1-line block ×3, first 2 shown]
	s_waitcnt lgkmcnt(3)
	v_cndmask_b32_e64 v7, v6, v7, s[16:17]
	ds_bpermute_b32 v28, v49, v17
	s_waitcnt lgkmcnt(3)
	v_cndmask_b32_e64 v6, v5, v8, s[18:19]
	s_waitcnt lgkmcnt(2)
	v_cndmask_b32_e64 v5, v7, v13, s[18:19]
	ds_bpermute_b32 v7, v49, v20
	s_waitcnt lgkmcnt(2)
	v_cndmask_b32_e64 v8, 0, v14, s[12:13]
	ds_bpermute_b32 v14, v49, v19
	s_waitcnt lgkmcnt(2)
	v_cndmask_b32_e64 v13, 0, v28, s[12:13]
	ds_bpermute_b32 v28, v49, v27
	s_waitcnt lgkmcnt(2)
	v_cndmask_b32_e64 v7, v8, v7, s[14:15]
	ds_bpermute_b32 v8, v49, v22
	ds_bpermute_b32 v29, v49, v16
	s_waitcnt lgkmcnt(3)
	v_cndmask_b32_e64 v13, v13, v14, s[14:15]
	ds_bpermute_b32 v14, v49, v15
	s_waitcnt lgkmcnt(3)
	v_cndmask_b32_e64 v7, v7, v28, s[16:17]
	s_waitcnt lgkmcnt(2)
	v_cndmask_b32_e64 v13, v13, v8, s[16:17]
	;; [unrolled: 2-line block ×3, first 2 shown]
	ds_bpermute_b32 v28, v53, v18
	ds_bpermute_b32 v29, v53, v17
	s_waitcnt lgkmcnt(2)
	v_cndmask_b32_e64 v7, v13, v14, s[18:19]
	ds_bpermute_b32 v13, v53, v20
	ds_bpermute_b32 v14, v53, v19
	;; [unrolled: 1-line block ×7, first 2 shown]
	s_waitcnt lgkmcnt(8)
	v_cndmask_b32_e64 v28, 0, v28, s[12:13]
	s_waitcnt lgkmcnt(7)
	v_cndmask_b32_e64 v29, 0, v29, s[12:13]
	ds_bpermute_b32 v27, v50, v27
	s_waitcnt lgkmcnt(7)
	v_cndmask_b32_e64 v13, v28, v13, s[14:15]
	s_waitcnt lgkmcnt(6)
	v_cndmask_b32_e64 v14, v29, v14, s[14:15]
	ds_bpermute_b32 v28, v53, v22
	ds_bpermute_b32 v29, v53, v16
	s_waitcnt lgkmcnt(7)
	v_cndmask_b32_e64 v17, 0, v17, s[12:13]
	ds_bpermute_b32 v22, v50, v22
	ds_bpermute_b32 v16, v50, v16
	s_waitcnt lgkmcnt(8)
	v_cndmask_b32_e64 v13, v13, v30, s[16:17]
	ds_bpermute_b32 v30, v53, v15
	s_waitcnt lgkmcnt(8)
	v_cndmask_b32_e64 v17, v17, v19, s[14:15]
	ds_bpermute_b32 v15, v50, v15
	ds_bpermute_b32 v19, v47, v10
	s_waitcnt lgkmcnt(9)
	v_cndmask_b32_e64 v18, 0, v18, s[12:13]
	s_waitcnt lgkmcnt(8)
	v_cndmask_b32_e64 v18, v18, v20, s[14:15]
	;; [unrolled: 2-line block ×5, first 2 shown]
	ds_bpermute_b32 v18, v47, v9
	ds_bpermute_b32 v20, v47, v12
	s_waitcnt lgkmcnt(3)
	v_cndmask_b32_e64 v15, v17, v15, s[18:19]
	s_waitcnt lgkmcnt(2)
	v_cndmask_b32_e64 v17, 0, v19, s[12:13]
	ds_bpermute_b32 v19, v47, v11
	s_waitcnt lgkmcnt(2)
	v_cndmask_b32_e64 v18, 0, v18, s[12:13]
	s_waitcnt lgkmcnt(1)
	v_cndmask_b32_e64 v17, v17, v20, s[14:15]
	ds_bpermute_b32 v20, v47, v2
	ds_bpermute_b32 v22, v47, v1
	s_waitcnt lgkmcnt(2)
	v_cndmask_b32_e64 v18, v18, v19, s[14:15]
	ds_bpermute_b32 v19, v47, v4
	ds_bpermute_b32 v27, v47, v3
	s_waitcnt lgkmcnt(3)
	v_cndmask_b32_e64 v17, v17, v20, s[16:17]
	s_waitcnt lgkmcnt(2)
	v_cndmask_b32_e64 v20, v18, v22, s[16:17]
	ds_bpermute_b32 v22, v49, v10
	s_waitcnt lgkmcnt(2)
	v_cndmask_b32_e64 v18, v17, v19, s[18:19]
	s_waitcnt lgkmcnt(1)
	v_cndmask_b32_e64 v17, v20, v27, s[18:19]
	ds_bpermute_b32 v19, v49, v9
	ds_bpermute_b32 v20, v49, v12
	;; [unrolled: 1-line block ×3, first 2 shown]
	v_cndmask_b32_e64 v28, v14, v28, s[16:17]
	s_waitcnt lgkmcnt(3)
	v_cndmask_b32_e64 v22, 0, v22, s[12:13]
	v_cndmask_b32_e64 v14, v13, v29, s[18:19]
	;; [unrolled: 1-line block ×3, first 2 shown]
	ds_bpermute_b32 v28, v49, v2
	s_waitcnt lgkmcnt(3)
	v_cndmask_b32_e64 v19, 0, v19, s[12:13]
	s_waitcnt lgkmcnt(2)
	v_cndmask_b32_e64 v20, v22, v20, s[14:15]
	ds_bpermute_b32 v22, v49, v1
	s_waitcnt lgkmcnt(2)
	v_cndmask_b32_e64 v19, v19, v27, s[14:15]
	ds_bpermute_b32 v27, v49, v4
	;; [unrolled: 3-line block ×4, first 2 shown]
	ds_bpermute_b32 v29, v53, v9
	s_waitcnt lgkmcnt(3)
	v_cndmask_b32_e64 v20, v20, v27, s[18:19]
	ds_bpermute_b32 v27, v53, v12
	s_waitcnt lgkmcnt(3)
	v_cndmask_b32_e64 v19, v19, v28, s[18:19]
	s_waitcnt lgkmcnt(2)
	v_cndmask_b32_e64 v22, 0, v22, s[12:13]
	;; [unrolled: 2-line block ×3, first 2 shown]
	ds_bpermute_b32 v29, v53, v11
	ds_bpermute_b32 v30, v53, v2
	s_waitcnt lgkmcnt(2)
	v_cndmask_b32_e64 v22, v22, v27, s[14:15]
	ds_bpermute_b32 v27, v53, v1
	ds_bpermute_b32 v31, v53, v4
	s_waitcnt lgkmcnt(3)
	v_cndmask_b32_e64 v28, v28, v29, s[14:15]
	s_waitcnt lgkmcnt(2)
	v_cndmask_b32_e64 v22, v22, v30, s[16:17]
	ds_bpermute_b32 v29, v53, v3
	s_waitcnt lgkmcnt(2)
	v_cndmask_b32_e64 v27, v28, v27, s[16:17]
	ds_bpermute_b32 v28, v50, v10
	ds_bpermute_b32 v30, v50, v9
	;; [unrolled: 1-line block ×8, first 2 shown]
	s_waitcnt lgkmcnt(9)
	v_cndmask_b32_e64 v10, v22, v31, s[18:19]
	s_waitcnt lgkmcnt(8)
	v_cndmask_b32_e64 v9, v27, v29, s[18:19]
	;; [unrolled: 2-line block ×10, first 2 shown]
	s_mov_b32 s33, 8
	s_mov_b32 s44, 32
	;; [unrolled: 1-line block ×3, first 2 shown]
	s_barrier
	s_branch .LBB189_4
.LBB189_3:                              ;   in Loop: Header=BB189_4 Depth=2
	s_andn2_b64 vcc, exec, s[38:39]
	s_cbranch_vccz .LBB189_1
.LBB189_4:                              ;   Parent Loop BB189_2 Depth=1
                                        ; =>  This Inner Loop Header: Depth=2
	s_min_i32 s40, s33, 32
	s_cmp_lt_u32 s45, 32
	s_cselect_b64 s[38:39], -1, 0
	s_cmp_gt_u32 s45, 31
	s_cselect_b64 vcc, -1, 0
	s_sub_i32 s40, s40, 32
	s_add_i32 s41, s40, s44
	s_lshl_b32 s41, -1, s41
	s_not_b32 s41, s41
	s_cmp_lg_u32 s40, s45
	s_cselect_b32 s52, s41, -1
	s_max_i32 s50, s44, 0
	s_max_i32 s40, s45, 32
	s_sub_i32 s53, s40, 32
	s_sub_i32 s40, s40, s50
	;; [unrolled: 1-line block ×3, first 2 shown]
	s_min_i32 s40, s40, 32
	s_sub_i32 s40, s40, s53
	s_lshl_b32 s41, -1, s40
	v_mov_b32_e32 v42, v6
	s_not_b32 s41, s41
	v_mov_b32_e32 v41, v5
	s_cmp_lg_u32 s40, 32
	s_cselect_b32 s54, s41, -1
	v_lshrrev_b32_e32 v2, s53, v41
	v_lshrrev_b32_e32 v1, s45, v42
	v_and_b32_e32 v2, s54, v2
	v_and_b32_e32 v1, s52, v1
	v_lshlrev_b32_e32 v2, s50, v2
	v_cndmask_b32_e64 v1, 0, v1, s[38:39]
	v_cndmask_b32_e32 v2, 0, v2, vcc
	v_or_b32_e32 v1, v1, v2
	v_and_b32_e32 v2, 1, v1
	v_add_co_u32_e64 v4, s[40:41], -1, v2
	v_addc_co_u32_e64 v5, s[40:41], 0, -1, s[40:41]
	v_cmp_ne_u32_e64 s[40:41], 0, v2
	v_lshlrev_b32_e32 v22, 30, v1
	v_xor_b32_e32 v2, s41, v5
	v_xor_b32_e32 v4, s40, v4
	v_cmp_gt_i64_e64 s[40:41], 0, v[21:22]
	v_not_b32_e32 v5, v22
	v_ashrrev_i32_e32 v5, 31, v5
	v_and_b32_e32 v4, exec_lo, v4
	v_xor_b32_e32 v6, s41, v5
	v_xor_b32_e32 v5, s40, v5
	v_lshlrev_b32_e32 v22, 29, v1
	v_and_b32_e32 v4, v4, v5
	v_cmp_gt_i64_e64 s[40:41], 0, v[21:22]
	v_not_b32_e32 v5, v22
	v_and_b32_e32 v2, exec_hi, v2
	v_ashrrev_i32_e32 v5, 31, v5
	v_and_b32_e32 v2, v2, v6
	v_xor_b32_e32 v6, s41, v5
	v_xor_b32_e32 v5, s40, v5
	v_lshlrev_b32_e32 v22, 28, v1
	v_and_b32_e32 v4, v4, v5
	v_cmp_gt_i64_e64 s[40:41], 0, v[21:22]
	v_not_b32_e32 v5, v22
	v_ashrrev_i32_e32 v5, 31, v5
	v_and_b32_e32 v2, v2, v6
	v_xor_b32_e32 v6, s41, v5
	v_xor_b32_e32 v5, s40, v5
	v_lshlrev_b32_e32 v22, 27, v1
	v_and_b32_e32 v4, v4, v5
	v_cmp_gt_i64_e64 s[40:41], 0, v[21:22]
	v_not_b32_e32 v5, v22
	;; [unrolled: 8-line block ×4, first 2 shown]
	v_ashrrev_i32_e32 v5, 31, v5
	v_lshlrev_b32_e32 v22, 24, v1
	v_lshlrev_b32_e32 v3, 5, v1
	v_and_b32_e32 v2, v2, v6
	v_xor_b32_e32 v6, s41, v5
	v_xor_b32_e32 v5, s40, v5
	v_cmp_gt_i64_e64 s[40:41], 0, v[21:22]
	v_not_b32_e32 v1, v22
	v_ashrrev_i32_e32 v1, 31, v1
	v_and_b32_e32 v4, v4, v5
	v_xor_b32_e32 v5, s41, v1
	v_xor_b32_e32 v1, s40, v1
	v_and_b32_e32 v2, v2, v6
	v_and_b32_e32 v1, v4, v1
	;; [unrolled: 1-line block ×3, first 2 shown]
	v_mbcnt_lo_u32_b32 v4, v1, 0
	v_mbcnt_hi_u32_b32 v5, v2, v4
	v_cmp_ne_u64_e64 s[40:41], 0, v[1:2]
	v_mov_b32_e32 v34, v18
	v_mov_b32_e32 v32, v20
	;; [unrolled: 1-line block ×7, first 2 shown]
	v_cmp_eq_u32_e64 s[42:43], 0, v5
	v_mov_b32_e32 v33, v17
	v_mov_b32_e32 v31, v19
	;; [unrolled: 1-line block ×7, first 2 shown]
	s_and_b64 s[42:43], s[42:43], s[40:41]
	v_add_u32_e32 v6, v51, v3
	ds_write2_b64 v43, v[23:24], v[25:26] offset0:4 offset1:5
	s_waitcnt lgkmcnt(0)
	s_barrier
	; wave barrier
	s_and_saveexec_b64 s[40:41], s[42:43]
; %bb.5:                                ;   in Loop: Header=BB189_4 Depth=2
	v_bcnt_u32_b32 v1, v1, 0
	v_bcnt_u32_b32 v1, v2, v1
	ds_write_b32 v6, v1 offset:32
; %bb.6:                                ;   in Loop: Header=BB189_4 Depth=2
	s_or_b64 exec, exec, s[40:41]
	v_lshrrev_b32_e32 v2, s53, v39
	v_lshrrev_b32_e32 v1, s45, v40
	v_and_b32_e32 v2, s54, v2
	v_and_b32_e32 v1, s52, v1
	v_lshlrev_b32_e32 v2, s50, v2
	v_cndmask_b32_e64 v1, 0, v1, s[38:39]
	v_cndmask_b32_e32 v2, 0, v2, vcc
	v_or_b32_e32 v1, v1, v2
	v_lshlrev_b32_e32 v2, 5, v1
	v_add_u32_e32 v8, v51, v2
	v_and_b32_e32 v2, 1, v1
	v_add_co_u32_e64 v3, s[40:41], -1, v2
	v_addc_co_u32_e64 v4, s[40:41], 0, -1, s[40:41]
	v_cmp_ne_u32_e64 s[40:41], 0, v2
	v_lshlrev_b32_e32 v22, 30, v1
	v_xor_b32_e32 v2, s41, v4
	v_xor_b32_e32 v3, s40, v3
	v_cmp_gt_i64_e64 s[40:41], 0, v[21:22]
	v_not_b32_e32 v4, v22
	v_ashrrev_i32_e32 v4, 31, v4
	v_and_b32_e32 v3, exec_lo, v3
	v_xor_b32_e32 v9, s41, v4
	v_xor_b32_e32 v4, s40, v4
	v_lshlrev_b32_e32 v22, 29, v1
	v_and_b32_e32 v3, v3, v4
	v_cmp_gt_i64_e64 s[40:41], 0, v[21:22]
	v_not_b32_e32 v4, v22
	v_and_b32_e32 v2, exec_hi, v2
	v_ashrrev_i32_e32 v4, 31, v4
	v_and_b32_e32 v2, v2, v9
	v_xor_b32_e32 v9, s41, v4
	v_xor_b32_e32 v4, s40, v4
	v_lshlrev_b32_e32 v22, 28, v1
	v_and_b32_e32 v3, v3, v4
	v_cmp_gt_i64_e64 s[40:41], 0, v[21:22]
	v_not_b32_e32 v4, v22
	v_ashrrev_i32_e32 v4, 31, v4
	v_and_b32_e32 v2, v2, v9
	v_xor_b32_e32 v9, s41, v4
	v_xor_b32_e32 v4, s40, v4
	v_lshlrev_b32_e32 v22, 27, v1
	v_and_b32_e32 v3, v3, v4
	v_cmp_gt_i64_e64 s[40:41], 0, v[21:22]
	v_not_b32_e32 v4, v22
	;; [unrolled: 8-line block ×4, first 2 shown]
	v_ashrrev_i32_e32 v4, 31, v4
	v_lshlrev_b32_e32 v22, 24, v1
	v_and_b32_e32 v2, v2, v9
	v_xor_b32_e32 v9, s41, v4
	v_xor_b32_e32 v4, s40, v4
	v_cmp_gt_i64_e64 s[40:41], 0, v[21:22]
	v_not_b32_e32 v1, v22
	v_ashrrev_i32_e32 v1, 31, v1
	v_and_b32_e32 v3, v3, v4
	v_xor_b32_e32 v4, s41, v1
	v_xor_b32_e32 v1, s40, v1
	; wave barrier
	ds_read_b32 v7, v8 offset:32
	v_and_b32_e32 v2, v2, v9
	v_and_b32_e32 v1, v3, v1
	;; [unrolled: 1-line block ×3, first 2 shown]
	v_mbcnt_lo_u32_b32 v3, v1, 0
	v_mbcnt_hi_u32_b32 v9, v2, v3
	v_cmp_ne_u64_e64 s[40:41], 0, v[1:2]
	v_cmp_eq_u32_e64 s[42:43], 0, v9
	s_and_b64 s[42:43], s[42:43], s[40:41]
	; wave barrier
	s_and_saveexec_b64 s[40:41], s[42:43]
	s_cbranch_execz .LBB189_8
; %bb.7:                                ;   in Loop: Header=BB189_4 Depth=2
	v_bcnt_u32_b32 v1, v1, 0
	v_bcnt_u32_b32 v1, v2, v1
	s_waitcnt lgkmcnt(0)
	v_add_u32_e32 v1, v7, v1
	ds_write_b32 v8, v1 offset:32
.LBB189_8:                              ;   in Loop: Header=BB189_4 Depth=2
	s_or_b64 exec, exec, s[40:41]
	v_lshrrev_b32_e32 v2, s53, v37
	v_lshrrev_b32_e32 v1, s45, v38
	v_and_b32_e32 v2, s54, v2
	v_and_b32_e32 v1, s52, v1
	v_lshlrev_b32_e32 v2, s50, v2
	v_cndmask_b32_e64 v1, 0, v1, s[38:39]
	v_cndmask_b32_e32 v2, 0, v2, vcc
	v_or_b32_e32 v1, v1, v2
	v_lshlrev_b32_e32 v2, 5, v1
	v_add_u32_e32 v11, v51, v2
	v_and_b32_e32 v2, 1, v1
	v_add_co_u32_e64 v3, s[40:41], -1, v2
	v_addc_co_u32_e64 v4, s[40:41], 0, -1, s[40:41]
	v_cmp_ne_u32_e64 s[40:41], 0, v2
	v_lshlrev_b32_e32 v22, 30, v1
	v_xor_b32_e32 v2, s41, v4
	v_xor_b32_e32 v3, s40, v3
	v_cmp_gt_i64_e64 s[40:41], 0, v[21:22]
	v_not_b32_e32 v4, v22
	v_ashrrev_i32_e32 v4, 31, v4
	v_and_b32_e32 v3, exec_lo, v3
	v_xor_b32_e32 v12, s41, v4
	v_xor_b32_e32 v4, s40, v4
	v_lshlrev_b32_e32 v22, 29, v1
	v_and_b32_e32 v3, v3, v4
	v_cmp_gt_i64_e64 s[40:41], 0, v[21:22]
	v_not_b32_e32 v4, v22
	v_and_b32_e32 v2, exec_hi, v2
	v_ashrrev_i32_e32 v4, 31, v4
	v_and_b32_e32 v2, v2, v12
	v_xor_b32_e32 v12, s41, v4
	v_xor_b32_e32 v4, s40, v4
	v_lshlrev_b32_e32 v22, 28, v1
	v_and_b32_e32 v3, v3, v4
	v_cmp_gt_i64_e64 s[40:41], 0, v[21:22]
	v_not_b32_e32 v4, v22
	v_ashrrev_i32_e32 v4, 31, v4
	v_and_b32_e32 v2, v2, v12
	v_xor_b32_e32 v12, s41, v4
	v_xor_b32_e32 v4, s40, v4
	v_lshlrev_b32_e32 v22, 27, v1
	v_and_b32_e32 v3, v3, v4
	v_cmp_gt_i64_e64 s[40:41], 0, v[21:22]
	v_not_b32_e32 v4, v22
	;; [unrolled: 8-line block ×4, first 2 shown]
	v_ashrrev_i32_e32 v4, 31, v4
	v_lshlrev_b32_e32 v22, 24, v1
	v_and_b32_e32 v2, v2, v12
	v_xor_b32_e32 v12, s41, v4
	v_xor_b32_e32 v4, s40, v4
	v_cmp_gt_i64_e64 s[40:41], 0, v[21:22]
	v_not_b32_e32 v1, v22
	v_ashrrev_i32_e32 v1, 31, v1
	v_and_b32_e32 v3, v3, v4
	v_xor_b32_e32 v4, s41, v1
	v_xor_b32_e32 v1, s40, v1
	; wave barrier
	ds_read_b32 v10, v11 offset:32
	v_and_b32_e32 v2, v2, v12
	v_and_b32_e32 v1, v3, v1
	;; [unrolled: 1-line block ×3, first 2 shown]
	v_mbcnt_lo_u32_b32 v3, v1, 0
	v_mbcnt_hi_u32_b32 v12, v2, v3
	v_cmp_ne_u64_e64 s[40:41], 0, v[1:2]
	v_cmp_eq_u32_e64 s[42:43], 0, v12
	s_and_b64 s[42:43], s[42:43], s[40:41]
	; wave barrier
	s_and_saveexec_b64 s[40:41], s[42:43]
	s_cbranch_execz .LBB189_10
; %bb.9:                                ;   in Loop: Header=BB189_4 Depth=2
	v_bcnt_u32_b32 v1, v1, 0
	v_bcnt_u32_b32 v1, v2, v1
	s_waitcnt lgkmcnt(0)
	v_add_u32_e32 v1, v10, v1
	ds_write_b32 v11, v1 offset:32
.LBB189_10:                             ;   in Loop: Header=BB189_4 Depth=2
	s_or_b64 exec, exec, s[40:41]
	v_lshrrev_b32_e32 v2, s53, v35
	v_lshrrev_b32_e32 v1, s45, v36
	v_and_b32_e32 v2, s54, v2
	v_and_b32_e32 v1, s52, v1
	v_lshlrev_b32_e32 v2, s50, v2
	v_cndmask_b32_e64 v1, 0, v1, s[38:39]
	v_cndmask_b32_e32 v2, 0, v2, vcc
	v_or_b32_e32 v1, v1, v2
	v_lshlrev_b32_e32 v2, 5, v1
	v_add_u32_e32 v14, v51, v2
	v_and_b32_e32 v2, 1, v1
	v_add_co_u32_e32 v3, vcc, -1, v2
	v_addc_co_u32_e64 v4, s[38:39], 0, -1, vcc
	v_cmp_ne_u32_e32 vcc, 0, v2
	v_lshlrev_b32_e32 v22, 30, v1
	v_xor_b32_e32 v2, vcc_hi, v4
	v_xor_b32_e32 v3, vcc_lo, v3
	v_cmp_gt_i64_e32 vcc, 0, v[21:22]
	v_not_b32_e32 v4, v22
	v_ashrrev_i32_e32 v4, 31, v4
	v_and_b32_e32 v3, exec_lo, v3
	v_xor_b32_e32 v15, vcc_hi, v4
	v_xor_b32_e32 v4, vcc_lo, v4
	v_lshlrev_b32_e32 v22, 29, v1
	v_and_b32_e32 v3, v3, v4
	v_cmp_gt_i64_e32 vcc, 0, v[21:22]
	v_not_b32_e32 v4, v22
	v_and_b32_e32 v2, exec_hi, v2
	v_ashrrev_i32_e32 v4, 31, v4
	v_and_b32_e32 v2, v2, v15
	v_xor_b32_e32 v15, vcc_hi, v4
	v_xor_b32_e32 v4, vcc_lo, v4
	v_lshlrev_b32_e32 v22, 28, v1
	v_and_b32_e32 v3, v3, v4
	v_cmp_gt_i64_e32 vcc, 0, v[21:22]
	v_not_b32_e32 v4, v22
	v_ashrrev_i32_e32 v4, 31, v4
	v_and_b32_e32 v2, v2, v15
	v_xor_b32_e32 v15, vcc_hi, v4
	v_xor_b32_e32 v4, vcc_lo, v4
	v_lshlrev_b32_e32 v22, 27, v1
	v_and_b32_e32 v3, v3, v4
	v_cmp_gt_i64_e32 vcc, 0, v[21:22]
	v_not_b32_e32 v4, v22
	;; [unrolled: 8-line block ×4, first 2 shown]
	v_ashrrev_i32_e32 v4, 31, v4
	v_lshlrev_b32_e32 v22, 24, v1
	v_and_b32_e32 v2, v2, v15
	v_xor_b32_e32 v15, vcc_hi, v4
	v_xor_b32_e32 v4, vcc_lo, v4
	v_cmp_gt_i64_e32 vcc, 0, v[21:22]
	v_not_b32_e32 v1, v22
	v_ashrrev_i32_e32 v1, 31, v1
	v_and_b32_e32 v3, v3, v4
	v_xor_b32_e32 v4, vcc_hi, v1
	v_xor_b32_e32 v1, vcc_lo, v1
	; wave barrier
	ds_read_b32 v13, v14 offset:32
	v_and_b32_e32 v2, v2, v15
	v_and_b32_e32 v1, v3, v1
	;; [unrolled: 1-line block ×3, first 2 shown]
	v_mbcnt_lo_u32_b32 v3, v1, 0
	v_mbcnt_hi_u32_b32 v15, v2, v3
	v_cmp_ne_u64_e32 vcc, 0, v[1:2]
	v_cmp_eq_u32_e64 s[38:39], 0, v15
	s_and_b64 s[40:41], s[38:39], vcc
	; wave barrier
	s_and_saveexec_b64 s[38:39], s[40:41]
	s_cbranch_execz .LBB189_12
; %bb.11:                               ;   in Loop: Header=BB189_4 Depth=2
	v_bcnt_u32_b32 v1, v1, 0
	v_bcnt_u32_b32 v1, v2, v1
	s_waitcnt lgkmcnt(0)
	v_add_u32_e32 v1, v13, v1
	ds_write_b32 v14, v1 offset:32
.LBB189_12:                             ;   in Loop: Header=BB189_4 Depth=2
	s_or_b64 exec, exec, s[38:39]
	; wave barrier
	s_waitcnt lgkmcnt(0)
	s_barrier
	ds_read2_b64 v[1:4], v43 offset0:4 offset1:5
	s_waitcnt lgkmcnt(0)
	v_add_u32_e32 v16, v2, v1
	v_add3_u32 v4, v16, v3, v4
	s_nop 1
	v_mov_b32_dpp v16, v4 row_shr:1 row_mask:0xf bank_mask:0xf
	v_cndmask_b32_e64 v16, v16, 0, s[20:21]
	v_add_u32_e32 v4, v16, v4
	s_nop 1
	v_mov_b32_dpp v16, v4 row_shr:2 row_mask:0xf bank_mask:0xf
	v_cndmask_b32_e64 v16, 0, v16, s[22:23]
	v_add_u32_e32 v4, v4, v16
	;; [unrolled: 4-line block ×4, first 2 shown]
	s_nop 1
	v_mov_b32_dpp v16, v4 row_bcast:15 row_mask:0xf bank_mask:0xf
	v_cndmask_b32_e64 v16, v16, 0, s[28:29]
	v_add_u32_e32 v4, v4, v16
	s_nop 1
	v_mov_b32_dpp v16, v4 row_bcast:31 row_mask:0xf bank_mask:0xf
	v_cndmask_b32_e64 v16, 0, v16, s[6:7]
	v_add_u32_e32 v4, v4, v16
	s_and_saveexec_b64 s[38:39], s[8:9]
; %bb.13:                               ;   in Loop: Header=BB189_4 Depth=2
	ds_write_b32 v44, v4
; %bb.14:                               ;   in Loop: Header=BB189_4 Depth=2
	s_or_b64 exec, exec, s[38:39]
	s_waitcnt lgkmcnt(0)
	s_barrier
	s_and_saveexec_b64 s[38:39], s[0:1]
	s_cbranch_execz .LBB189_16
; %bb.15:                               ;   in Loop: Header=BB189_4 Depth=2
	ds_read_b32 v16, v45
	s_waitcnt lgkmcnt(0)
	s_nop 0
	v_mov_b32_dpp v17, v16 row_shr:1 row_mask:0xf bank_mask:0xf
	v_cndmask_b32_e64 v17, v17, 0, s[30:31]
	v_add_u32_e32 v16, v17, v16
	s_nop 1
	v_mov_b32_dpp v17, v16 row_shr:2 row_mask:0xf bank_mask:0xf
	v_cndmask_b32_e64 v17, 0, v17, s[34:35]
	v_add_u32_e32 v16, v16, v17
	;; [unrolled: 4-line block ×3, first 2 shown]
	ds_write_b32 v45, v16
.LBB189_16:                             ;   in Loop: Header=BB189_4 Depth=2
	s_or_b64 exec, exec, s[38:39]
	v_mov_b32_e32 v16, 0
	s_waitcnt lgkmcnt(0)
	s_barrier
	s_and_saveexec_b64 s[38:39], s[2:3]
; %bb.17:                               ;   in Loop: Header=BB189_4 Depth=2
	ds_read_b32 v16, v54
; %bb.18:                               ;   in Loop: Header=BB189_4 Depth=2
	s_or_b64 exec, exec, s[38:39]
	s_waitcnt lgkmcnt(0)
	v_add_u32_e32 v4, v16, v4
	ds_bpermute_b32 v4, v48, v4
	v_lshlrev_b32_e32 v5, 3, v5
	s_cmp_gt_u32 s45, 55
	s_mov_b64 s[38:39], -1
	s_waitcnt lgkmcnt(0)
	v_cndmask_b32_e64 v4, v4, v16, s[10:11]
	v_cndmask_b32_e64 v16, v4, 0, s[4:5]
	v_add_u32_e32 v17, v16, v1
	v_add_u32_e32 v1, v17, v2
	;; [unrolled: 1-line block ×3, first 2 shown]
	ds_write2_b64 v43, v[16:17], v[1:2] offset0:4 offset1:5
	s_waitcnt lgkmcnt(0)
	s_barrier
	ds_read_b32 v1, v6 offset:32
	ds_read_b32 v2, v8 offset:32
	;; [unrolled: 1-line block ×4, first 2 shown]
	v_lshlrev_b32_e32 v6, 3, v7
	s_waitcnt lgkmcnt(3)
	v_lshl_add_u32 v1, v1, 3, v5
	v_lshlrev_b32_e32 v5, 3, v9
	s_waitcnt lgkmcnt(2)
	v_lshlrev_b32_e32 v2, 3, v2
	v_add3_u32 v2, v5, v6, v2
	v_lshlrev_b32_e32 v5, 3, v12
	v_lshlrev_b32_e32 v6, 3, v10
	s_waitcnt lgkmcnt(1)
	v_lshlrev_b32_e32 v3, 3, v3
	v_add3_u32 v3, v5, v6, v3
	v_lshlrev_b32_e32 v5, 3, v15
	v_lshlrev_b32_e32 v6, 3, v13
	s_waitcnt lgkmcnt(0)
	v_lshlrev_b32_e32 v4, 3, v4
	v_add3_u32 v4, v5, v6, v4
                                        ; implicit-def: $vgpr17_vgpr18
                                        ; implicit-def: $vgpr9_vgpr10
                                        ; implicit-def: $vgpr5_vgpr6
                                        ; implicit-def: $vgpr13_vgpr14
	s_cbranch_scc1 .LBB189_3
; %bb.19:                               ;   in Loop: Header=BB189_4 Depth=2
	s_barrier
	ds_write_b64 v1, v[41:42]
	ds_write_b64 v2, v[39:40]
	;; [unrolled: 1-line block ×4, first 2 shown]
	s_waitcnt lgkmcnt(0)
	s_barrier
	ds_read2st64_b64 v[5:8], v46 offset1:1
	ds_read2st64_b64 v[13:16], v46 offset0:2 offset1:3
	s_waitcnt lgkmcnt(0)
	s_barrier
	ds_write_b64 v1, v[33:34]
	ds_write_b64 v2, v[31:32]
	ds_write_b64 v3, v[29:30]
	ds_write_b64 v4, v[27:28]
	s_waitcnt lgkmcnt(0)
	s_barrier
	ds_read2st64_b64 v[17:20], v46 offset1:1
	ds_read2st64_b64 v[9:12], v46 offset0:2 offset1:3
	s_add_i32 s44, s44, -8
	s_add_i32 s33, s33, 8
	s_add_i32 s45, s45, 8
	s_mov_b64 s[38:39], 0
	s_waitcnt lgkmcnt(0)
	s_barrier
	s_branch .LBB189_3
.LBB189_20:
	s_add_u32 s0, s46, s48
	s_addc_u32 s1, s47, s49
	v_lshlrev_b32_e32 v0, 3, v0
	s_waitcnt lgkmcnt(1)
	v_add_u32_e32 v5, v5, v9
	v_add_u32_e32 v6, v6, v10
	v_mov_b32_e32 v9, s1
	v_add_co_u32_e32 v10, vcc, s0, v0
	v_addc_co_u32_e32 v9, vcc, 0, v9, vcc
	global_store_dwordx2 v0, v[5:6], s[0:1]
	s_movk_i32 s0, 0x1000
	v_add_co_u32_e32 v5, vcc, s0, v10
	v_add_u32_e32 v7, v7, v11
	v_add_u32_e32 v8, v8, v12
	v_addc_co_u32_e32 v6, vcc, 0, v9, vcc
	global_store_dwordx2 v[5:6], v[7:8], off
	v_add_co_u32_e32 v5, vcc, 0x2000, v10
	v_addc_co_u32_e32 v6, vcc, 0, v9, vcc
	s_waitcnt lgkmcnt(0)
	v_add_u32_e32 v1, v13, v1
	v_add_u32_e32 v2, v14, v2
	v_add_co_u32_e32 v0, vcc, 0x3000, v10
	v_add_u32_e32 v3, v15, v3
	v_add_u32_e32 v4, v16, v4
	global_store_dwordx2 v[5:6], v[1:2], off
	v_addc_co_u32_e32 v1, vcc, 0, v9, vcc
	global_store_dwordx2 v[0:1], v[3:4], off
	s_endpgm
	.section	.rodata,"a",@progbits
	.p2align	6, 0x0
	.amdhsa_kernel _Z17sort_pairs_kernelI22helper_blocked_blockedN15benchmark_utils11custom_typeIiiEELj512ELj4ELj10EEvPKT0_PS4_
		.amdhsa_group_segment_fixed_size 16384
		.amdhsa_private_segment_fixed_size 0
		.amdhsa_kernarg_size 272
		.amdhsa_user_sgpr_count 6
		.amdhsa_user_sgpr_private_segment_buffer 1
		.amdhsa_user_sgpr_dispatch_ptr 0
		.amdhsa_user_sgpr_queue_ptr 0
		.amdhsa_user_sgpr_kernarg_segment_ptr 1
		.amdhsa_user_sgpr_dispatch_id 0
		.amdhsa_user_sgpr_flat_scratch_init 0
		.amdhsa_user_sgpr_private_segment_size 0
		.amdhsa_uses_dynamic_stack 0
		.amdhsa_system_sgpr_private_segment_wavefront_offset 0
		.amdhsa_system_sgpr_workgroup_id_x 1
		.amdhsa_system_sgpr_workgroup_id_y 0
		.amdhsa_system_sgpr_workgroup_id_z 0
		.amdhsa_system_sgpr_workgroup_info 0
		.amdhsa_system_vgpr_workitem_id 2
		.amdhsa_next_free_vgpr 55
		.amdhsa_next_free_sgpr 61
		.amdhsa_reserve_vcc 1
		.amdhsa_reserve_flat_scratch 0
		.amdhsa_float_round_mode_32 0
		.amdhsa_float_round_mode_16_64 0
		.amdhsa_float_denorm_mode_32 3
		.amdhsa_float_denorm_mode_16_64 3
		.amdhsa_dx10_clamp 1
		.amdhsa_ieee_mode 1
		.amdhsa_fp16_overflow 0
		.amdhsa_exception_fp_ieee_invalid_op 0
		.amdhsa_exception_fp_denorm_src 0
		.amdhsa_exception_fp_ieee_div_zero 0
		.amdhsa_exception_fp_ieee_overflow 0
		.amdhsa_exception_fp_ieee_underflow 0
		.amdhsa_exception_fp_ieee_inexact 0
		.amdhsa_exception_int_div_zero 0
	.end_amdhsa_kernel
	.section	.text._Z17sort_pairs_kernelI22helper_blocked_blockedN15benchmark_utils11custom_typeIiiEELj512ELj4ELj10EEvPKT0_PS4_,"axG",@progbits,_Z17sort_pairs_kernelI22helper_blocked_blockedN15benchmark_utils11custom_typeIiiEELj512ELj4ELj10EEvPKT0_PS4_,comdat
.Lfunc_end189:
	.size	_Z17sort_pairs_kernelI22helper_blocked_blockedN15benchmark_utils11custom_typeIiiEELj512ELj4ELj10EEvPKT0_PS4_, .Lfunc_end189-_Z17sort_pairs_kernelI22helper_blocked_blockedN15benchmark_utils11custom_typeIiiEELj512ELj4ELj10EEvPKT0_PS4_
                                        ; -- End function
	.set _Z17sort_pairs_kernelI22helper_blocked_blockedN15benchmark_utils11custom_typeIiiEELj512ELj4ELj10EEvPKT0_PS4_.num_vgpr, 55
	.set _Z17sort_pairs_kernelI22helper_blocked_blockedN15benchmark_utils11custom_typeIiiEELj512ELj4ELj10EEvPKT0_PS4_.num_agpr, 0
	.set _Z17sort_pairs_kernelI22helper_blocked_blockedN15benchmark_utils11custom_typeIiiEELj512ELj4ELj10EEvPKT0_PS4_.numbered_sgpr, 55
	.set _Z17sort_pairs_kernelI22helper_blocked_blockedN15benchmark_utils11custom_typeIiiEELj512ELj4ELj10EEvPKT0_PS4_.num_named_barrier, 0
	.set _Z17sort_pairs_kernelI22helper_blocked_blockedN15benchmark_utils11custom_typeIiiEELj512ELj4ELj10EEvPKT0_PS4_.private_seg_size, 0
	.set _Z17sort_pairs_kernelI22helper_blocked_blockedN15benchmark_utils11custom_typeIiiEELj512ELj4ELj10EEvPKT0_PS4_.uses_vcc, 1
	.set _Z17sort_pairs_kernelI22helper_blocked_blockedN15benchmark_utils11custom_typeIiiEELj512ELj4ELj10EEvPKT0_PS4_.uses_flat_scratch, 0
	.set _Z17sort_pairs_kernelI22helper_blocked_blockedN15benchmark_utils11custom_typeIiiEELj512ELj4ELj10EEvPKT0_PS4_.has_dyn_sized_stack, 0
	.set _Z17sort_pairs_kernelI22helper_blocked_blockedN15benchmark_utils11custom_typeIiiEELj512ELj4ELj10EEvPKT0_PS4_.has_recursion, 0
	.set _Z17sort_pairs_kernelI22helper_blocked_blockedN15benchmark_utils11custom_typeIiiEELj512ELj4ELj10EEvPKT0_PS4_.has_indirect_call, 0
	.section	.AMDGPU.csdata,"",@progbits
; Kernel info:
; codeLenInByte = 4720
; TotalNumSgprs: 59
; NumVgprs: 55
; ScratchSize: 0
; MemoryBound: 0
; FloatMode: 240
; IeeeMode: 1
; LDSByteSize: 16384 bytes/workgroup (compile time only)
; SGPRBlocks: 8
; VGPRBlocks: 13
; NumSGPRsForWavesPerEU: 65
; NumVGPRsForWavesPerEU: 55
; Occupancy: 4
; WaveLimiterHint : 1
; COMPUTE_PGM_RSRC2:SCRATCH_EN: 0
; COMPUTE_PGM_RSRC2:USER_SGPR: 6
; COMPUTE_PGM_RSRC2:TRAP_HANDLER: 0
; COMPUTE_PGM_RSRC2:TGID_X_EN: 1
; COMPUTE_PGM_RSRC2:TGID_Y_EN: 0
; COMPUTE_PGM_RSRC2:TGID_Z_EN: 0
; COMPUTE_PGM_RSRC2:TIDIG_COMP_CNT: 2
	.section	.text._Z16sort_keys_kernelI22helper_blocked_blockedN15benchmark_utils11custom_typeIiiEELj512ELj8ELj10EEvPKT0_PS4_,"axG",@progbits,_Z16sort_keys_kernelI22helper_blocked_blockedN15benchmark_utils11custom_typeIiiEELj512ELj8ELj10EEvPKT0_PS4_,comdat
	.protected	_Z16sort_keys_kernelI22helper_blocked_blockedN15benchmark_utils11custom_typeIiiEELj512ELj8ELj10EEvPKT0_PS4_ ; -- Begin function _Z16sort_keys_kernelI22helper_blocked_blockedN15benchmark_utils11custom_typeIiiEELj512ELj8ELj10EEvPKT0_PS4_
	.globl	_Z16sort_keys_kernelI22helper_blocked_blockedN15benchmark_utils11custom_typeIiiEELj512ELj8ELj10EEvPKT0_PS4_
	.p2align	8
	.type	_Z16sort_keys_kernelI22helper_blocked_blockedN15benchmark_utils11custom_typeIiiEELj512ELj8ELj10EEvPKT0_PS4_,@function
_Z16sort_keys_kernelI22helper_blocked_blockedN15benchmark_utils11custom_typeIiiEELj512ELj8ELj10EEvPKT0_PS4_: ; @_Z16sort_keys_kernelI22helper_blocked_blockedN15benchmark_utils11custom_typeIiiEELj512ELj8ELj10EEvPKT0_PS4_
; %bb.0:
	s_load_dwordx4 s[36:39], s[4:5], 0x0
	s_load_dword s2, s[4:5], 0x1c
	s_lshl_b32 s40, s6, 12
	s_mov_b32 s41, 0
	s_lshl_b64 s[42:43], s[40:41], 3
	s_waitcnt lgkmcnt(0)
	s_add_u32 s0, s36, s42
	s_addc_u32 s1, s37, s43
	v_lshlrev_b32_e32 v17, 3, v0
	v_mov_b32_e32 v3, s1
	v_add_co_u32_e32 v15, vcc, s0, v17
	v_addc_co_u32_e32 v16, vcc, 0, v3, vcc
	s_movk_i32 s3, 0x2000
	v_add_co_u32_e32 v20, vcc, s3, v15
	v_addc_co_u32_e32 v21, vcc, 0, v16, vcc
	s_movk_i32 s3, 0x4000
	;; [unrolled: 3-line block ×4, first 2 shown]
	v_add_co_u32_e32 v22, vcc, s3, v15
	global_load_dwordx2 v[9:10], v[11:12], off offset:-4096
	global_load_dwordx2 v[7:8], v[11:12], off
	global_load_dwordx2 v[5:6], v[13:14], off offset:-4096
	global_load_dwordx2 v[3:4], v[13:14], off
	v_addc_co_u32_e32 v23, vcc, 0, v16, vcc
	global_load_dwordx2 v[18:19], v17, s[0:1]
	global_load_dwordx2 v[15:16], v[20:21], off offset:-4096
	global_load_dwordx2 v[13:14], v[20:21], off
	global_load_dwordx2 v[11:12], v[22:23], off
	s_lshr_b32 s0, s2, 16
	v_mbcnt_lo_u32_b32 v20, -1, 0
	s_and_b32 s1, s2, 0xffff
	v_mad_u32_u24 v1, v2, s0, v1
	v_mbcnt_hi_u32_b32 v20, -1, v20
	v_mad_u64_u32 v[1:2], s[0:1], v1, s1, v[0:1]
	v_and_b32_e32 v2, 15, v20
	v_and_b32_e32 v21, 0x1c0, v0
	v_cmp_eq_u32_e64 s[0:1], 0, v2
	v_cmp_lt_u32_e64 s[2:3], 1, v2
	v_cmp_lt_u32_e64 s[4:5], 3, v2
	v_cmp_lt_u32_e64 s[6:7], 7, v2
	v_and_b32_e32 v2, 16, v20
	v_cmp_eq_u32_e64 s[8:9], 0, v2
	v_or_b32_e32 v2, 63, v21
	v_add_lshl_u32 v35, v20, v21, 6
	v_cmp_eq_u32_e64 s[12:13], v0, v2
	v_subrev_co_u32_e64 v2, s[18:19], 1, v20
	v_and_b32_e32 v21, 64, v20
	v_cmp_lt_i32_e32 vcc, v2, v21
	v_cndmask_b32_e32 v2, v2, v20, vcc
	v_lshlrev_b32_e32 v22, 6, v0
	v_lshlrev_b32_e32 v37, 4, v0
	;; [unrolled: 1-line block ×3, first 2 shown]
	v_lshrrev_b32_e32 v2, 4, v0
	v_lshrrev_b32_e32 v1, 4, v1
	v_and_b32_e32 v22, 0x7000, v22
	v_and_b32_e32 v39, 28, v2
	v_mad_i32_i24 v40, v0, -12, v37
	v_and_b32_e32 v2, 7, v20
	v_and_b32_e32 v42, 0xffffffc, v1
	v_mul_u32_u24_e32 v1, 60, v0
	v_mov_b32_e32 v17, 0
	v_lshl_or_b32 v36, v20, 3, v22
	v_cmp_lt_u32_e64 s[10:11], 31, v20
	v_cmp_gt_u32_e64 s[14:15], 8, v0
	v_cmp_lt_u32_e64 s[16:17], 63, v0
	v_cmp_eq_u32_e64 s[20:21], 0, v0
	v_cmp_eq_u32_e64 s[22:23], 0, v2
	v_cmp_lt_u32_e64 s[24:25], 1, v2
	v_cmp_lt_u32_e64 s[26:27], 3, v2
	v_add_u32_e32 v41, -4, v39
	s_mov_b32 s40, s41
	s_mov_b32 s36, s41
	;; [unrolled: 1-line block ×3, first 2 shown]
	v_add_u32_e32 v43, v40, v1
	s_mov_b32 s33, s41
	s_branch .LBB190_2
.LBB190_1:                              ;   in Loop: Header=BB190_2 Depth=1
	s_barrier
	ds_write_b64 v44, v[33:34]
	ds_write_b64 v47, v[31:32]
	ds_write_b64 v50, v[29:30]
	ds_write_b64 v53, v[27:28]
	ds_write_b64 v45, v[25:26]
	ds_write_b64 v46, v[23:24]
	ds_write_b64 v48, v[21:22]
	ds_write_b64 v18, v[19:20]
	s_waitcnt lgkmcnt(0)
	s_barrier
	ds_read2_b64 v[1:4], v43 offset1:1
	ds_read2_b64 v[5:8], v43 offset0:2 offset1:3
	ds_read2_b64 v[20:23], v43 offset0:4 offset1:5
	;; [unrolled: 1-line block ×3, first 2 shown]
	s_add_i32 s33, s33, 1
	s_waitcnt lgkmcnt(3)
	v_xor_b32_e32 v18, 0x80000000, v1
	v_xor_b32_e32 v19, 0x80000000, v2
	v_xor_b32_e32 v15, 0x80000000, v3
	v_xor_b32_e32 v16, 0x80000000, v4
	s_waitcnt lgkmcnt(2)
	v_xor_b32_e32 v13, 0x80000000, v5
	v_xor_b32_e32 v14, 0x80000000, v6
	v_xor_b32_e32 v9, 0x80000000, v7
	v_xor_b32_e32 v10, 0x80000000, v8
	;; [unrolled: 5-line block ×3, first 2 shown]
	s_waitcnt lgkmcnt(0)
	v_xor_b32_e32 v3, 0x80000000, v24
	v_xor_b32_e32 v4, 0x80000000, v25
	;; [unrolled: 1-line block ×3, first 2 shown]
	s_cmp_eq_u32 s33, 10
	v_xor_b32_e32 v12, 0x80000000, v27
	s_cbranch_scc1 .LBB190_28
.LBB190_2:                              ; =>This Loop Header: Depth=1
                                        ;     Child Loop BB190_4 Depth 2
	s_waitcnt vmcnt(3)
	v_xor_b32_e32 v2, 0x80000000, v19
	v_xor_b32_e32 v1, 0x80000000, v18
	s_waitcnt vmcnt(2)
	v_xor_b32_e32 v16, 0x80000000, v16
	v_xor_b32_e32 v15, 0x80000000, v15
	;; [unrolled: 3-line block ×3, first 2 shown]
	v_xor_b32_e32 v10, 0x80000000, v10
	v_xor_b32_e32 v9, 0x80000000, v9
	;; [unrolled: 1-line block ×8, first 2 shown]
	s_waitcnt vmcnt(0)
	v_xor_b32_e32 v12, 0x80000000, v12
	v_xor_b32_e32 v11, 0x80000000, v11
	ds_write2_b64 v35, v[1:2], v[15:16] offset1:1
	ds_write2_b64 v35, v[13:14], v[9:10] offset0:2 offset1:3
	ds_write2_b64 v35, v[7:8], v[5:6] offset0:4 offset1:5
	;; [unrolled: 1-line block ×3, first 2 shown]
	; wave barrier
	ds_read2st64_b64 v[1:4], v36 offset1:1
	ds_read2st64_b64 v[5:8], v36 offset0:2 offset1:3
	ds_read2st64_b64 v[9:12], v36 offset0:4 offset1:5
	;; [unrolled: 1-line block ×3, first 2 shown]
	s_mov_b32 s44, 8
	s_mov_b32 s45, 32
	;; [unrolled: 1-line block ×3, first 2 shown]
	s_waitcnt lgkmcnt(0)
	s_barrier
	; wave barrier
	s_barrier
	s_branch .LBB190_4
.LBB190_3:                              ;   in Loop: Header=BB190_4 Depth=2
	s_andn2_b64 vcc, exec, s[28:29]
	s_cbranch_vccz .LBB190_1
.LBB190_4:                              ;   Parent Loop BB190_2 Depth=1
                                        ; =>  This Inner Loop Header: Depth=2
	s_min_i32 s30, s44, 32
	s_cmp_lt_u32 s46, 32
	s_cselect_b64 s[28:29], -1, 0
	s_cmp_gt_u32 s46, 31
	s_cselect_b64 vcc, -1, 0
	s_sub_i32 s30, s30, 32
	s_add_i32 s31, s30, s45
	s_lshl_b32 s31, -1, s31
	s_not_b32 s31, s31
	s_cmp_lg_u32 s30, s46
	s_cselect_b32 s48, s31, -1
	s_max_i32 s47, s45, 0
	s_max_i32 s30, s46, 32
	s_sub_i32 s49, s30, 32
	s_sub_i32 s30, s30, s47
	;; [unrolled: 1-line block ×3, first 2 shown]
	s_min_i32 s30, s30, 32
	s_sub_i32 s30, s30, s49
	v_mov_b32_e32 v34, v2
	v_mov_b32_e32 v32, v4
	s_lshl_b32 s31, -1, s30
	v_mov_b32_e32 v33, v1
	v_mov_b32_e32 v31, v3
	;; [unrolled: 1-line block ×4, first 2 shown]
	s_not_b32 s31, s31
	v_mov_b32_e32 v2, s41
	v_mov_b32_e32 v4, s37
	s_cmp_lg_u32 s30, 32
	ds_write2_b64 v37, v[1:2], v[3:4] offset0:4 offset1:5
	s_cselect_b32 s50, s31, -1
	v_lshrrev_b32_e32 v2, s49, v33
	v_lshrrev_b32_e32 v1, s46, v34
	v_and_b32_e32 v2, s50, v2
	v_and_b32_e32 v1, s48, v1
	v_lshlrev_b32_e32 v2, s47, v2
	v_cndmask_b32_e64 v1, 0, v1, s[28:29]
	v_cndmask_b32_e32 v2, 0, v2, vcc
	v_or_b32_e32 v1, v1, v2
	v_and_b32_e32 v2, 1, v1
	v_mov_b32_e32 v30, v6
	v_add_co_u32_e64 v4, s[30:31], -1, v2
	v_mov_b32_e32 v29, v5
	v_addc_co_u32_e64 v5, s[30:31], 0, -1, s[30:31]
	v_cmp_ne_u32_e64 s[30:31], 0, v2
	v_lshlrev_b32_e32 v18, 30, v1
	v_xor_b32_e32 v2, s31, v5
	v_xor_b32_e32 v4, s30, v4
	v_cmp_gt_i64_e64 s[30:31], 0, v[17:18]
	v_not_b32_e32 v5, v18
	v_ashrrev_i32_e32 v5, 31, v5
	v_and_b32_e32 v4, exec_lo, v4
	v_xor_b32_e32 v6, s31, v5
	v_xor_b32_e32 v5, s30, v5
	v_lshlrev_b32_e32 v18, 29, v1
	v_and_b32_e32 v4, v4, v5
	v_cmp_gt_i64_e64 s[30:31], 0, v[17:18]
	v_not_b32_e32 v5, v18
	v_and_b32_e32 v2, exec_hi, v2
	v_ashrrev_i32_e32 v5, 31, v5
	v_and_b32_e32 v2, v2, v6
	v_xor_b32_e32 v6, s31, v5
	v_xor_b32_e32 v5, s30, v5
	v_lshlrev_b32_e32 v18, 28, v1
	v_and_b32_e32 v4, v4, v5
	v_cmp_gt_i64_e64 s[30:31], 0, v[17:18]
	v_not_b32_e32 v5, v18
	v_ashrrev_i32_e32 v5, 31, v5
	v_and_b32_e32 v2, v2, v6
	v_xor_b32_e32 v6, s31, v5
	v_xor_b32_e32 v5, s30, v5
	v_lshlrev_b32_e32 v18, 27, v1
	v_and_b32_e32 v4, v4, v5
	v_cmp_gt_i64_e64 s[30:31], 0, v[17:18]
	v_not_b32_e32 v5, v18
	;; [unrolled: 8-line block ×4, first 2 shown]
	v_ashrrev_i32_e32 v5, 31, v5
	v_lshlrev_b32_e32 v18, 24, v1
	v_lshlrev_b32_e32 v3, 5, v1
	v_and_b32_e32 v2, v2, v6
	v_xor_b32_e32 v6, s31, v5
	v_xor_b32_e32 v5, s30, v5
	v_cmp_gt_i64_e64 s[30:31], 0, v[17:18]
	v_not_b32_e32 v1, v18
	v_ashrrev_i32_e32 v1, 31, v1
	v_and_b32_e32 v4, v4, v5
	v_xor_b32_e32 v5, s31, v1
	v_xor_b32_e32 v1, s30, v1
	v_and_b32_e32 v2, v2, v6
	v_and_b32_e32 v1, v4, v1
	;; [unrolled: 1-line block ×3, first 2 shown]
	v_mbcnt_lo_u32_b32 v4, v1, 0
	v_mbcnt_hi_u32_b32 v5, v2, v4
	v_cmp_ne_u64_e64 s[30:31], 0, v[1:2]
	v_mov_b32_e32 v28, v8
	v_mov_b32_e32 v26, v10
	v_mov_b32_e32 v24, v12
	v_mov_b32_e32 v22, v14
	v_mov_b32_e32 v20, v16
	v_cmp_eq_u32_e64 s[34:35], 0, v5
	v_mov_b32_e32 v27, v7
	v_mov_b32_e32 v25, v9
	;; [unrolled: 1-line block ×5, first 2 shown]
	s_and_b64 s[34:35], s[34:35], s[30:31]
	v_add_u32_e32 v6, v42, v3
	s_waitcnt lgkmcnt(0)
	s_barrier
	; wave barrier
	s_and_saveexec_b64 s[30:31], s[34:35]
; %bb.5:                                ;   in Loop: Header=BB190_4 Depth=2
	v_bcnt_u32_b32 v1, v1, 0
	v_bcnt_u32_b32 v1, v2, v1
	ds_write_b32 v6, v1 offset:32
; %bb.6:                                ;   in Loop: Header=BB190_4 Depth=2
	s_or_b64 exec, exec, s[30:31]
	v_lshrrev_b32_e32 v2, s49, v31
	v_lshrrev_b32_e32 v1, s46, v32
	v_and_b32_e32 v2, s50, v2
	v_and_b32_e32 v1, s48, v1
	v_lshlrev_b32_e32 v2, s47, v2
	v_cndmask_b32_e64 v1, 0, v1, s[28:29]
	v_cndmask_b32_e32 v2, 0, v2, vcc
	v_or_b32_e32 v1, v1, v2
	v_lshlrev_b32_e32 v2, 5, v1
	v_add_u32_e32 v8, v42, v2
	v_and_b32_e32 v2, 1, v1
	v_add_co_u32_e64 v3, s[30:31], -1, v2
	v_addc_co_u32_e64 v4, s[30:31], 0, -1, s[30:31]
	v_cmp_ne_u32_e64 s[30:31], 0, v2
	v_lshlrev_b32_e32 v18, 30, v1
	v_xor_b32_e32 v2, s31, v4
	v_xor_b32_e32 v3, s30, v3
	v_cmp_gt_i64_e64 s[30:31], 0, v[17:18]
	v_not_b32_e32 v4, v18
	v_ashrrev_i32_e32 v4, 31, v4
	v_and_b32_e32 v3, exec_lo, v3
	v_xor_b32_e32 v9, s31, v4
	v_xor_b32_e32 v4, s30, v4
	v_lshlrev_b32_e32 v18, 29, v1
	v_and_b32_e32 v3, v3, v4
	v_cmp_gt_i64_e64 s[30:31], 0, v[17:18]
	v_not_b32_e32 v4, v18
	v_and_b32_e32 v2, exec_hi, v2
	v_ashrrev_i32_e32 v4, 31, v4
	v_and_b32_e32 v2, v2, v9
	v_xor_b32_e32 v9, s31, v4
	v_xor_b32_e32 v4, s30, v4
	v_lshlrev_b32_e32 v18, 28, v1
	v_and_b32_e32 v3, v3, v4
	v_cmp_gt_i64_e64 s[30:31], 0, v[17:18]
	v_not_b32_e32 v4, v18
	v_ashrrev_i32_e32 v4, 31, v4
	v_and_b32_e32 v2, v2, v9
	v_xor_b32_e32 v9, s31, v4
	v_xor_b32_e32 v4, s30, v4
	v_lshlrev_b32_e32 v18, 27, v1
	v_and_b32_e32 v3, v3, v4
	v_cmp_gt_i64_e64 s[30:31], 0, v[17:18]
	v_not_b32_e32 v4, v18
	;; [unrolled: 8-line block ×4, first 2 shown]
	v_ashrrev_i32_e32 v4, 31, v4
	v_lshlrev_b32_e32 v18, 24, v1
	v_and_b32_e32 v2, v2, v9
	v_xor_b32_e32 v9, s31, v4
	v_xor_b32_e32 v4, s30, v4
	v_cmp_gt_i64_e64 s[30:31], 0, v[17:18]
	v_not_b32_e32 v1, v18
	v_ashrrev_i32_e32 v1, 31, v1
	v_and_b32_e32 v3, v3, v4
	v_xor_b32_e32 v4, s31, v1
	v_xor_b32_e32 v1, s30, v1
	; wave barrier
	ds_read_b32 v7, v8 offset:32
	v_and_b32_e32 v2, v2, v9
	v_and_b32_e32 v1, v3, v1
	;; [unrolled: 1-line block ×3, first 2 shown]
	v_mbcnt_lo_u32_b32 v3, v1, 0
	v_mbcnt_hi_u32_b32 v9, v2, v3
	v_cmp_ne_u64_e64 s[30:31], 0, v[1:2]
	v_cmp_eq_u32_e64 s[34:35], 0, v9
	s_and_b64 s[34:35], s[34:35], s[30:31]
	; wave barrier
	s_and_saveexec_b64 s[30:31], s[34:35]
	s_cbranch_execz .LBB190_8
; %bb.7:                                ;   in Loop: Header=BB190_4 Depth=2
	v_bcnt_u32_b32 v1, v1, 0
	v_bcnt_u32_b32 v1, v2, v1
	s_waitcnt lgkmcnt(0)
	v_add_u32_e32 v1, v7, v1
	ds_write_b32 v8, v1 offset:32
.LBB190_8:                              ;   in Loop: Header=BB190_4 Depth=2
	s_or_b64 exec, exec, s[30:31]
	v_lshrrev_b32_e32 v2, s49, v29
	v_lshrrev_b32_e32 v1, s46, v30
	v_and_b32_e32 v2, s50, v2
	v_and_b32_e32 v1, s48, v1
	v_lshlrev_b32_e32 v2, s47, v2
	v_cndmask_b32_e64 v1, 0, v1, s[28:29]
	v_cndmask_b32_e32 v2, 0, v2, vcc
	v_or_b32_e32 v1, v1, v2
	v_lshlrev_b32_e32 v2, 5, v1
	v_add_u32_e32 v11, v42, v2
	v_and_b32_e32 v2, 1, v1
	v_add_co_u32_e64 v3, s[30:31], -1, v2
	v_addc_co_u32_e64 v4, s[30:31], 0, -1, s[30:31]
	v_cmp_ne_u32_e64 s[30:31], 0, v2
	v_lshlrev_b32_e32 v18, 30, v1
	v_xor_b32_e32 v2, s31, v4
	v_xor_b32_e32 v3, s30, v3
	v_cmp_gt_i64_e64 s[30:31], 0, v[17:18]
	v_not_b32_e32 v4, v18
	v_ashrrev_i32_e32 v4, 31, v4
	v_and_b32_e32 v3, exec_lo, v3
	v_xor_b32_e32 v12, s31, v4
	v_xor_b32_e32 v4, s30, v4
	v_lshlrev_b32_e32 v18, 29, v1
	v_and_b32_e32 v3, v3, v4
	v_cmp_gt_i64_e64 s[30:31], 0, v[17:18]
	v_not_b32_e32 v4, v18
	v_and_b32_e32 v2, exec_hi, v2
	v_ashrrev_i32_e32 v4, 31, v4
	v_and_b32_e32 v2, v2, v12
	v_xor_b32_e32 v12, s31, v4
	v_xor_b32_e32 v4, s30, v4
	v_lshlrev_b32_e32 v18, 28, v1
	v_and_b32_e32 v3, v3, v4
	v_cmp_gt_i64_e64 s[30:31], 0, v[17:18]
	v_not_b32_e32 v4, v18
	v_ashrrev_i32_e32 v4, 31, v4
	v_and_b32_e32 v2, v2, v12
	v_xor_b32_e32 v12, s31, v4
	v_xor_b32_e32 v4, s30, v4
	v_lshlrev_b32_e32 v18, 27, v1
	v_and_b32_e32 v3, v3, v4
	v_cmp_gt_i64_e64 s[30:31], 0, v[17:18]
	v_not_b32_e32 v4, v18
	;; [unrolled: 8-line block ×4, first 2 shown]
	v_ashrrev_i32_e32 v4, 31, v4
	v_lshlrev_b32_e32 v18, 24, v1
	v_and_b32_e32 v2, v2, v12
	v_xor_b32_e32 v12, s31, v4
	v_xor_b32_e32 v4, s30, v4
	v_cmp_gt_i64_e64 s[30:31], 0, v[17:18]
	v_not_b32_e32 v1, v18
	v_ashrrev_i32_e32 v1, 31, v1
	v_and_b32_e32 v3, v3, v4
	v_xor_b32_e32 v4, s31, v1
	v_xor_b32_e32 v1, s30, v1
	; wave barrier
	ds_read_b32 v10, v11 offset:32
	v_and_b32_e32 v2, v2, v12
	v_and_b32_e32 v1, v3, v1
	;; [unrolled: 1-line block ×3, first 2 shown]
	v_mbcnt_lo_u32_b32 v3, v1, 0
	v_mbcnt_hi_u32_b32 v12, v2, v3
	v_cmp_ne_u64_e64 s[30:31], 0, v[1:2]
	v_cmp_eq_u32_e64 s[34:35], 0, v12
	s_and_b64 s[34:35], s[34:35], s[30:31]
	; wave barrier
	s_and_saveexec_b64 s[30:31], s[34:35]
	s_cbranch_execz .LBB190_10
; %bb.9:                                ;   in Loop: Header=BB190_4 Depth=2
	v_bcnt_u32_b32 v1, v1, 0
	v_bcnt_u32_b32 v1, v2, v1
	s_waitcnt lgkmcnt(0)
	v_add_u32_e32 v1, v10, v1
	ds_write_b32 v11, v1 offset:32
.LBB190_10:                             ;   in Loop: Header=BB190_4 Depth=2
	s_or_b64 exec, exec, s[30:31]
	v_lshrrev_b32_e32 v2, s49, v27
	v_lshrrev_b32_e32 v1, s46, v28
	v_and_b32_e32 v2, s50, v2
	v_and_b32_e32 v1, s48, v1
	v_lshlrev_b32_e32 v2, s47, v2
	v_cndmask_b32_e64 v1, 0, v1, s[28:29]
	v_cndmask_b32_e32 v2, 0, v2, vcc
	v_or_b32_e32 v1, v1, v2
	v_lshlrev_b32_e32 v2, 5, v1
	v_add_u32_e32 v14, v42, v2
	v_and_b32_e32 v2, 1, v1
	v_add_co_u32_e64 v3, s[30:31], -1, v2
	v_addc_co_u32_e64 v4, s[30:31], 0, -1, s[30:31]
	v_cmp_ne_u32_e64 s[30:31], 0, v2
	v_lshlrev_b32_e32 v18, 30, v1
	v_xor_b32_e32 v2, s31, v4
	v_xor_b32_e32 v3, s30, v3
	v_cmp_gt_i64_e64 s[30:31], 0, v[17:18]
	v_not_b32_e32 v4, v18
	v_ashrrev_i32_e32 v4, 31, v4
	v_and_b32_e32 v3, exec_lo, v3
	v_xor_b32_e32 v15, s31, v4
	v_xor_b32_e32 v4, s30, v4
	v_lshlrev_b32_e32 v18, 29, v1
	v_and_b32_e32 v3, v3, v4
	v_cmp_gt_i64_e64 s[30:31], 0, v[17:18]
	v_not_b32_e32 v4, v18
	v_and_b32_e32 v2, exec_hi, v2
	v_ashrrev_i32_e32 v4, 31, v4
	v_and_b32_e32 v2, v2, v15
	v_xor_b32_e32 v15, s31, v4
	v_xor_b32_e32 v4, s30, v4
	v_lshlrev_b32_e32 v18, 28, v1
	v_and_b32_e32 v3, v3, v4
	v_cmp_gt_i64_e64 s[30:31], 0, v[17:18]
	v_not_b32_e32 v4, v18
	v_ashrrev_i32_e32 v4, 31, v4
	v_and_b32_e32 v2, v2, v15
	v_xor_b32_e32 v15, s31, v4
	v_xor_b32_e32 v4, s30, v4
	v_lshlrev_b32_e32 v18, 27, v1
	v_and_b32_e32 v3, v3, v4
	v_cmp_gt_i64_e64 s[30:31], 0, v[17:18]
	v_not_b32_e32 v4, v18
	;; [unrolled: 8-line block ×4, first 2 shown]
	v_ashrrev_i32_e32 v4, 31, v4
	v_lshlrev_b32_e32 v18, 24, v1
	v_and_b32_e32 v2, v2, v15
	v_xor_b32_e32 v15, s31, v4
	v_xor_b32_e32 v4, s30, v4
	v_cmp_gt_i64_e64 s[30:31], 0, v[17:18]
	v_not_b32_e32 v1, v18
	v_ashrrev_i32_e32 v1, 31, v1
	v_and_b32_e32 v3, v3, v4
	v_xor_b32_e32 v4, s31, v1
	v_xor_b32_e32 v1, s30, v1
	; wave barrier
	ds_read_b32 v13, v14 offset:32
	v_and_b32_e32 v2, v2, v15
	v_and_b32_e32 v1, v3, v1
	;; [unrolled: 1-line block ×3, first 2 shown]
	v_mbcnt_lo_u32_b32 v3, v1, 0
	v_mbcnt_hi_u32_b32 v15, v2, v3
	v_cmp_ne_u64_e64 s[30:31], 0, v[1:2]
	v_cmp_eq_u32_e64 s[34:35], 0, v15
	s_and_b64 s[34:35], s[34:35], s[30:31]
	; wave barrier
	s_and_saveexec_b64 s[30:31], s[34:35]
	s_cbranch_execz .LBB190_12
; %bb.11:                               ;   in Loop: Header=BB190_4 Depth=2
	v_bcnt_u32_b32 v1, v1, 0
	v_bcnt_u32_b32 v1, v2, v1
	s_waitcnt lgkmcnt(0)
	v_add_u32_e32 v1, v13, v1
	ds_write_b32 v14, v1 offset:32
.LBB190_12:                             ;   in Loop: Header=BB190_4 Depth=2
	s_or_b64 exec, exec, s[30:31]
	v_lshrrev_b32_e32 v2, s49, v25
	v_lshrrev_b32_e32 v1, s46, v26
	v_and_b32_e32 v2, s50, v2
	v_and_b32_e32 v1, s48, v1
	v_lshlrev_b32_e32 v2, s47, v2
	v_cndmask_b32_e64 v1, 0, v1, s[28:29]
	v_cndmask_b32_e32 v2, 0, v2, vcc
	v_or_b32_e32 v1, v1, v2
	v_lshlrev_b32_e32 v2, 5, v1
	v_add_u32_e32 v44, v42, v2
	v_and_b32_e32 v2, 1, v1
	v_add_co_u32_e64 v3, s[30:31], -1, v2
	v_addc_co_u32_e64 v4, s[30:31], 0, -1, s[30:31]
	v_cmp_ne_u32_e64 s[30:31], 0, v2
	v_lshlrev_b32_e32 v18, 30, v1
	v_xor_b32_e32 v2, s31, v4
	v_xor_b32_e32 v3, s30, v3
	v_cmp_gt_i64_e64 s[30:31], 0, v[17:18]
	v_not_b32_e32 v4, v18
	v_ashrrev_i32_e32 v4, 31, v4
	v_and_b32_e32 v2, exec_hi, v2
	v_xor_b32_e32 v18, s31, v4
	v_and_b32_e32 v3, exec_lo, v3
	v_xor_b32_e32 v4, s30, v4
	v_and_b32_e32 v2, v2, v18
	v_lshlrev_b32_e32 v18, 29, v1
	v_and_b32_e32 v3, v3, v4
	v_cmp_gt_i64_e64 s[30:31], 0, v[17:18]
	v_not_b32_e32 v4, v18
	v_ashrrev_i32_e32 v4, 31, v4
	v_xor_b32_e32 v18, s31, v4
	v_xor_b32_e32 v4, s30, v4
	v_and_b32_e32 v2, v2, v18
	v_lshlrev_b32_e32 v18, 28, v1
	v_and_b32_e32 v3, v3, v4
	v_cmp_gt_i64_e64 s[30:31], 0, v[17:18]
	v_not_b32_e32 v4, v18
	v_ashrrev_i32_e32 v4, 31, v4
	v_xor_b32_e32 v18, s31, v4
	;; [unrolled: 8-line block ×5, first 2 shown]
	v_and_b32_e32 v2, v2, v18
	v_lshlrev_b32_e32 v18, 24, v1
	v_xor_b32_e32 v4, s30, v4
	v_cmp_gt_i64_e64 s[30:31], 0, v[17:18]
	v_not_b32_e32 v1, v18
	v_ashrrev_i32_e32 v1, 31, v1
	v_and_b32_e32 v3, v3, v4
	v_xor_b32_e32 v4, s31, v1
	v_xor_b32_e32 v1, s30, v1
	; wave barrier
	ds_read_b32 v16, v44 offset:32
	v_and_b32_e32 v1, v3, v1
	v_and_b32_e32 v2, v2, v4
	v_mbcnt_lo_u32_b32 v3, v1, 0
	v_mbcnt_hi_u32_b32 v45, v2, v3
	v_cmp_ne_u64_e64 s[30:31], 0, v[1:2]
	v_cmp_eq_u32_e64 s[34:35], 0, v45
	s_and_b64 s[34:35], s[34:35], s[30:31]
	; wave barrier
	s_and_saveexec_b64 s[30:31], s[34:35]
	s_cbranch_execz .LBB190_14
; %bb.13:                               ;   in Loop: Header=BB190_4 Depth=2
	v_bcnt_u32_b32 v1, v1, 0
	v_bcnt_u32_b32 v1, v2, v1
	s_waitcnt lgkmcnt(0)
	v_add_u32_e32 v1, v16, v1
	ds_write_b32 v44, v1 offset:32
.LBB190_14:                             ;   in Loop: Header=BB190_4 Depth=2
	s_or_b64 exec, exec, s[30:31]
	v_lshrrev_b32_e32 v2, s49, v23
	v_lshrrev_b32_e32 v1, s46, v24
	v_and_b32_e32 v2, s50, v2
	v_and_b32_e32 v1, s48, v1
	v_lshlrev_b32_e32 v2, s47, v2
	v_cndmask_b32_e64 v1, 0, v1, s[28:29]
	v_cndmask_b32_e32 v2, 0, v2, vcc
	v_or_b32_e32 v1, v1, v2
	v_lshlrev_b32_e32 v2, 5, v1
	v_add_u32_e32 v47, v42, v2
	v_and_b32_e32 v2, 1, v1
	v_add_co_u32_e64 v3, s[30:31], -1, v2
	v_addc_co_u32_e64 v4, s[30:31], 0, -1, s[30:31]
	v_cmp_ne_u32_e64 s[30:31], 0, v2
	v_lshlrev_b32_e32 v18, 30, v1
	v_xor_b32_e32 v2, s31, v4
	v_xor_b32_e32 v3, s30, v3
	v_cmp_gt_i64_e64 s[30:31], 0, v[17:18]
	v_not_b32_e32 v4, v18
	v_ashrrev_i32_e32 v4, 31, v4
	v_and_b32_e32 v2, exec_hi, v2
	v_xor_b32_e32 v18, s31, v4
	v_and_b32_e32 v3, exec_lo, v3
	v_xor_b32_e32 v4, s30, v4
	v_and_b32_e32 v2, v2, v18
	v_lshlrev_b32_e32 v18, 29, v1
	v_and_b32_e32 v3, v3, v4
	v_cmp_gt_i64_e64 s[30:31], 0, v[17:18]
	v_not_b32_e32 v4, v18
	v_ashrrev_i32_e32 v4, 31, v4
	v_xor_b32_e32 v18, s31, v4
	v_xor_b32_e32 v4, s30, v4
	v_and_b32_e32 v2, v2, v18
	v_lshlrev_b32_e32 v18, 28, v1
	v_and_b32_e32 v3, v3, v4
	v_cmp_gt_i64_e64 s[30:31], 0, v[17:18]
	v_not_b32_e32 v4, v18
	v_ashrrev_i32_e32 v4, 31, v4
	v_xor_b32_e32 v18, s31, v4
	v_xor_b32_e32 v4, s30, v4
	v_and_b32_e32 v2, v2, v18
	v_lshlrev_b32_e32 v18, 27, v1
	v_and_b32_e32 v3, v3, v4
	v_cmp_gt_i64_e64 s[30:31], 0, v[17:18]
	v_not_b32_e32 v4, v18
	v_ashrrev_i32_e32 v4, 31, v4
	v_xor_b32_e32 v18, s31, v4
	v_xor_b32_e32 v4, s30, v4
	v_and_b32_e32 v2, v2, v18
	v_lshlrev_b32_e32 v18, 26, v1
	v_and_b32_e32 v3, v3, v4
	v_cmp_gt_i64_e64 s[30:31], 0, v[17:18]
	v_not_b32_e32 v4, v18
	v_ashrrev_i32_e32 v4, 31, v4
	v_xor_b32_e32 v18, s31, v4
	v_xor_b32_e32 v4, s30, v4
	v_and_b32_e32 v2, v2, v18
	v_lshlrev_b32_e32 v18, 25, v1
	v_and_b32_e32 v3, v3, v4
	v_cmp_gt_i64_e64 s[30:31], 0, v[17:18]
	v_not_b32_e32 v4, v18
	v_ashrrev_i32_e32 v4, 31, v4
	v_xor_b32_e32 v18, s31, v4
	v_and_b32_e32 v2, v2, v18
	v_lshlrev_b32_e32 v18, 24, v1
	v_xor_b32_e32 v4, s30, v4
	v_cmp_gt_i64_e64 s[30:31], 0, v[17:18]
	v_not_b32_e32 v1, v18
	v_ashrrev_i32_e32 v1, 31, v1
	v_and_b32_e32 v3, v3, v4
	v_xor_b32_e32 v4, s31, v1
	v_xor_b32_e32 v1, s30, v1
	; wave barrier
	ds_read_b32 v46, v47 offset:32
	v_and_b32_e32 v1, v3, v1
	v_and_b32_e32 v2, v2, v4
	v_mbcnt_lo_u32_b32 v3, v1, 0
	v_mbcnt_hi_u32_b32 v48, v2, v3
	v_cmp_ne_u64_e64 s[30:31], 0, v[1:2]
	v_cmp_eq_u32_e64 s[34:35], 0, v48
	s_and_b64 s[34:35], s[34:35], s[30:31]
	; wave barrier
	s_and_saveexec_b64 s[30:31], s[34:35]
	s_cbranch_execz .LBB190_16
; %bb.15:                               ;   in Loop: Header=BB190_4 Depth=2
	v_bcnt_u32_b32 v1, v1, 0
	v_bcnt_u32_b32 v1, v2, v1
	s_waitcnt lgkmcnt(0)
	v_add_u32_e32 v1, v46, v1
	ds_write_b32 v47, v1 offset:32
.LBB190_16:                             ;   in Loop: Header=BB190_4 Depth=2
	s_or_b64 exec, exec, s[30:31]
	v_lshrrev_b32_e32 v2, s49, v21
	v_lshrrev_b32_e32 v1, s46, v22
	v_and_b32_e32 v2, s50, v2
	v_and_b32_e32 v1, s48, v1
	v_lshlrev_b32_e32 v2, s47, v2
	v_cndmask_b32_e64 v1, 0, v1, s[28:29]
	v_cndmask_b32_e32 v2, 0, v2, vcc
	v_or_b32_e32 v1, v1, v2
	v_lshlrev_b32_e32 v2, 5, v1
	v_add_u32_e32 v50, v42, v2
	v_and_b32_e32 v2, 1, v1
	v_add_co_u32_e64 v3, s[30:31], -1, v2
	v_addc_co_u32_e64 v4, s[30:31], 0, -1, s[30:31]
	v_cmp_ne_u32_e64 s[30:31], 0, v2
	v_lshlrev_b32_e32 v18, 30, v1
	v_xor_b32_e32 v2, s31, v4
	v_xor_b32_e32 v3, s30, v3
	v_cmp_gt_i64_e64 s[30:31], 0, v[17:18]
	v_not_b32_e32 v4, v18
	v_ashrrev_i32_e32 v4, 31, v4
	v_and_b32_e32 v2, exec_hi, v2
	v_xor_b32_e32 v18, s31, v4
	v_and_b32_e32 v3, exec_lo, v3
	v_xor_b32_e32 v4, s30, v4
	v_and_b32_e32 v2, v2, v18
	v_lshlrev_b32_e32 v18, 29, v1
	v_and_b32_e32 v3, v3, v4
	v_cmp_gt_i64_e64 s[30:31], 0, v[17:18]
	v_not_b32_e32 v4, v18
	v_ashrrev_i32_e32 v4, 31, v4
	v_xor_b32_e32 v18, s31, v4
	v_xor_b32_e32 v4, s30, v4
	v_and_b32_e32 v2, v2, v18
	v_lshlrev_b32_e32 v18, 28, v1
	v_and_b32_e32 v3, v3, v4
	v_cmp_gt_i64_e64 s[30:31], 0, v[17:18]
	v_not_b32_e32 v4, v18
	v_ashrrev_i32_e32 v4, 31, v4
	v_xor_b32_e32 v18, s31, v4
	;; [unrolled: 8-line block ×5, first 2 shown]
	v_and_b32_e32 v2, v2, v18
	v_lshlrev_b32_e32 v18, 24, v1
	v_xor_b32_e32 v4, s30, v4
	v_cmp_gt_i64_e64 s[30:31], 0, v[17:18]
	v_not_b32_e32 v1, v18
	v_ashrrev_i32_e32 v1, 31, v1
	v_and_b32_e32 v3, v3, v4
	v_xor_b32_e32 v4, s31, v1
	v_xor_b32_e32 v1, s30, v1
	; wave barrier
	ds_read_b32 v49, v50 offset:32
	v_and_b32_e32 v1, v3, v1
	v_and_b32_e32 v2, v2, v4
	v_mbcnt_lo_u32_b32 v3, v1, 0
	v_mbcnt_hi_u32_b32 v51, v2, v3
	v_cmp_ne_u64_e64 s[30:31], 0, v[1:2]
	v_cmp_eq_u32_e64 s[34:35], 0, v51
	s_and_b64 s[34:35], s[34:35], s[30:31]
	; wave barrier
	s_and_saveexec_b64 s[30:31], s[34:35]
	s_cbranch_execz .LBB190_18
; %bb.17:                               ;   in Loop: Header=BB190_4 Depth=2
	v_bcnt_u32_b32 v1, v1, 0
	v_bcnt_u32_b32 v1, v2, v1
	s_waitcnt lgkmcnt(0)
	v_add_u32_e32 v1, v49, v1
	ds_write_b32 v50, v1 offset:32
.LBB190_18:                             ;   in Loop: Header=BB190_4 Depth=2
	s_or_b64 exec, exec, s[30:31]
	v_lshrrev_b32_e32 v2, s49, v19
	v_lshrrev_b32_e32 v1, s46, v20
	v_and_b32_e32 v2, s50, v2
	v_and_b32_e32 v1, s48, v1
	v_lshlrev_b32_e32 v2, s47, v2
	v_cndmask_b32_e64 v1, 0, v1, s[28:29]
	v_cndmask_b32_e32 v2, 0, v2, vcc
	v_or_b32_e32 v1, v1, v2
	v_lshlrev_b32_e32 v2, 5, v1
	v_add_u32_e32 v53, v42, v2
	v_and_b32_e32 v2, 1, v1
	v_add_co_u32_e32 v3, vcc, -1, v2
	v_addc_co_u32_e64 v4, s[28:29], 0, -1, vcc
	v_cmp_ne_u32_e32 vcc, 0, v2
	v_lshlrev_b32_e32 v18, 30, v1
	v_xor_b32_e32 v2, vcc_hi, v4
	v_xor_b32_e32 v3, vcc_lo, v3
	v_cmp_gt_i64_e32 vcc, 0, v[17:18]
	v_not_b32_e32 v4, v18
	v_ashrrev_i32_e32 v4, 31, v4
	v_and_b32_e32 v2, exec_hi, v2
	v_xor_b32_e32 v18, vcc_hi, v4
	v_and_b32_e32 v3, exec_lo, v3
	v_xor_b32_e32 v4, vcc_lo, v4
	v_and_b32_e32 v2, v2, v18
	v_lshlrev_b32_e32 v18, 29, v1
	v_and_b32_e32 v3, v3, v4
	v_cmp_gt_i64_e32 vcc, 0, v[17:18]
	v_not_b32_e32 v4, v18
	v_ashrrev_i32_e32 v4, 31, v4
	v_xor_b32_e32 v18, vcc_hi, v4
	v_xor_b32_e32 v4, vcc_lo, v4
	v_and_b32_e32 v2, v2, v18
	v_lshlrev_b32_e32 v18, 28, v1
	v_and_b32_e32 v3, v3, v4
	v_cmp_gt_i64_e32 vcc, 0, v[17:18]
	v_not_b32_e32 v4, v18
	v_ashrrev_i32_e32 v4, 31, v4
	v_xor_b32_e32 v18, vcc_hi, v4
	;; [unrolled: 8-line block ×5, first 2 shown]
	v_and_b32_e32 v2, v2, v18
	v_lshlrev_b32_e32 v18, 24, v1
	v_xor_b32_e32 v4, vcc_lo, v4
	v_cmp_gt_i64_e32 vcc, 0, v[17:18]
	v_not_b32_e32 v1, v18
	v_ashrrev_i32_e32 v1, 31, v1
	v_and_b32_e32 v3, v3, v4
	v_xor_b32_e32 v4, vcc_hi, v1
	v_xor_b32_e32 v1, vcc_lo, v1
	; wave barrier
	ds_read_b32 v52, v53 offset:32
	v_and_b32_e32 v1, v3, v1
	v_and_b32_e32 v2, v2, v4
	v_mbcnt_lo_u32_b32 v3, v1, 0
	v_mbcnt_hi_u32_b32 v18, v2, v3
	v_cmp_ne_u64_e32 vcc, 0, v[1:2]
	v_cmp_eq_u32_e64 s[28:29], 0, v18
	s_and_b64 s[30:31], s[28:29], vcc
	; wave barrier
	s_and_saveexec_b64 s[28:29], s[30:31]
	s_cbranch_execz .LBB190_20
; %bb.19:                               ;   in Loop: Header=BB190_4 Depth=2
	v_bcnt_u32_b32 v1, v1, 0
	v_bcnt_u32_b32 v1, v2, v1
	s_waitcnt lgkmcnt(0)
	v_add_u32_e32 v1, v52, v1
	ds_write_b32 v53, v1 offset:32
.LBB190_20:                             ;   in Loop: Header=BB190_4 Depth=2
	s_or_b64 exec, exec, s[28:29]
	; wave barrier
	s_waitcnt lgkmcnt(0)
	s_barrier
	ds_read2_b64 v[1:4], v37 offset0:4 offset1:5
	s_waitcnt lgkmcnt(0)
	v_add_u32_e32 v54, v2, v1
	v_add3_u32 v4, v54, v3, v4
	s_nop 1
	v_mov_b32_dpp v54, v4 row_shr:1 row_mask:0xf bank_mask:0xf
	v_cndmask_b32_e64 v54, v54, 0, s[0:1]
	v_add_u32_e32 v4, v54, v4
	s_nop 1
	v_mov_b32_dpp v54, v4 row_shr:2 row_mask:0xf bank_mask:0xf
	v_cndmask_b32_e64 v54, 0, v54, s[2:3]
	v_add_u32_e32 v4, v4, v54
	;; [unrolled: 4-line block ×4, first 2 shown]
	s_nop 1
	v_mov_b32_dpp v54, v4 row_bcast:15 row_mask:0xf bank_mask:0xf
	v_cndmask_b32_e64 v54, v54, 0, s[8:9]
	v_add_u32_e32 v4, v4, v54
	s_nop 1
	v_mov_b32_dpp v54, v4 row_bcast:31 row_mask:0xf bank_mask:0xf
	v_cndmask_b32_e64 v54, 0, v54, s[10:11]
	v_add_u32_e32 v4, v4, v54
	s_and_saveexec_b64 s[28:29], s[12:13]
; %bb.21:                               ;   in Loop: Header=BB190_4 Depth=2
	ds_write_b32 v39, v4
; %bb.22:                               ;   in Loop: Header=BB190_4 Depth=2
	s_or_b64 exec, exec, s[28:29]
	s_waitcnt lgkmcnt(0)
	s_barrier
	s_and_saveexec_b64 s[28:29], s[14:15]
	s_cbranch_execz .LBB190_24
; %bb.23:                               ;   in Loop: Header=BB190_4 Depth=2
	ds_read_b32 v54, v40
	s_waitcnt lgkmcnt(0)
	s_nop 0
	v_mov_b32_dpp v55, v54 row_shr:1 row_mask:0xf bank_mask:0xf
	v_cndmask_b32_e64 v55, v55, 0, s[22:23]
	v_add_u32_e32 v54, v55, v54
	s_nop 1
	v_mov_b32_dpp v55, v54 row_shr:2 row_mask:0xf bank_mask:0xf
	v_cndmask_b32_e64 v55, 0, v55, s[24:25]
	v_add_u32_e32 v54, v54, v55
	;; [unrolled: 4-line block ×3, first 2 shown]
	ds_write_b32 v40, v54
.LBB190_24:                             ;   in Loop: Header=BB190_4 Depth=2
	s_or_b64 exec, exec, s[28:29]
	v_mov_b32_e32 v54, 0
	s_waitcnt lgkmcnt(0)
	s_barrier
	s_and_saveexec_b64 s[28:29], s[16:17]
; %bb.25:                               ;   in Loop: Header=BB190_4 Depth=2
	ds_read_b32 v54, v41
; %bb.26:                               ;   in Loop: Header=BB190_4 Depth=2
	s_or_b64 exec, exec, s[28:29]
	s_waitcnt lgkmcnt(0)
	v_add_u32_e32 v4, v54, v4
	ds_bpermute_b32 v4, v38, v4
	v_lshlrev_b32_e32 v5, 3, v5
	s_cmp_gt_u32 s46, 55
	s_mov_b64 s[28:29], -1
	s_waitcnt lgkmcnt(0)
	v_cndmask_b32_e64 v4, v4, v54, s[18:19]
	v_cndmask_b32_e64 v54, v4, 0, s[20:21]
	v_add_u32_e32 v55, v54, v1
	v_add_u32_e32 v1, v55, v2
	;; [unrolled: 1-line block ×3, first 2 shown]
	ds_write2_b64 v37, v[54:55], v[1:2] offset0:4 offset1:5
	s_waitcnt lgkmcnt(0)
	s_barrier
	ds_read_b32 v1, v6 offset:32
	ds_read_b32 v2, v8 offset:32
	;; [unrolled: 1-line block ×8, first 2 shown]
	s_waitcnt lgkmcnt(7)
	v_lshl_add_u32 v44, v1, 3, v5
	v_lshlrev_b32_e32 v1, 3, v9
	v_lshlrev_b32_e32 v5, 3, v7
	s_waitcnt lgkmcnt(6)
	v_lshlrev_b32_e32 v2, 3, v2
	v_add3_u32 v47, v1, v5, v2
	v_lshlrev_b32_e32 v1, 3, v12
	v_lshlrev_b32_e32 v2, 3, v10
	s_waitcnt lgkmcnt(5)
	v_lshlrev_b32_e32 v3, 3, v3
	v_add3_u32 v50, v1, v2, v3
	;; [unrolled: 5-line block ×7, first 2 shown]
                                        ; implicit-def: $vgpr1_vgpr2
                                        ; implicit-def: $vgpr5_vgpr6
                                        ; implicit-def: $vgpr9_vgpr10
                                        ; implicit-def: $vgpr13_vgpr14
	s_cbranch_scc1 .LBB190_3
; %bb.27:                               ;   in Loop: Header=BB190_4 Depth=2
	s_barrier
	ds_write_b64 v44, v[33:34]
	ds_write_b64 v47, v[31:32]
	;; [unrolled: 1-line block ×8, first 2 shown]
	s_waitcnt lgkmcnt(0)
	s_barrier
	ds_read2st64_b64 v[1:4], v36 offset1:1
	ds_read2st64_b64 v[5:8], v36 offset0:2 offset1:3
	ds_read2st64_b64 v[9:12], v36 offset0:4 offset1:5
	;; [unrolled: 1-line block ×3, first 2 shown]
	s_add_i32 s45, s45, -8
	s_add_i32 s44, s44, 8
	s_add_i32 s46, s46, 8
	s_mov_b64 s[28:29], 0
	s_waitcnt lgkmcnt(0)
	s_barrier
	s_branch .LBB190_3
.LBB190_28:
	s_add_u32 s0, s38, s42
	s_addc_u32 s1, s39, s43
	v_lshlrev_b32_e32 v0, 3, v0
	v_mov_b32_e32 v1, s1
	v_add_co_u32_e32 v2, vcc, s0, v0
	v_addc_co_u32_e32 v17, vcc, 0, v1, vcc
	global_store_dwordx2 v0, v[18:19], s[0:1]
	v_add_co_u32_e32 v0, vcc, 0x1000, v2
	v_addc_co_u32_e32 v1, vcc, 0, v17, vcc
	global_store_dwordx2 v[0:1], v[15:16], off
	v_add_co_u32_e32 v0, vcc, 0x2000, v2
	v_addc_co_u32_e32 v1, vcc, 0, v17, vcc
	global_store_dwordx2 v[0:1], v[13:14], off
	;; [unrolled: 3-line block ×7, first 2 shown]
	s_endpgm
	.section	.rodata,"a",@progbits
	.p2align	6, 0x0
	.amdhsa_kernel _Z16sort_keys_kernelI22helper_blocked_blockedN15benchmark_utils11custom_typeIiiEELj512ELj8ELj10EEvPKT0_PS4_
		.amdhsa_group_segment_fixed_size 32768
		.amdhsa_private_segment_fixed_size 0
		.amdhsa_kernarg_size 272
		.amdhsa_user_sgpr_count 6
		.amdhsa_user_sgpr_private_segment_buffer 1
		.amdhsa_user_sgpr_dispatch_ptr 0
		.amdhsa_user_sgpr_queue_ptr 0
		.amdhsa_user_sgpr_kernarg_segment_ptr 1
		.amdhsa_user_sgpr_dispatch_id 0
		.amdhsa_user_sgpr_flat_scratch_init 0
		.amdhsa_user_sgpr_private_segment_size 0
		.amdhsa_uses_dynamic_stack 0
		.amdhsa_system_sgpr_private_segment_wavefront_offset 0
		.amdhsa_system_sgpr_workgroup_id_x 1
		.amdhsa_system_sgpr_workgroup_id_y 0
		.amdhsa_system_sgpr_workgroup_id_z 0
		.amdhsa_system_sgpr_workgroup_info 0
		.amdhsa_system_vgpr_workitem_id 2
		.amdhsa_next_free_vgpr 56
		.amdhsa_next_free_sgpr 98
		.amdhsa_reserve_vcc 1
		.amdhsa_reserve_flat_scratch 0
		.amdhsa_float_round_mode_32 0
		.amdhsa_float_round_mode_16_64 0
		.amdhsa_float_denorm_mode_32 3
		.amdhsa_float_denorm_mode_16_64 3
		.amdhsa_dx10_clamp 1
		.amdhsa_ieee_mode 1
		.amdhsa_fp16_overflow 0
		.amdhsa_exception_fp_ieee_invalid_op 0
		.amdhsa_exception_fp_denorm_src 0
		.amdhsa_exception_fp_ieee_div_zero 0
		.amdhsa_exception_fp_ieee_overflow 0
		.amdhsa_exception_fp_ieee_underflow 0
		.amdhsa_exception_fp_ieee_inexact 0
		.amdhsa_exception_int_div_zero 0
	.end_amdhsa_kernel
	.section	.text._Z16sort_keys_kernelI22helper_blocked_blockedN15benchmark_utils11custom_typeIiiEELj512ELj8ELj10EEvPKT0_PS4_,"axG",@progbits,_Z16sort_keys_kernelI22helper_blocked_blockedN15benchmark_utils11custom_typeIiiEELj512ELj8ELj10EEvPKT0_PS4_,comdat
.Lfunc_end190:
	.size	_Z16sort_keys_kernelI22helper_blocked_blockedN15benchmark_utils11custom_typeIiiEELj512ELj8ELj10EEvPKT0_PS4_, .Lfunc_end190-_Z16sort_keys_kernelI22helper_blocked_blockedN15benchmark_utils11custom_typeIiiEELj512ELj8ELj10EEvPKT0_PS4_
                                        ; -- End function
	.set _Z16sort_keys_kernelI22helper_blocked_blockedN15benchmark_utils11custom_typeIiiEELj512ELj8ELj10EEvPKT0_PS4_.num_vgpr, 56
	.set _Z16sort_keys_kernelI22helper_blocked_blockedN15benchmark_utils11custom_typeIiiEELj512ELj8ELj10EEvPKT0_PS4_.num_agpr, 0
	.set _Z16sort_keys_kernelI22helper_blocked_blockedN15benchmark_utils11custom_typeIiiEELj512ELj8ELj10EEvPKT0_PS4_.numbered_sgpr, 51
	.set _Z16sort_keys_kernelI22helper_blocked_blockedN15benchmark_utils11custom_typeIiiEELj512ELj8ELj10EEvPKT0_PS4_.num_named_barrier, 0
	.set _Z16sort_keys_kernelI22helper_blocked_blockedN15benchmark_utils11custom_typeIiiEELj512ELj8ELj10EEvPKT0_PS4_.private_seg_size, 0
	.set _Z16sort_keys_kernelI22helper_blocked_blockedN15benchmark_utils11custom_typeIiiEELj512ELj8ELj10EEvPKT0_PS4_.uses_vcc, 1
	.set _Z16sort_keys_kernelI22helper_blocked_blockedN15benchmark_utils11custom_typeIiiEELj512ELj8ELj10EEvPKT0_PS4_.uses_flat_scratch, 0
	.set _Z16sort_keys_kernelI22helper_blocked_blockedN15benchmark_utils11custom_typeIiiEELj512ELj8ELj10EEvPKT0_PS4_.has_dyn_sized_stack, 0
	.set _Z16sort_keys_kernelI22helper_blocked_blockedN15benchmark_utils11custom_typeIiiEELj512ELj8ELj10EEvPKT0_PS4_.has_recursion, 0
	.set _Z16sort_keys_kernelI22helper_blocked_blockedN15benchmark_utils11custom_typeIiiEELj512ELj8ELj10EEvPKT0_PS4_.has_indirect_call, 0
	.section	.AMDGPU.csdata,"",@progbits
; Kernel info:
; codeLenInByte = 5484
; TotalNumSgprs: 55
; NumVgprs: 56
; ScratchSize: 0
; MemoryBound: 0
; FloatMode: 240
; IeeeMode: 1
; LDSByteSize: 32768 bytes/workgroup (compile time only)
; SGPRBlocks: 12
; VGPRBlocks: 13
; NumSGPRsForWavesPerEU: 102
; NumVGPRsForWavesPerEU: 56
; Occupancy: 4
; WaveLimiterHint : 1
; COMPUTE_PGM_RSRC2:SCRATCH_EN: 0
; COMPUTE_PGM_RSRC2:USER_SGPR: 6
; COMPUTE_PGM_RSRC2:TRAP_HANDLER: 0
; COMPUTE_PGM_RSRC2:TGID_X_EN: 1
; COMPUTE_PGM_RSRC2:TGID_Y_EN: 0
; COMPUTE_PGM_RSRC2:TGID_Z_EN: 0
; COMPUTE_PGM_RSRC2:TIDIG_COMP_CNT: 2
	.section	.text._Z17sort_pairs_kernelI22helper_blocked_blockedN15benchmark_utils11custom_typeIiiEELj512ELj8ELj10EEvPKT0_PS4_,"axG",@progbits,_Z17sort_pairs_kernelI22helper_blocked_blockedN15benchmark_utils11custom_typeIiiEELj512ELj8ELj10EEvPKT0_PS4_,comdat
	.protected	_Z17sort_pairs_kernelI22helper_blocked_blockedN15benchmark_utils11custom_typeIiiEELj512ELj8ELj10EEvPKT0_PS4_ ; -- Begin function _Z17sort_pairs_kernelI22helper_blocked_blockedN15benchmark_utils11custom_typeIiiEELj512ELj8ELj10EEvPKT0_PS4_
	.globl	_Z17sort_pairs_kernelI22helper_blocked_blockedN15benchmark_utils11custom_typeIiiEELj512ELj8ELj10EEvPKT0_PS4_
	.p2align	8
	.type	_Z17sort_pairs_kernelI22helper_blocked_blockedN15benchmark_utils11custom_typeIiiEELj512ELj8ELj10EEvPKT0_PS4_,@function
_Z17sort_pairs_kernelI22helper_blocked_blockedN15benchmark_utils11custom_typeIiiEELj512ELj8ELj10EEvPKT0_PS4_: ; @_Z17sort_pairs_kernelI22helper_blocked_blockedN15benchmark_utils11custom_typeIiiEELj512ELj8ELj10EEvPKT0_PS4_
; %bb.0:
	s_load_dwordx4 s[36:39], s[4:5], 0x0
	s_load_dword s20, s[4:5], 0x1c
	s_lshl_b32 s42, s6, 12
	s_mov_b32 s43, 0
	s_lshl_b64 s[40:41], s[42:43], 3
	s_waitcnt lgkmcnt(0)
	s_add_u32 s0, s36, s40
	s_addc_u32 s1, s37, s41
	v_lshlrev_b32_e32 v5, 3, v0
	v_mov_b32_e32 v3, s1
	v_add_co_u32_e32 v7, vcc, s0, v5
	v_addc_co_u32_e32 v8, vcc, 0, v3, vcc
	s_movk_i32 s2, 0x2000
	v_add_co_u32_e32 v3, vcc, s2, v7
	v_addc_co_u32_e32 v4, vcc, 0, v8, vcc
	global_load_dwordx2 v[17:18], v5, s[0:1]
	global_load_dwordx2 v[19:20], v[3:4], off offset:-4096
	global_load_dwordx2 v[21:22], v[3:4], off
	s_movk_i32 s0, 0x4000
	v_add_co_u32_e32 v3, vcc, s0, v7
	v_addc_co_u32_e32 v4, vcc, 0, v8, vcc
	s_movk_i32 s0, 0x6000
	v_add_co_u32_e32 v5, vcc, s0, v7
	v_addc_co_u32_e32 v6, vcc, 0, v8, vcc
	s_movk_i32 s0, 0x7000
	global_load_dwordx2 v[23:24], v[3:4], off offset:-4096
	global_load_dwordx2 v[25:26], v[3:4], off
	global_load_dwordx2 v[27:28], v[5:6], off offset:-4096
	global_load_dwordx2 v[29:30], v[5:6], off
	v_add_co_u32_e32 v3, vcc, s0, v7
	v_addc_co_u32_e32 v4, vcc, 0, v8, vcc
	global_load_dwordx2 v[31:32], v[3:4], off
	s_lshr_b32 s21, s20, 16
	v_mbcnt_lo_u32_b32 v3, -1, 0
	s_and_b32 s20, s20, 0xffff
	v_mad_u32_u24 v1, v2, s21, v1
	v_mbcnt_hi_u32_b32 v36, -1, v3
	v_mad_u64_u32 v[34:35], s[20:21], v1, s20, v[0:1]
	v_subrev_co_u32_e64 v37, s[6:7], 1, v36
	v_and_b32_e32 v38, 64, v36
	v_cmp_lt_i32_e32 vcc, v37, v38
	v_cndmask_b32_e32 v35, v37, v36, vcc
	v_and_b32_e32 v3, 0x1c0, v0
	v_lshlrev_b32_e32 v4, 6, v0
	v_lshlrev_b32_e32 v67, 4, v0
	;; [unrolled: 1-line block ×3, first 2 shown]
	v_lshrrev_b32_e32 v35, 4, v0
	v_lshrrev_b32_e32 v34, 4, v34
	v_add_lshl_u32 v68, v36, v3, 6
	v_and_b32_e32 v4, 0x7000, v4
	v_and_b32_e32 v5, 15, v36
	;; [unrolled: 1-line block ×3, first 2 shown]
	v_or_b32_e32 v3, 63, v3
	v_and_b32_e32 v71, 28, v35
	v_mad_i32_i24 v72, v0, -12, v67
	v_and_b32_e32 v35, 7, v36
	v_and_b32_e32 v74, 0xffffffc, v34
	v_mul_u32_u24_e32 v34, 60, v0
	v_mov_b32_e32 v33, 0
	v_cmp_gt_u32_e64 s[0:1], 8, v0
	v_cmp_lt_u32_e64 s[2:3], 63, v0
	v_cmp_lt_u32_e64 s[4:5], 31, v36
	v_lshl_or_b32 v69, v36, 3, v4
	v_cmp_eq_u32_e64 s[8:9], 0, v5
	v_cmp_lt_u32_e64 s[10:11], 1, v5
	v_cmp_lt_u32_e64 s[12:13], 3, v5
	;; [unrolled: 1-line block ×3, first 2 shown]
	v_cmp_eq_u32_e64 s[16:17], 0, v6
	v_cmp_eq_u32_e64 s[18:19], v0, v3
	;; [unrolled: 1-line block ×4, first 2 shown]
	v_cmp_lt_u32_e64 s[24:25], 1, v35
	v_cmp_lt_u32_e64 s[26:27], 3, v35
	v_add_u32_e32 v73, -4, v71
	s_mov_b32 s42, s43
	s_mov_b32 s36, s43
	;; [unrolled: 1-line block ×3, first 2 shown]
	v_add_u32_e32 v75, v72, v34
	s_mov_b32 s33, s43
	s_waitcnt vmcnt(7)
	v_add_u32_e32 v14, 1, v18
	v_add_u32_e32 v13, 1, v17
	s_waitcnt vmcnt(6)
	v_add_u32_e32 v16, 1, v20
	v_add_u32_e32 v15, 1, v19
	;; [unrolled: 3-line block ×8, first 2 shown]
	s_branch .LBB191_2
.LBB191_1:                              ;   in Loop: Header=BB191_2 Depth=1
	s_barrier
	ds_write_b64 v34, v[65:66]
	ds_write_b64 v76, v[63:64]
	;; [unrolled: 1-line block ×8, first 2 shown]
	s_waitcnt lgkmcnt(0)
	s_barrier
	ds_read2_b64 v[17:20], v75 offset1:1
	ds_read2_b64 v[21:24], v75 offset0:2 offset1:3
	ds_read2_b64 v[25:28], v75 offset0:4 offset1:5
	;; [unrolled: 1-line block ×3, first 2 shown]
	s_waitcnt lgkmcnt(0)
	s_barrier
	ds_write_b64 v34, v[49:50]
	ds_write_b64 v76, v[47:48]
	;; [unrolled: 1-line block ×8, first 2 shown]
	s_waitcnt lgkmcnt(0)
	s_barrier
	ds_read2_b64 v[13:16], v75 offset1:1
	ds_read2_b64 v[9:12], v75 offset0:2 offset1:3
	ds_read2_b64 v[5:8], v75 offset0:4 offset1:5
	;; [unrolled: 1-line block ×3, first 2 shown]
	s_add_i32 s33, s33, 1
	v_xor_b32_e32 v17, 0x80000000, v17
	v_xor_b32_e32 v18, 0x80000000, v18
	;; [unrolled: 1-line block ×15, first 2 shown]
	s_cmp_lg_u32 s33, 10
	v_xor_b32_e32 v32, 0x80000000, v32
	s_cbranch_scc0 .LBB191_28
.LBB191_2:                              ; =>This Loop Header: Depth=1
                                        ;     Child Loop BB191_4 Depth 2
	v_xor_b32_e32 v18, 0x80000000, v18
	v_xor_b32_e32 v17, 0x80000000, v17
	;; [unrolled: 1-line block ×16, first 2 shown]
	ds_write2_b64 v68, v[17:18], v[19:20] offset1:1
	ds_write2_b64 v68, v[21:22], v[23:24] offset0:2 offset1:3
	ds_write2_b64 v68, v[25:26], v[27:28] offset0:4 offset1:5
	;; [unrolled: 1-line block ×3, first 2 shown]
	; wave barrier
	ds_read2st64_b64 v[17:20], v69 offset1:1
	ds_read2st64_b64 v[21:24], v69 offset0:2 offset1:3
	ds_read2st64_b64 v[25:28], v69 offset0:4 offset1:5
	;; [unrolled: 1-line block ×3, first 2 shown]
	; wave barrier
	s_waitcnt lgkmcnt(11)
	ds_write2_b64 v68, v[13:14], v[15:16] offset1:1
	s_waitcnt lgkmcnt(11)
	ds_write2_b64 v68, v[9:10], v[11:12] offset0:2 offset1:3
	s_waitcnt lgkmcnt(11)
	ds_write2_b64 v68, v[5:6], v[7:8] offset0:4 offset1:5
	;; [unrolled: 2-line block ×3, first 2 shown]
	; wave barrier
	ds_read2st64_b64 v[1:4], v69 offset1:1
	ds_read2st64_b64 v[5:8], v69 offset0:2 offset1:3
	ds_read2st64_b64 v[9:12], v69 offset0:4 offset1:5
	;; [unrolled: 1-line block ×3, first 2 shown]
	s_mov_b32 s44, 8
	s_mov_b32 s45, 32
	;; [unrolled: 1-line block ×3, first 2 shown]
	s_waitcnt lgkmcnt(0)
	s_barrier
	s_branch .LBB191_4
.LBB191_3:                              ;   in Loop: Header=BB191_4 Depth=2
	s_andn2_b64 vcc, exec, s[28:29]
	s_cbranch_vccz .LBB191_1
.LBB191_4:                              ;   Parent Loop BB191_2 Depth=1
                                        ; =>  This Inner Loop Header: Depth=2
	s_min_i32 s30, s44, 32
	s_cmp_lt_u32 s46, 32
	s_cselect_b64 s[28:29], -1, 0
	s_cmp_gt_u32 s46, 31
	s_cselect_b64 vcc, -1, 0
	s_sub_i32 s30, s30, 32
	s_add_i32 s31, s30, s45
	s_lshl_b32 s31, -1, s31
	s_not_b32 s31, s31
	s_cmp_lg_u32 s30, s46
	s_cselect_b32 s48, s31, -1
	s_max_i32 s47, s45, 0
	s_max_i32 s30, s46, 32
	s_sub_i32 s49, s30, 32
	s_sub_i32 s30, s30, s47
	;; [unrolled: 1-line block ×3, first 2 shown]
	s_min_i32 s30, s30, 32
	s_sub_i32 s30, s30, s49
	v_mov_b32_e32 v50, v2
	v_mov_b32_e32 v48, v4
	s_lshl_b32 s31, -1, s30
	v_mov_b32_e32 v49, v1
	v_mov_b32_e32 v47, v3
	;; [unrolled: 1-line block ×5, first 2 shown]
	s_not_b32 s31, s31
	v_mov_b32_e32 v65, v17
	v_mov_b32_e32 v2, s43
	;; [unrolled: 1-line block ×3, first 2 shown]
	s_cmp_lg_u32 s30, 32
	ds_write2_b64 v67, v[1:2], v[3:4] offset0:4 offset1:5
	s_cselect_b32 s50, s31, -1
	v_lshrrev_b32_e32 v2, s49, v65
	v_lshrrev_b32_e32 v1, s46, v66
	v_and_b32_e32 v2, s50, v2
	v_and_b32_e32 v1, s48, v1
	v_lshlrev_b32_e32 v2, s47, v2
	v_cndmask_b32_e64 v1, 0, v1, s[28:29]
	v_cndmask_b32_e32 v2, 0, v2, vcc
	v_or_b32_e32 v1, v1, v2
	v_and_b32_e32 v2, 1, v1
	v_mov_b32_e32 v46, v6
	v_add_co_u32_e64 v4, s[30:31], -1, v2
	v_mov_b32_e32 v45, v5
	v_addc_co_u32_e64 v5, s[30:31], 0, -1, s[30:31]
	v_cmp_ne_u32_e64 s[30:31], 0, v2
	v_lshlrev_b32_e32 v34, 30, v1
	v_xor_b32_e32 v2, s31, v5
	v_xor_b32_e32 v4, s30, v4
	v_cmp_gt_i64_e64 s[30:31], 0, v[33:34]
	v_not_b32_e32 v5, v34
	v_ashrrev_i32_e32 v5, 31, v5
	v_and_b32_e32 v4, exec_lo, v4
	v_xor_b32_e32 v6, s31, v5
	v_xor_b32_e32 v5, s30, v5
	v_lshlrev_b32_e32 v34, 29, v1
	v_and_b32_e32 v4, v4, v5
	v_cmp_gt_i64_e64 s[30:31], 0, v[33:34]
	v_not_b32_e32 v5, v34
	v_and_b32_e32 v2, exec_hi, v2
	v_ashrrev_i32_e32 v5, 31, v5
	v_and_b32_e32 v2, v2, v6
	v_xor_b32_e32 v6, s31, v5
	v_xor_b32_e32 v5, s30, v5
	v_lshlrev_b32_e32 v34, 28, v1
	v_and_b32_e32 v4, v4, v5
	v_cmp_gt_i64_e64 s[30:31], 0, v[33:34]
	v_not_b32_e32 v5, v34
	v_ashrrev_i32_e32 v5, 31, v5
	v_and_b32_e32 v2, v2, v6
	v_xor_b32_e32 v6, s31, v5
	v_xor_b32_e32 v5, s30, v5
	v_lshlrev_b32_e32 v34, 27, v1
	v_and_b32_e32 v4, v4, v5
	v_cmp_gt_i64_e64 s[30:31], 0, v[33:34]
	v_not_b32_e32 v5, v34
	;; [unrolled: 8-line block ×4, first 2 shown]
	v_ashrrev_i32_e32 v5, 31, v5
	v_lshlrev_b32_e32 v34, 24, v1
	v_lshlrev_b32_e32 v3, 5, v1
	v_and_b32_e32 v2, v2, v6
	v_xor_b32_e32 v6, s31, v5
	v_xor_b32_e32 v5, s30, v5
	v_cmp_gt_i64_e64 s[30:31], 0, v[33:34]
	v_not_b32_e32 v1, v34
	v_ashrrev_i32_e32 v1, 31, v1
	v_and_b32_e32 v4, v4, v5
	v_xor_b32_e32 v5, s31, v1
	v_xor_b32_e32 v1, s30, v1
	v_and_b32_e32 v2, v2, v6
	v_and_b32_e32 v1, v4, v1
	;; [unrolled: 1-line block ×3, first 2 shown]
	v_mbcnt_lo_u32_b32 v4, v1, 0
	v_mbcnt_hi_u32_b32 v5, v2, v4
	v_cmp_ne_u64_e64 s[30:31], 0, v[1:2]
	v_mov_b32_e32 v44, v8
	v_mov_b32_e32 v42, v10
	;; [unrolled: 1-line block ×12, first 2 shown]
	v_cmp_eq_u32_e64 s[34:35], 0, v5
	v_mov_b32_e32 v43, v7
	v_mov_b32_e32 v41, v9
	;; [unrolled: 1-line block ×12, first 2 shown]
	s_and_b64 s[34:35], s[34:35], s[30:31]
	v_add_u32_e32 v6, v74, v3
	s_waitcnt lgkmcnt(0)
	s_barrier
	; wave barrier
	s_and_saveexec_b64 s[30:31], s[34:35]
; %bb.5:                                ;   in Loop: Header=BB191_4 Depth=2
	v_bcnt_u32_b32 v1, v1, 0
	v_bcnt_u32_b32 v1, v2, v1
	ds_write_b32 v6, v1 offset:32
; %bb.6:                                ;   in Loop: Header=BB191_4 Depth=2
	s_or_b64 exec, exec, s[30:31]
	v_lshrrev_b32_e32 v2, s49, v63
	v_lshrrev_b32_e32 v1, s46, v64
	v_and_b32_e32 v2, s50, v2
	v_and_b32_e32 v1, s48, v1
	v_lshlrev_b32_e32 v2, s47, v2
	v_cndmask_b32_e64 v1, 0, v1, s[28:29]
	v_cndmask_b32_e32 v2, 0, v2, vcc
	v_or_b32_e32 v1, v1, v2
	v_lshlrev_b32_e32 v2, 5, v1
	v_add_u32_e32 v8, v74, v2
	v_and_b32_e32 v2, 1, v1
	v_add_co_u32_e64 v3, s[30:31], -1, v2
	v_addc_co_u32_e64 v4, s[30:31], 0, -1, s[30:31]
	v_cmp_ne_u32_e64 s[30:31], 0, v2
	v_lshlrev_b32_e32 v34, 30, v1
	v_xor_b32_e32 v2, s31, v4
	v_xor_b32_e32 v3, s30, v3
	v_cmp_gt_i64_e64 s[30:31], 0, v[33:34]
	v_not_b32_e32 v4, v34
	v_ashrrev_i32_e32 v4, 31, v4
	v_and_b32_e32 v3, exec_lo, v3
	v_xor_b32_e32 v9, s31, v4
	v_xor_b32_e32 v4, s30, v4
	v_lshlrev_b32_e32 v34, 29, v1
	v_and_b32_e32 v3, v3, v4
	v_cmp_gt_i64_e64 s[30:31], 0, v[33:34]
	v_not_b32_e32 v4, v34
	v_and_b32_e32 v2, exec_hi, v2
	v_ashrrev_i32_e32 v4, 31, v4
	v_and_b32_e32 v2, v2, v9
	v_xor_b32_e32 v9, s31, v4
	v_xor_b32_e32 v4, s30, v4
	v_lshlrev_b32_e32 v34, 28, v1
	v_and_b32_e32 v3, v3, v4
	v_cmp_gt_i64_e64 s[30:31], 0, v[33:34]
	v_not_b32_e32 v4, v34
	v_ashrrev_i32_e32 v4, 31, v4
	v_and_b32_e32 v2, v2, v9
	v_xor_b32_e32 v9, s31, v4
	v_xor_b32_e32 v4, s30, v4
	v_lshlrev_b32_e32 v34, 27, v1
	v_and_b32_e32 v3, v3, v4
	v_cmp_gt_i64_e64 s[30:31], 0, v[33:34]
	v_not_b32_e32 v4, v34
	;; [unrolled: 8-line block ×4, first 2 shown]
	v_ashrrev_i32_e32 v4, 31, v4
	v_lshlrev_b32_e32 v34, 24, v1
	v_and_b32_e32 v2, v2, v9
	v_xor_b32_e32 v9, s31, v4
	v_xor_b32_e32 v4, s30, v4
	v_cmp_gt_i64_e64 s[30:31], 0, v[33:34]
	v_not_b32_e32 v1, v34
	v_ashrrev_i32_e32 v1, 31, v1
	v_and_b32_e32 v3, v3, v4
	v_xor_b32_e32 v4, s31, v1
	v_xor_b32_e32 v1, s30, v1
	; wave barrier
	ds_read_b32 v7, v8 offset:32
	v_and_b32_e32 v2, v2, v9
	v_and_b32_e32 v1, v3, v1
	;; [unrolled: 1-line block ×3, first 2 shown]
	v_mbcnt_lo_u32_b32 v3, v1, 0
	v_mbcnt_hi_u32_b32 v9, v2, v3
	v_cmp_ne_u64_e64 s[30:31], 0, v[1:2]
	v_cmp_eq_u32_e64 s[34:35], 0, v9
	s_and_b64 s[34:35], s[34:35], s[30:31]
	; wave barrier
	s_and_saveexec_b64 s[30:31], s[34:35]
	s_cbranch_execz .LBB191_8
; %bb.7:                                ;   in Loop: Header=BB191_4 Depth=2
	v_bcnt_u32_b32 v1, v1, 0
	v_bcnt_u32_b32 v1, v2, v1
	s_waitcnt lgkmcnt(0)
	v_add_u32_e32 v1, v7, v1
	ds_write_b32 v8, v1 offset:32
.LBB191_8:                              ;   in Loop: Header=BB191_4 Depth=2
	s_or_b64 exec, exec, s[30:31]
	v_lshrrev_b32_e32 v2, s49, v61
	v_lshrrev_b32_e32 v1, s46, v62
	v_and_b32_e32 v2, s50, v2
	v_and_b32_e32 v1, s48, v1
	v_lshlrev_b32_e32 v2, s47, v2
	v_cndmask_b32_e64 v1, 0, v1, s[28:29]
	v_cndmask_b32_e32 v2, 0, v2, vcc
	v_or_b32_e32 v1, v1, v2
	v_lshlrev_b32_e32 v2, 5, v1
	v_add_u32_e32 v11, v74, v2
	v_and_b32_e32 v2, 1, v1
	v_add_co_u32_e64 v3, s[30:31], -1, v2
	v_addc_co_u32_e64 v4, s[30:31], 0, -1, s[30:31]
	v_cmp_ne_u32_e64 s[30:31], 0, v2
	v_lshlrev_b32_e32 v34, 30, v1
	v_xor_b32_e32 v2, s31, v4
	v_xor_b32_e32 v3, s30, v3
	v_cmp_gt_i64_e64 s[30:31], 0, v[33:34]
	v_not_b32_e32 v4, v34
	v_ashrrev_i32_e32 v4, 31, v4
	v_and_b32_e32 v3, exec_lo, v3
	v_xor_b32_e32 v12, s31, v4
	v_xor_b32_e32 v4, s30, v4
	v_lshlrev_b32_e32 v34, 29, v1
	v_and_b32_e32 v3, v3, v4
	v_cmp_gt_i64_e64 s[30:31], 0, v[33:34]
	v_not_b32_e32 v4, v34
	v_and_b32_e32 v2, exec_hi, v2
	v_ashrrev_i32_e32 v4, 31, v4
	v_and_b32_e32 v2, v2, v12
	v_xor_b32_e32 v12, s31, v4
	v_xor_b32_e32 v4, s30, v4
	v_lshlrev_b32_e32 v34, 28, v1
	v_and_b32_e32 v3, v3, v4
	v_cmp_gt_i64_e64 s[30:31], 0, v[33:34]
	v_not_b32_e32 v4, v34
	v_ashrrev_i32_e32 v4, 31, v4
	v_and_b32_e32 v2, v2, v12
	v_xor_b32_e32 v12, s31, v4
	v_xor_b32_e32 v4, s30, v4
	v_lshlrev_b32_e32 v34, 27, v1
	v_and_b32_e32 v3, v3, v4
	v_cmp_gt_i64_e64 s[30:31], 0, v[33:34]
	v_not_b32_e32 v4, v34
	;; [unrolled: 8-line block ×4, first 2 shown]
	v_ashrrev_i32_e32 v4, 31, v4
	v_lshlrev_b32_e32 v34, 24, v1
	v_and_b32_e32 v2, v2, v12
	v_xor_b32_e32 v12, s31, v4
	v_xor_b32_e32 v4, s30, v4
	v_cmp_gt_i64_e64 s[30:31], 0, v[33:34]
	v_not_b32_e32 v1, v34
	v_ashrrev_i32_e32 v1, 31, v1
	v_and_b32_e32 v3, v3, v4
	v_xor_b32_e32 v4, s31, v1
	v_xor_b32_e32 v1, s30, v1
	; wave barrier
	ds_read_b32 v10, v11 offset:32
	v_and_b32_e32 v2, v2, v12
	v_and_b32_e32 v1, v3, v1
	;; [unrolled: 1-line block ×3, first 2 shown]
	v_mbcnt_lo_u32_b32 v3, v1, 0
	v_mbcnt_hi_u32_b32 v12, v2, v3
	v_cmp_ne_u64_e64 s[30:31], 0, v[1:2]
	v_cmp_eq_u32_e64 s[34:35], 0, v12
	s_and_b64 s[34:35], s[34:35], s[30:31]
	; wave barrier
	s_and_saveexec_b64 s[30:31], s[34:35]
	s_cbranch_execz .LBB191_10
; %bb.9:                                ;   in Loop: Header=BB191_4 Depth=2
	v_bcnt_u32_b32 v1, v1, 0
	v_bcnt_u32_b32 v1, v2, v1
	s_waitcnt lgkmcnt(0)
	v_add_u32_e32 v1, v10, v1
	ds_write_b32 v11, v1 offset:32
.LBB191_10:                             ;   in Loop: Header=BB191_4 Depth=2
	s_or_b64 exec, exec, s[30:31]
	v_lshrrev_b32_e32 v2, s49, v59
	v_lshrrev_b32_e32 v1, s46, v60
	v_and_b32_e32 v2, s50, v2
	v_and_b32_e32 v1, s48, v1
	v_lshlrev_b32_e32 v2, s47, v2
	v_cndmask_b32_e64 v1, 0, v1, s[28:29]
	v_cndmask_b32_e32 v2, 0, v2, vcc
	v_or_b32_e32 v1, v1, v2
	v_lshlrev_b32_e32 v2, 5, v1
	v_add_u32_e32 v14, v74, v2
	v_and_b32_e32 v2, 1, v1
	v_add_co_u32_e64 v3, s[30:31], -1, v2
	v_addc_co_u32_e64 v4, s[30:31], 0, -1, s[30:31]
	v_cmp_ne_u32_e64 s[30:31], 0, v2
	v_lshlrev_b32_e32 v34, 30, v1
	v_xor_b32_e32 v2, s31, v4
	v_xor_b32_e32 v3, s30, v3
	v_cmp_gt_i64_e64 s[30:31], 0, v[33:34]
	v_not_b32_e32 v4, v34
	v_ashrrev_i32_e32 v4, 31, v4
	v_and_b32_e32 v3, exec_lo, v3
	v_xor_b32_e32 v15, s31, v4
	v_xor_b32_e32 v4, s30, v4
	v_lshlrev_b32_e32 v34, 29, v1
	v_and_b32_e32 v3, v3, v4
	v_cmp_gt_i64_e64 s[30:31], 0, v[33:34]
	v_not_b32_e32 v4, v34
	v_and_b32_e32 v2, exec_hi, v2
	v_ashrrev_i32_e32 v4, 31, v4
	v_and_b32_e32 v2, v2, v15
	v_xor_b32_e32 v15, s31, v4
	v_xor_b32_e32 v4, s30, v4
	v_lshlrev_b32_e32 v34, 28, v1
	v_and_b32_e32 v3, v3, v4
	v_cmp_gt_i64_e64 s[30:31], 0, v[33:34]
	v_not_b32_e32 v4, v34
	v_ashrrev_i32_e32 v4, 31, v4
	v_and_b32_e32 v2, v2, v15
	v_xor_b32_e32 v15, s31, v4
	v_xor_b32_e32 v4, s30, v4
	v_lshlrev_b32_e32 v34, 27, v1
	v_and_b32_e32 v3, v3, v4
	v_cmp_gt_i64_e64 s[30:31], 0, v[33:34]
	v_not_b32_e32 v4, v34
	;; [unrolled: 8-line block ×4, first 2 shown]
	v_ashrrev_i32_e32 v4, 31, v4
	v_lshlrev_b32_e32 v34, 24, v1
	v_and_b32_e32 v2, v2, v15
	v_xor_b32_e32 v15, s31, v4
	v_xor_b32_e32 v4, s30, v4
	v_cmp_gt_i64_e64 s[30:31], 0, v[33:34]
	v_not_b32_e32 v1, v34
	v_ashrrev_i32_e32 v1, 31, v1
	v_and_b32_e32 v3, v3, v4
	v_xor_b32_e32 v4, s31, v1
	v_xor_b32_e32 v1, s30, v1
	; wave barrier
	ds_read_b32 v13, v14 offset:32
	v_and_b32_e32 v2, v2, v15
	v_and_b32_e32 v1, v3, v1
	;; [unrolled: 1-line block ×3, first 2 shown]
	v_mbcnt_lo_u32_b32 v3, v1, 0
	v_mbcnt_hi_u32_b32 v15, v2, v3
	v_cmp_ne_u64_e64 s[30:31], 0, v[1:2]
	v_cmp_eq_u32_e64 s[34:35], 0, v15
	s_and_b64 s[34:35], s[34:35], s[30:31]
	; wave barrier
	s_and_saveexec_b64 s[30:31], s[34:35]
	s_cbranch_execz .LBB191_12
; %bb.11:                               ;   in Loop: Header=BB191_4 Depth=2
	v_bcnt_u32_b32 v1, v1, 0
	v_bcnt_u32_b32 v1, v2, v1
	s_waitcnt lgkmcnt(0)
	v_add_u32_e32 v1, v13, v1
	ds_write_b32 v14, v1 offset:32
.LBB191_12:                             ;   in Loop: Header=BB191_4 Depth=2
	s_or_b64 exec, exec, s[30:31]
	v_lshrrev_b32_e32 v2, s49, v57
	v_lshrrev_b32_e32 v1, s46, v58
	v_and_b32_e32 v2, s50, v2
	v_and_b32_e32 v1, s48, v1
	v_lshlrev_b32_e32 v2, s47, v2
	v_cndmask_b32_e64 v1, 0, v1, s[28:29]
	v_cndmask_b32_e32 v2, 0, v2, vcc
	v_or_b32_e32 v1, v1, v2
	v_lshlrev_b32_e32 v2, 5, v1
	v_add_u32_e32 v17, v74, v2
	v_and_b32_e32 v2, 1, v1
	v_add_co_u32_e64 v3, s[30:31], -1, v2
	v_addc_co_u32_e64 v4, s[30:31], 0, -1, s[30:31]
	v_cmp_ne_u32_e64 s[30:31], 0, v2
	v_lshlrev_b32_e32 v34, 30, v1
	v_xor_b32_e32 v2, s31, v4
	v_xor_b32_e32 v3, s30, v3
	v_cmp_gt_i64_e64 s[30:31], 0, v[33:34]
	v_not_b32_e32 v4, v34
	v_ashrrev_i32_e32 v4, 31, v4
	v_and_b32_e32 v3, exec_lo, v3
	v_xor_b32_e32 v18, s31, v4
	v_xor_b32_e32 v4, s30, v4
	v_lshlrev_b32_e32 v34, 29, v1
	v_and_b32_e32 v3, v3, v4
	v_cmp_gt_i64_e64 s[30:31], 0, v[33:34]
	v_not_b32_e32 v4, v34
	v_and_b32_e32 v2, exec_hi, v2
	v_ashrrev_i32_e32 v4, 31, v4
	v_and_b32_e32 v2, v2, v18
	v_xor_b32_e32 v18, s31, v4
	v_xor_b32_e32 v4, s30, v4
	v_lshlrev_b32_e32 v34, 28, v1
	v_and_b32_e32 v3, v3, v4
	v_cmp_gt_i64_e64 s[30:31], 0, v[33:34]
	v_not_b32_e32 v4, v34
	v_ashrrev_i32_e32 v4, 31, v4
	v_and_b32_e32 v2, v2, v18
	v_xor_b32_e32 v18, s31, v4
	v_xor_b32_e32 v4, s30, v4
	v_lshlrev_b32_e32 v34, 27, v1
	v_and_b32_e32 v3, v3, v4
	v_cmp_gt_i64_e64 s[30:31], 0, v[33:34]
	v_not_b32_e32 v4, v34
	;; [unrolled: 8-line block ×4, first 2 shown]
	v_ashrrev_i32_e32 v4, 31, v4
	v_lshlrev_b32_e32 v34, 24, v1
	v_and_b32_e32 v2, v2, v18
	v_xor_b32_e32 v18, s31, v4
	v_xor_b32_e32 v4, s30, v4
	v_cmp_gt_i64_e64 s[30:31], 0, v[33:34]
	v_not_b32_e32 v1, v34
	v_ashrrev_i32_e32 v1, 31, v1
	v_and_b32_e32 v3, v3, v4
	v_xor_b32_e32 v4, s31, v1
	v_xor_b32_e32 v1, s30, v1
	; wave barrier
	ds_read_b32 v16, v17 offset:32
	v_and_b32_e32 v2, v2, v18
	v_and_b32_e32 v1, v3, v1
	;; [unrolled: 1-line block ×3, first 2 shown]
	v_mbcnt_lo_u32_b32 v3, v1, 0
	v_mbcnt_hi_u32_b32 v18, v2, v3
	v_cmp_ne_u64_e64 s[30:31], 0, v[1:2]
	v_cmp_eq_u32_e64 s[34:35], 0, v18
	s_and_b64 s[34:35], s[34:35], s[30:31]
	; wave barrier
	s_and_saveexec_b64 s[30:31], s[34:35]
	s_cbranch_execz .LBB191_14
; %bb.13:                               ;   in Loop: Header=BB191_4 Depth=2
	v_bcnt_u32_b32 v1, v1, 0
	v_bcnt_u32_b32 v1, v2, v1
	s_waitcnt lgkmcnt(0)
	v_add_u32_e32 v1, v16, v1
	ds_write_b32 v17, v1 offset:32
.LBB191_14:                             ;   in Loop: Header=BB191_4 Depth=2
	s_or_b64 exec, exec, s[30:31]
	v_lshrrev_b32_e32 v2, s49, v55
	v_lshrrev_b32_e32 v1, s46, v56
	v_and_b32_e32 v2, s50, v2
	v_and_b32_e32 v1, s48, v1
	v_lshlrev_b32_e32 v2, s47, v2
	v_cndmask_b32_e64 v1, 0, v1, s[28:29]
	v_cndmask_b32_e32 v2, 0, v2, vcc
	v_or_b32_e32 v1, v1, v2
	v_lshlrev_b32_e32 v2, 5, v1
	v_add_u32_e32 v20, v74, v2
	v_and_b32_e32 v2, 1, v1
	v_add_co_u32_e64 v3, s[30:31], -1, v2
	v_addc_co_u32_e64 v4, s[30:31], 0, -1, s[30:31]
	v_cmp_ne_u32_e64 s[30:31], 0, v2
	v_lshlrev_b32_e32 v34, 30, v1
	v_xor_b32_e32 v2, s31, v4
	v_xor_b32_e32 v3, s30, v3
	v_cmp_gt_i64_e64 s[30:31], 0, v[33:34]
	v_not_b32_e32 v4, v34
	v_ashrrev_i32_e32 v4, 31, v4
	v_and_b32_e32 v3, exec_lo, v3
	v_xor_b32_e32 v21, s31, v4
	v_xor_b32_e32 v4, s30, v4
	v_lshlrev_b32_e32 v34, 29, v1
	v_and_b32_e32 v3, v3, v4
	v_cmp_gt_i64_e64 s[30:31], 0, v[33:34]
	v_not_b32_e32 v4, v34
	v_and_b32_e32 v2, exec_hi, v2
	v_ashrrev_i32_e32 v4, 31, v4
	v_and_b32_e32 v2, v2, v21
	v_xor_b32_e32 v21, s31, v4
	v_xor_b32_e32 v4, s30, v4
	v_lshlrev_b32_e32 v34, 28, v1
	v_and_b32_e32 v3, v3, v4
	v_cmp_gt_i64_e64 s[30:31], 0, v[33:34]
	v_not_b32_e32 v4, v34
	v_ashrrev_i32_e32 v4, 31, v4
	v_and_b32_e32 v2, v2, v21
	v_xor_b32_e32 v21, s31, v4
	v_xor_b32_e32 v4, s30, v4
	v_lshlrev_b32_e32 v34, 27, v1
	v_and_b32_e32 v3, v3, v4
	v_cmp_gt_i64_e64 s[30:31], 0, v[33:34]
	v_not_b32_e32 v4, v34
	;; [unrolled: 8-line block ×4, first 2 shown]
	v_ashrrev_i32_e32 v4, 31, v4
	v_lshlrev_b32_e32 v34, 24, v1
	v_and_b32_e32 v2, v2, v21
	v_xor_b32_e32 v21, s31, v4
	v_xor_b32_e32 v4, s30, v4
	v_cmp_gt_i64_e64 s[30:31], 0, v[33:34]
	v_not_b32_e32 v1, v34
	v_ashrrev_i32_e32 v1, 31, v1
	v_and_b32_e32 v3, v3, v4
	v_xor_b32_e32 v4, s31, v1
	v_xor_b32_e32 v1, s30, v1
	; wave barrier
	ds_read_b32 v19, v20 offset:32
	v_and_b32_e32 v2, v2, v21
	v_and_b32_e32 v1, v3, v1
	;; [unrolled: 1-line block ×3, first 2 shown]
	v_mbcnt_lo_u32_b32 v3, v1, 0
	v_mbcnt_hi_u32_b32 v21, v2, v3
	v_cmp_ne_u64_e64 s[30:31], 0, v[1:2]
	v_cmp_eq_u32_e64 s[34:35], 0, v21
	s_and_b64 s[34:35], s[34:35], s[30:31]
	; wave barrier
	s_and_saveexec_b64 s[30:31], s[34:35]
	s_cbranch_execz .LBB191_16
; %bb.15:                               ;   in Loop: Header=BB191_4 Depth=2
	v_bcnt_u32_b32 v1, v1, 0
	v_bcnt_u32_b32 v1, v2, v1
	s_waitcnt lgkmcnt(0)
	v_add_u32_e32 v1, v19, v1
	ds_write_b32 v20, v1 offset:32
.LBB191_16:                             ;   in Loop: Header=BB191_4 Depth=2
	s_or_b64 exec, exec, s[30:31]
	v_lshrrev_b32_e32 v2, s49, v53
	v_lshrrev_b32_e32 v1, s46, v54
	v_and_b32_e32 v2, s50, v2
	v_and_b32_e32 v1, s48, v1
	v_lshlrev_b32_e32 v2, s47, v2
	v_cndmask_b32_e64 v1, 0, v1, s[28:29]
	v_cndmask_b32_e32 v2, 0, v2, vcc
	v_or_b32_e32 v1, v1, v2
	v_lshlrev_b32_e32 v2, 5, v1
	v_add_u32_e32 v23, v74, v2
	v_and_b32_e32 v2, 1, v1
	v_add_co_u32_e64 v3, s[30:31], -1, v2
	v_addc_co_u32_e64 v4, s[30:31], 0, -1, s[30:31]
	v_cmp_ne_u32_e64 s[30:31], 0, v2
	v_lshlrev_b32_e32 v34, 30, v1
	v_xor_b32_e32 v2, s31, v4
	v_xor_b32_e32 v3, s30, v3
	v_cmp_gt_i64_e64 s[30:31], 0, v[33:34]
	v_not_b32_e32 v4, v34
	v_ashrrev_i32_e32 v4, 31, v4
	v_and_b32_e32 v3, exec_lo, v3
	v_xor_b32_e32 v24, s31, v4
	v_xor_b32_e32 v4, s30, v4
	v_lshlrev_b32_e32 v34, 29, v1
	v_and_b32_e32 v3, v3, v4
	v_cmp_gt_i64_e64 s[30:31], 0, v[33:34]
	v_not_b32_e32 v4, v34
	v_and_b32_e32 v2, exec_hi, v2
	v_ashrrev_i32_e32 v4, 31, v4
	v_and_b32_e32 v2, v2, v24
	v_xor_b32_e32 v24, s31, v4
	v_xor_b32_e32 v4, s30, v4
	v_lshlrev_b32_e32 v34, 28, v1
	v_and_b32_e32 v3, v3, v4
	v_cmp_gt_i64_e64 s[30:31], 0, v[33:34]
	v_not_b32_e32 v4, v34
	v_ashrrev_i32_e32 v4, 31, v4
	v_and_b32_e32 v2, v2, v24
	v_xor_b32_e32 v24, s31, v4
	v_xor_b32_e32 v4, s30, v4
	v_lshlrev_b32_e32 v34, 27, v1
	v_and_b32_e32 v3, v3, v4
	v_cmp_gt_i64_e64 s[30:31], 0, v[33:34]
	v_not_b32_e32 v4, v34
	v_ashrrev_i32_e32 v4, 31, v4
	v_and_b32_e32 v2, v2, v24
	v_xor_b32_e32 v24, s31, v4
	v_xor_b32_e32 v4, s30, v4
	v_lshlrev_b32_e32 v34, 26, v1
	v_and_b32_e32 v3, v3, v4
	v_cmp_gt_i64_e64 s[30:31], 0, v[33:34]
	v_not_b32_e32 v4, v34
	v_ashrrev_i32_e32 v4, 31, v4
	v_and_b32_e32 v2, v2, v24
	v_xor_b32_e32 v24, s31, v4
	v_xor_b32_e32 v4, s30, v4
	v_lshlrev_b32_e32 v34, 25, v1
	v_and_b32_e32 v3, v3, v4
	v_cmp_gt_i64_e64 s[30:31], 0, v[33:34]
	v_not_b32_e32 v4, v34
	v_ashrrev_i32_e32 v4, 31, v4
	v_lshlrev_b32_e32 v34, 24, v1
	v_and_b32_e32 v2, v2, v24
	v_xor_b32_e32 v24, s31, v4
	v_xor_b32_e32 v4, s30, v4
	v_cmp_gt_i64_e64 s[30:31], 0, v[33:34]
	v_not_b32_e32 v1, v34
	v_ashrrev_i32_e32 v1, 31, v1
	v_and_b32_e32 v3, v3, v4
	v_xor_b32_e32 v4, s31, v1
	v_xor_b32_e32 v1, s30, v1
	; wave barrier
	ds_read_b32 v22, v23 offset:32
	v_and_b32_e32 v2, v2, v24
	v_and_b32_e32 v1, v3, v1
	;; [unrolled: 1-line block ×3, first 2 shown]
	v_mbcnt_lo_u32_b32 v3, v1, 0
	v_mbcnt_hi_u32_b32 v24, v2, v3
	v_cmp_ne_u64_e64 s[30:31], 0, v[1:2]
	v_cmp_eq_u32_e64 s[34:35], 0, v24
	s_and_b64 s[34:35], s[34:35], s[30:31]
	; wave barrier
	s_and_saveexec_b64 s[30:31], s[34:35]
	s_cbranch_execz .LBB191_18
; %bb.17:                               ;   in Loop: Header=BB191_4 Depth=2
	v_bcnt_u32_b32 v1, v1, 0
	v_bcnt_u32_b32 v1, v2, v1
	s_waitcnt lgkmcnt(0)
	v_add_u32_e32 v1, v22, v1
	ds_write_b32 v23, v1 offset:32
.LBB191_18:                             ;   in Loop: Header=BB191_4 Depth=2
	s_or_b64 exec, exec, s[30:31]
	v_lshrrev_b32_e32 v2, s49, v51
	v_lshrrev_b32_e32 v1, s46, v52
	v_and_b32_e32 v2, s50, v2
	v_and_b32_e32 v1, s48, v1
	v_lshlrev_b32_e32 v2, s47, v2
	v_cndmask_b32_e64 v1, 0, v1, s[28:29]
	v_cndmask_b32_e32 v2, 0, v2, vcc
	v_or_b32_e32 v1, v1, v2
	v_lshlrev_b32_e32 v2, 5, v1
	v_add_u32_e32 v26, v74, v2
	v_and_b32_e32 v2, 1, v1
	v_add_co_u32_e32 v3, vcc, -1, v2
	v_addc_co_u32_e64 v4, s[28:29], 0, -1, vcc
	v_cmp_ne_u32_e32 vcc, 0, v2
	v_lshlrev_b32_e32 v34, 30, v1
	v_xor_b32_e32 v2, vcc_hi, v4
	v_xor_b32_e32 v3, vcc_lo, v3
	v_cmp_gt_i64_e32 vcc, 0, v[33:34]
	v_not_b32_e32 v4, v34
	v_ashrrev_i32_e32 v4, 31, v4
	v_and_b32_e32 v3, exec_lo, v3
	v_xor_b32_e32 v27, vcc_hi, v4
	v_xor_b32_e32 v4, vcc_lo, v4
	v_lshlrev_b32_e32 v34, 29, v1
	v_and_b32_e32 v3, v3, v4
	v_cmp_gt_i64_e32 vcc, 0, v[33:34]
	v_not_b32_e32 v4, v34
	v_and_b32_e32 v2, exec_hi, v2
	v_ashrrev_i32_e32 v4, 31, v4
	v_and_b32_e32 v2, v2, v27
	v_xor_b32_e32 v27, vcc_hi, v4
	v_xor_b32_e32 v4, vcc_lo, v4
	v_lshlrev_b32_e32 v34, 28, v1
	v_and_b32_e32 v3, v3, v4
	v_cmp_gt_i64_e32 vcc, 0, v[33:34]
	v_not_b32_e32 v4, v34
	v_ashrrev_i32_e32 v4, 31, v4
	v_and_b32_e32 v2, v2, v27
	v_xor_b32_e32 v27, vcc_hi, v4
	v_xor_b32_e32 v4, vcc_lo, v4
	v_lshlrev_b32_e32 v34, 27, v1
	v_and_b32_e32 v3, v3, v4
	v_cmp_gt_i64_e32 vcc, 0, v[33:34]
	v_not_b32_e32 v4, v34
	;; [unrolled: 8-line block ×4, first 2 shown]
	v_ashrrev_i32_e32 v4, 31, v4
	v_lshlrev_b32_e32 v34, 24, v1
	v_and_b32_e32 v2, v2, v27
	v_xor_b32_e32 v27, vcc_hi, v4
	v_xor_b32_e32 v4, vcc_lo, v4
	v_cmp_gt_i64_e32 vcc, 0, v[33:34]
	v_not_b32_e32 v1, v34
	v_ashrrev_i32_e32 v1, 31, v1
	v_and_b32_e32 v3, v3, v4
	v_xor_b32_e32 v4, vcc_hi, v1
	v_xor_b32_e32 v1, vcc_lo, v1
	; wave barrier
	ds_read_b32 v25, v26 offset:32
	v_and_b32_e32 v2, v2, v27
	v_and_b32_e32 v1, v3, v1
	;; [unrolled: 1-line block ×3, first 2 shown]
	v_mbcnt_lo_u32_b32 v3, v1, 0
	v_mbcnt_hi_u32_b32 v27, v2, v3
	v_cmp_ne_u64_e32 vcc, 0, v[1:2]
	v_cmp_eq_u32_e64 s[28:29], 0, v27
	s_and_b64 s[30:31], s[28:29], vcc
	; wave barrier
	s_and_saveexec_b64 s[28:29], s[30:31]
	s_cbranch_execz .LBB191_20
; %bb.19:                               ;   in Loop: Header=BB191_4 Depth=2
	v_bcnt_u32_b32 v1, v1, 0
	v_bcnt_u32_b32 v1, v2, v1
	s_waitcnt lgkmcnt(0)
	v_add_u32_e32 v1, v25, v1
	ds_write_b32 v26, v1 offset:32
.LBB191_20:                             ;   in Loop: Header=BB191_4 Depth=2
	s_or_b64 exec, exec, s[28:29]
	; wave barrier
	s_waitcnt lgkmcnt(0)
	s_barrier
	ds_read2_b64 v[1:4], v67 offset0:4 offset1:5
	s_waitcnt lgkmcnt(0)
	v_add_u32_e32 v28, v2, v1
	v_add3_u32 v4, v28, v3, v4
	s_nop 1
	v_mov_b32_dpp v28, v4 row_shr:1 row_mask:0xf bank_mask:0xf
	v_cndmask_b32_e64 v28, v28, 0, s[8:9]
	v_add_u32_e32 v4, v28, v4
	s_nop 1
	v_mov_b32_dpp v28, v4 row_shr:2 row_mask:0xf bank_mask:0xf
	v_cndmask_b32_e64 v28, 0, v28, s[10:11]
	v_add_u32_e32 v4, v4, v28
	;; [unrolled: 4-line block ×4, first 2 shown]
	s_nop 1
	v_mov_b32_dpp v28, v4 row_bcast:15 row_mask:0xf bank_mask:0xf
	v_cndmask_b32_e64 v28, v28, 0, s[16:17]
	v_add_u32_e32 v4, v4, v28
	s_nop 1
	v_mov_b32_dpp v28, v4 row_bcast:31 row_mask:0xf bank_mask:0xf
	v_cndmask_b32_e64 v28, 0, v28, s[4:5]
	v_add_u32_e32 v4, v4, v28
	s_and_saveexec_b64 s[28:29], s[18:19]
; %bb.21:                               ;   in Loop: Header=BB191_4 Depth=2
	ds_write_b32 v71, v4
; %bb.22:                               ;   in Loop: Header=BB191_4 Depth=2
	s_or_b64 exec, exec, s[28:29]
	s_waitcnt lgkmcnt(0)
	s_barrier
	s_and_saveexec_b64 s[28:29], s[0:1]
	s_cbranch_execz .LBB191_24
; %bb.23:                               ;   in Loop: Header=BB191_4 Depth=2
	ds_read_b32 v28, v72
	s_waitcnt lgkmcnt(0)
	s_nop 0
	v_mov_b32_dpp v29, v28 row_shr:1 row_mask:0xf bank_mask:0xf
	v_cndmask_b32_e64 v29, v29, 0, s[22:23]
	v_add_u32_e32 v28, v29, v28
	s_nop 1
	v_mov_b32_dpp v29, v28 row_shr:2 row_mask:0xf bank_mask:0xf
	v_cndmask_b32_e64 v29, 0, v29, s[24:25]
	v_add_u32_e32 v28, v28, v29
	s_nop 1
	v_mov_b32_dpp v29, v28 row_shr:4 row_mask:0xf bank_mask:0xf
	v_cndmask_b32_e64 v29, 0, v29, s[26:27]
	v_add_u32_e32 v28, v28, v29
	ds_write_b32 v72, v28
.LBB191_24:                             ;   in Loop: Header=BB191_4 Depth=2
	s_or_b64 exec, exec, s[28:29]
	v_mov_b32_e32 v28, 0
	s_waitcnt lgkmcnt(0)
	s_barrier
	s_and_saveexec_b64 s[28:29], s[2:3]
; %bb.25:                               ;   in Loop: Header=BB191_4 Depth=2
	ds_read_b32 v28, v73
; %bb.26:                               ;   in Loop: Header=BB191_4 Depth=2
	s_or_b64 exec, exec, s[28:29]
	s_waitcnt lgkmcnt(0)
	v_add_u32_e32 v4, v28, v4
	ds_bpermute_b32 v4, v70, v4
	v_lshlrev_b32_e32 v5, 3, v5
	s_cmp_gt_u32 s46, 55
	s_mov_b64 s[28:29], -1
	s_waitcnt lgkmcnt(0)
	v_cndmask_b32_e64 v4, v4, v28, s[6:7]
	v_cndmask_b32_e64 v28, v4, 0, s[20:21]
	v_add_u32_e32 v29, v28, v1
	v_add_u32_e32 v1, v29, v2
	;; [unrolled: 1-line block ×3, first 2 shown]
	ds_write2_b64 v67, v[28:29], v[1:2] offset0:4 offset1:5
	s_waitcnt lgkmcnt(0)
	s_barrier
	ds_read_b32 v1, v6 offset:32
	ds_read_b32 v2, v8 offset:32
	;; [unrolled: 1-line block ×8, first 2 shown]
	s_waitcnt lgkmcnt(7)
	v_lshl_add_u32 v34, v1, 3, v5
	v_lshlrev_b32_e32 v1, 3, v9
	v_lshlrev_b32_e32 v5, 3, v7
	s_waitcnt lgkmcnt(6)
	v_lshlrev_b32_e32 v2, 3, v2
	v_add3_u32 v76, v1, v5, v2
	v_lshlrev_b32_e32 v1, 3, v12
	v_lshlrev_b32_e32 v2, 3, v10
	s_waitcnt lgkmcnt(5)
	v_lshlrev_b32_e32 v3, 3, v3
	v_add3_u32 v77, v1, v2, v3
	;; [unrolled: 5-line block ×7, first 2 shown]
                                        ; implicit-def: $vgpr1_vgpr2
                                        ; implicit-def: $vgpr5_vgpr6
                                        ; implicit-def: $vgpr9_vgpr10
                                        ; implicit-def: $vgpr13_vgpr14
                                        ; implicit-def: $vgpr17_vgpr18
                                        ; implicit-def: $vgpr21_vgpr22
                                        ; implicit-def: $vgpr25_vgpr26
                                        ; implicit-def: $vgpr29_vgpr30
	s_cbranch_scc1 .LBB191_3
; %bb.27:                               ;   in Loop: Header=BB191_4 Depth=2
	s_barrier
	ds_write_b64 v34, v[65:66]
	ds_write_b64 v76, v[63:64]
	ds_write_b64 v77, v[61:62]
	ds_write_b64 v78, v[59:60]
	ds_write_b64 v79, v[57:58]
	ds_write_b64 v80, v[55:56]
	ds_write_b64 v81, v[53:54]
	ds_write_b64 v82, v[51:52]
	s_waitcnt lgkmcnt(0)
	s_barrier
	ds_read2st64_b64 v[17:20], v69 offset1:1
	ds_read2st64_b64 v[21:24], v69 offset0:2 offset1:3
	ds_read2st64_b64 v[25:28], v69 offset0:4 offset1:5
	;; [unrolled: 1-line block ×3, first 2 shown]
	s_waitcnt lgkmcnt(0)
	s_barrier
	ds_write_b64 v34, v[49:50]
	ds_write_b64 v76, v[47:48]
	;; [unrolled: 1-line block ×8, first 2 shown]
	s_waitcnt lgkmcnt(0)
	s_barrier
	ds_read2st64_b64 v[1:4], v69 offset1:1
	ds_read2st64_b64 v[5:8], v69 offset0:2 offset1:3
	ds_read2st64_b64 v[9:12], v69 offset0:4 offset1:5
	;; [unrolled: 1-line block ×3, first 2 shown]
	s_add_i32 s45, s45, -8
	s_add_i32 s44, s44, 8
	s_add_i32 s46, s46, 8
	s_mov_b64 s[28:29], 0
	s_waitcnt lgkmcnt(0)
	s_barrier
	s_branch .LBB191_3
.LBB191_28:
	s_add_u32 s0, s38, s40
	s_addc_u32 s1, s39, s41
	v_lshlrev_b32_e32 v0, 3, v0
	s_waitcnt lgkmcnt(3)
	v_add_u32_e32 v13, v17, v13
	v_add_u32_e32 v14, v18, v14
	v_mov_b32_e32 v17, s1
	v_add_co_u32_e32 v18, vcc, s0, v0
	v_addc_co_u32_e32 v17, vcc, 0, v17, vcc
	global_store_dwordx2 v0, v[13:14], s[0:1]
	s_movk_i32 s0, 0x2000
	v_add_co_u32_e32 v13, vcc, s0, v18
	v_add_u32_e32 v15, v19, v15
	v_add_u32_e32 v16, v20, v16
	s_waitcnt lgkmcnt(2)
	v_add_u32_e32 v9, v21, v9
	v_addc_co_u32_e32 v14, vcc, 0, v17, vcc
	s_movk_i32 s0, 0x4000
	v_add_u32_e32 v10, v22, v10
	global_store_dwordx2 v[13:14], v[15:16], off offset:-4096
	global_store_dwordx2 v[13:14], v[9:10], off
	v_add_co_u32_e32 v9, vcc, s0, v18
	v_add_u32_e32 v11, v23, v11
	v_add_u32_e32 v12, v24, v12
	s_waitcnt lgkmcnt(1)
	v_add_u32_e32 v5, v25, v5
	v_addc_co_u32_e32 v10, vcc, 0, v17, vcc
	s_movk_i32 s0, 0x5000
	v_add_u32_e32 v6, v26, v6
	global_store_dwordx2 v[9:10], v[11:12], off offset:-4096
	global_store_dwordx2 v[9:10], v[5:6], off
	v_add_co_u32_e32 v5, vcc, s0, v18
	v_add_u32_e32 v7, v27, v7
	v_add_u32_e32 v8, v28, v8
	v_addc_co_u32_e32 v6, vcc, 0, v17, vcc
	global_store_dwordx2 v[5:6], v[7:8], off
	v_add_co_u32_e32 v5, vcc, 0x6000, v18
	v_addc_co_u32_e32 v6, vcc, 0, v17, vcc
	s_waitcnt lgkmcnt(0)
	v_add_u32_e32 v1, v29, v1
	v_add_u32_e32 v2, v30, v2
	v_add_co_u32_e32 v0, vcc, 0x7000, v18
	v_add_u32_e32 v3, v31, v3
	v_add_u32_e32 v4, v32, v4
	global_store_dwordx2 v[5:6], v[1:2], off
	v_addc_co_u32_e32 v1, vcc, 0, v17, vcc
	global_store_dwordx2 v[0:1], v[3:4], off
	s_endpgm
	.section	.rodata,"a",@progbits
	.p2align	6, 0x0
	.amdhsa_kernel _Z17sort_pairs_kernelI22helper_blocked_blockedN15benchmark_utils11custom_typeIiiEELj512ELj8ELj10EEvPKT0_PS4_
		.amdhsa_group_segment_fixed_size 32768
		.amdhsa_private_segment_fixed_size 0
		.amdhsa_kernarg_size 272
		.amdhsa_user_sgpr_count 6
		.amdhsa_user_sgpr_private_segment_buffer 1
		.amdhsa_user_sgpr_dispatch_ptr 0
		.amdhsa_user_sgpr_queue_ptr 0
		.amdhsa_user_sgpr_kernarg_segment_ptr 1
		.amdhsa_user_sgpr_dispatch_id 0
		.amdhsa_user_sgpr_flat_scratch_init 0
		.amdhsa_user_sgpr_private_segment_size 0
		.amdhsa_uses_dynamic_stack 0
		.amdhsa_system_sgpr_private_segment_wavefront_offset 0
		.amdhsa_system_sgpr_workgroup_id_x 1
		.amdhsa_system_sgpr_workgroup_id_y 0
		.amdhsa_system_sgpr_workgroup_id_z 0
		.amdhsa_system_sgpr_workgroup_info 0
		.amdhsa_system_vgpr_workitem_id 2
		.amdhsa_next_free_vgpr 83
		.amdhsa_next_free_sgpr 98
		.amdhsa_reserve_vcc 1
		.amdhsa_reserve_flat_scratch 0
		.amdhsa_float_round_mode_32 0
		.amdhsa_float_round_mode_16_64 0
		.amdhsa_float_denorm_mode_32 3
		.amdhsa_float_denorm_mode_16_64 3
		.amdhsa_dx10_clamp 1
		.amdhsa_ieee_mode 1
		.amdhsa_fp16_overflow 0
		.amdhsa_exception_fp_ieee_invalid_op 0
		.amdhsa_exception_fp_denorm_src 0
		.amdhsa_exception_fp_ieee_div_zero 0
		.amdhsa_exception_fp_ieee_overflow 0
		.amdhsa_exception_fp_ieee_underflow 0
		.amdhsa_exception_fp_ieee_inexact 0
		.amdhsa_exception_int_div_zero 0
	.end_amdhsa_kernel
	.section	.text._Z17sort_pairs_kernelI22helper_blocked_blockedN15benchmark_utils11custom_typeIiiEELj512ELj8ELj10EEvPKT0_PS4_,"axG",@progbits,_Z17sort_pairs_kernelI22helper_blocked_blockedN15benchmark_utils11custom_typeIiiEELj512ELj8ELj10EEvPKT0_PS4_,comdat
.Lfunc_end191:
	.size	_Z17sort_pairs_kernelI22helper_blocked_blockedN15benchmark_utils11custom_typeIiiEELj512ELj8ELj10EEvPKT0_PS4_, .Lfunc_end191-_Z17sort_pairs_kernelI22helper_blocked_blockedN15benchmark_utils11custom_typeIiiEELj512ELj8ELj10EEvPKT0_PS4_
                                        ; -- End function
	.set _Z17sort_pairs_kernelI22helper_blocked_blockedN15benchmark_utils11custom_typeIiiEELj512ELj8ELj10EEvPKT0_PS4_.num_vgpr, 83
	.set _Z17sort_pairs_kernelI22helper_blocked_blockedN15benchmark_utils11custom_typeIiiEELj512ELj8ELj10EEvPKT0_PS4_.num_agpr, 0
	.set _Z17sort_pairs_kernelI22helper_blocked_blockedN15benchmark_utils11custom_typeIiiEELj512ELj8ELj10EEvPKT0_PS4_.numbered_sgpr, 51
	.set _Z17sort_pairs_kernelI22helper_blocked_blockedN15benchmark_utils11custom_typeIiiEELj512ELj8ELj10EEvPKT0_PS4_.num_named_barrier, 0
	.set _Z17sort_pairs_kernelI22helper_blocked_blockedN15benchmark_utils11custom_typeIiiEELj512ELj8ELj10EEvPKT0_PS4_.private_seg_size, 0
	.set _Z17sort_pairs_kernelI22helper_blocked_blockedN15benchmark_utils11custom_typeIiiEELj512ELj8ELj10EEvPKT0_PS4_.uses_vcc, 1
	.set _Z17sort_pairs_kernelI22helper_blocked_blockedN15benchmark_utils11custom_typeIiiEELj512ELj8ELj10EEvPKT0_PS4_.uses_flat_scratch, 0
	.set _Z17sort_pairs_kernelI22helper_blocked_blockedN15benchmark_utils11custom_typeIiiEELj512ELj8ELj10EEvPKT0_PS4_.has_dyn_sized_stack, 0
	.set _Z17sort_pairs_kernelI22helper_blocked_blockedN15benchmark_utils11custom_typeIiiEELj512ELj8ELj10EEvPKT0_PS4_.has_recursion, 0
	.set _Z17sort_pairs_kernelI22helper_blocked_blockedN15benchmark_utils11custom_typeIiiEELj512ELj8ELj10EEvPKT0_PS4_.has_indirect_call, 0
	.section	.AMDGPU.csdata,"",@progbits
; Kernel info:
; codeLenInByte = 5968
; TotalNumSgprs: 55
; NumVgprs: 83
; ScratchSize: 0
; MemoryBound: 0
; FloatMode: 240
; IeeeMode: 1
; LDSByteSize: 32768 bytes/workgroup (compile time only)
; SGPRBlocks: 12
; VGPRBlocks: 20
; NumSGPRsForWavesPerEU: 102
; NumVGPRsForWavesPerEU: 83
; Occupancy: 3
; WaveLimiterHint : 1
; COMPUTE_PGM_RSRC2:SCRATCH_EN: 0
; COMPUTE_PGM_RSRC2:USER_SGPR: 6
; COMPUTE_PGM_RSRC2:TRAP_HANDLER: 0
; COMPUTE_PGM_RSRC2:TGID_X_EN: 1
; COMPUTE_PGM_RSRC2:TGID_Y_EN: 0
; COMPUTE_PGM_RSRC2:TGID_Z_EN: 0
; COMPUTE_PGM_RSRC2:TIDIG_COMP_CNT: 2
	.section	.text._Z16sort_keys_kernelI22helper_blocked_stripediLj64ELj1ELj10EEvPKT0_PS1_,"axG",@progbits,_Z16sort_keys_kernelI22helper_blocked_stripediLj64ELj1ELj10EEvPKT0_PS1_,comdat
	.protected	_Z16sort_keys_kernelI22helper_blocked_stripediLj64ELj1ELj10EEvPKT0_PS1_ ; -- Begin function _Z16sort_keys_kernelI22helper_blocked_stripediLj64ELj1ELj10EEvPKT0_PS1_
	.globl	_Z16sort_keys_kernelI22helper_blocked_stripediLj64ELj1ELj10EEvPKT0_PS1_
	.p2align	8
	.type	_Z16sort_keys_kernelI22helper_blocked_stripediLj64ELj1ELj10EEvPKT0_PS1_,@function
_Z16sort_keys_kernelI22helper_blocked_stripediLj64ELj1ELj10EEvPKT0_PS1_: ; @_Z16sort_keys_kernelI22helper_blocked_stripediLj64ELj1ELj10EEvPKT0_PS1_
; %bb.0:
	s_load_dwordx4 s[16:19], s[4:5], 0x0
	s_load_dword s2, s[4:5], 0x1c
	s_lshl_b32 s0, s6, 6
	s_mov_b32 s1, 0
	s_lshl_b64 s[20:21], s[0:1], 2
	s_waitcnt lgkmcnt(0)
	s_add_u32 s0, s16, s20
	s_addc_u32 s1, s17, s21
	v_lshlrev_b32_e32 v3, 2, v0
	global_load_dword v19, v3, s[0:1]
	s_lshr_b32 s0, s2, 16
	v_mad_u32_u24 v1, v2, s0, v1
	v_mbcnt_lo_u32_b32 v2, -1, 0
	v_mbcnt_hi_u32_b32 v2, -1, v2
	s_and_b32 s1, s2, 0xffff
	v_and_b32_e32 v4, 15, v2
	v_mad_u32_u24 v1, v1, s1, v0
	v_cmp_eq_u32_e32 vcc, 0, v4
	v_cmp_lt_u32_e64 s[0:1], 1, v4
	v_cmp_lt_u32_e64 s[2:3], 3, v4
	v_cmp_lt_u32_e64 s[4:5], 7, v4
	v_and_b32_e32 v4, 16, v2
	v_cmp_eq_u32_e64 s[6:7], 0, v4
	v_subrev_co_u32_e64 v4, s[12:13], 1, v2
	v_and_b32_e32 v5, 64, v2
	v_cmp_lt_i32_e64 s[14:15], v4, v5
	v_lshrrev_b32_e32 v1, 4, v1
	v_lshlrev_b32_e32 v6, 4, v0
	v_cndmask_b32_e64 v4, v4, v2, s[14:15]
	v_cmp_eq_u32_e64 s[14:15], 0, v0
	v_and_b32_e32 v9, 0xffffffc, v1
	v_mul_i32_i24_e32 v1, -12, v0
	v_mov_b32_e32 v3, 0
	v_cmp_lt_u32_e64 s[8:9], 31, v2
	v_cmp_eq_u32_e64 s[10:11], 63, v0
	v_lshlrev_b32_e32 v7, 2, v4
	s_or_b64 s[16:17], s[14:15], s[12:13]
	v_lshlrev_b32_e32 v8, 2, v2
	s_mov_b32 s22, 10
	s_movk_i32 s23, 0xff
	v_add_u32_e32 v10, v6, v1
	v_mov_b32_e32 v11, 1
	v_mov_b32_e32 v12, 30
	;; [unrolled: 1-line block ×8, first 2 shown]
	s_branch .LBB192_2
.LBB192_1:                              ;   in Loop: Header=BB192_2 Depth=1
	s_or_b64 exec, exec, s[12:13]
	ds_bpermute_b32 v2, v7, v2
	s_waitcnt lgkmcnt(0)
	; wave barrier
	s_add_i32 s22, s22, -1
	s_cmp_eq_u32 s22, 0
	v_cndmask_b32_e64 v2, v2, 0, s[16:17]
	v_add_u32_e32 v4, v2, v4
	v_add_u32_e32 v5, v4, v5
	;; [unrolled: 1-line block ×3, first 2 shown]
	ds_write2_b32 v6, v2, v4 offset0:1 offset1:2
	ds_write2_b32 v6, v5, v1 offset0:3 offset1:4
	s_waitcnt lgkmcnt(0)
	; wave barrier
	ds_read_b32 v1, v20 offset:4
	v_lshlrev_b32_e32 v2, 2, v21
	s_waitcnt lgkmcnt(0)
	; wave barrier
	v_lshl_add_u32 v1, v1, 2, v2
	ds_write_b32 v1, v19
	s_waitcnt lgkmcnt(0)
	; wave barrier
	ds_read_b32 v1, v10
	s_waitcnt lgkmcnt(0)
	v_xor_b32_e32 v19, 0x80000000, v1
	s_cbranch_scc1 .LBB192_18
.LBB192_2:                              ; =>This Inner Loop Header: Depth=1
	s_waitcnt vmcnt(0)
	v_and_b32_e32 v1, 0xff, v19
	v_lshl_add_u32 v20, v1, 2, v9
	v_and_b32_e32 v1, 1, v19
	v_add_co_u32_e64 v2, s[12:13], -1, v1
	v_addc_co_u32_e64 v4, s[12:13], 0, -1, s[12:13]
	v_cmp_ne_u32_e64 s[12:13], 0, v1
	v_xor_b32_e32 v1, s13, v4
	v_lshlrev_b32_e32 v4, 30, v19
	v_xor_b32_e32 v2, s12, v2
	v_cmp_gt_i64_e64 s[12:13], 0, v[3:4]
	v_not_b32_e32 v4, v4
	v_ashrrev_i32_e32 v4, 31, v4
	v_and_b32_e32 v2, exec_lo, v2
	v_xor_b32_e32 v5, s13, v4
	v_xor_b32_e32 v4, s12, v4
	v_and_b32_e32 v2, v2, v4
	v_lshlrev_b32_e32 v4, 29, v19
	v_cmp_gt_i64_e64 s[12:13], 0, v[3:4]
	v_not_b32_e32 v4, v4
	v_and_b32_e32 v1, exec_hi, v1
	v_ashrrev_i32_e32 v4, 31, v4
	v_and_b32_e32 v1, v1, v5
	v_xor_b32_e32 v5, s13, v4
	v_xor_b32_e32 v4, s12, v4
	v_and_b32_e32 v2, v2, v4
	v_lshlrev_b32_e32 v4, 28, v19
	v_cmp_gt_i64_e64 s[12:13], 0, v[3:4]
	v_not_b32_e32 v4, v4
	v_ashrrev_i32_e32 v4, 31, v4
	v_and_b32_e32 v1, v1, v5
	v_xor_b32_e32 v5, s13, v4
	v_xor_b32_e32 v4, s12, v4
	v_and_b32_e32 v2, v2, v4
	v_lshlrev_b32_e32 v4, 27, v19
	v_cmp_gt_i64_e64 s[12:13], 0, v[3:4]
	v_not_b32_e32 v4, v4
	;; [unrolled: 8-line block ×4, first 2 shown]
	v_ashrrev_i32_e32 v4, 31, v4
	v_and_b32_e32 v1, v1, v5
	v_xor_b32_e32 v5, s13, v4
	v_xor_b32_e32 v4, s12, v4
	v_and_b32_e32 v1, v1, v5
	v_and_b32_e32 v5, v2, v4
	v_lshlrev_b32_e32 v4, 24, v19
	v_cmp_gt_i64_e64 s[12:13], 0, v[3:4]
	v_not_b32_e32 v2, v4
	v_ashrrev_i32_e32 v2, 31, v2
	v_xor_b32_e32 v4, s13, v2
	v_xor_b32_e32 v21, s12, v2
	v_and_b32_e32 v2, v1, v4
	v_and_b32_e32 v1, v5, v21
	v_mbcnt_lo_u32_b32 v4, v1, 0
	v_mbcnt_hi_u32_b32 v21, v2, v4
	v_cmp_ne_u64_e64 s[12:13], 0, v[1:2]
	v_cmp_eq_u32_e64 s[14:15], 0, v21
	s_and_b64 s[14:15], s[12:13], s[14:15]
	ds_write2_b32 v6, v3, v3 offset0:1 offset1:2
	ds_write2_b32 v6, v3, v3 offset0:3 offset1:4
	s_waitcnt lgkmcnt(0)
	; wave barrier
	; wave barrier
	s_and_saveexec_b64 s[12:13], s[14:15]
; %bb.3:                                ;   in Loop: Header=BB192_2 Depth=1
	v_bcnt_u32_b32 v1, v1, 0
	v_bcnt_u32_b32 v1, v2, v1
	ds_write_b32 v20, v1 offset:4
; %bb.4:                                ;   in Loop: Header=BB192_2 Depth=1
	s_or_b64 exec, exec, s[12:13]
	; wave barrier
	s_waitcnt lgkmcnt(0)
	; wave barrier
	ds_read2_b32 v[4:5], v6 offset0:1 offset1:2
	ds_read2_b32 v[1:2], v6 offset0:3 offset1:4
	s_waitcnt lgkmcnt(1)
	v_add_u32_e32 v22, v5, v4
	s_waitcnt lgkmcnt(0)
	v_add3_u32 v2, v22, v1, v2
	s_nop 1
	v_mov_b32_dpp v22, v2 row_shr:1 row_mask:0xf bank_mask:0xf
	v_cndmask_b32_e64 v22, v22, 0, vcc
	v_add_u32_e32 v2, v22, v2
	s_nop 1
	v_mov_b32_dpp v22, v2 row_shr:2 row_mask:0xf bank_mask:0xf
	v_cndmask_b32_e64 v22, 0, v22, s[0:1]
	v_add_u32_e32 v2, v2, v22
	s_nop 1
	v_mov_b32_dpp v22, v2 row_shr:4 row_mask:0xf bank_mask:0xf
	v_cndmask_b32_e64 v22, 0, v22, s[2:3]
	;; [unrolled: 4-line block ×3, first 2 shown]
	v_add_u32_e32 v2, v2, v22
	s_nop 1
	v_mov_b32_dpp v22, v2 row_bcast:15 row_mask:0xf bank_mask:0xf
	v_cndmask_b32_e64 v22, v22, 0, s[6:7]
	v_add_u32_e32 v2, v2, v22
	s_nop 1
	v_mov_b32_dpp v22, v2 row_bcast:31 row_mask:0xf bank_mask:0xf
	v_cndmask_b32_e64 v22, 0, v22, s[8:9]
	v_add_u32_e32 v2, v2, v22
	s_and_saveexec_b64 s[12:13], s[10:11]
; %bb.5:                                ;   in Loop: Header=BB192_2 Depth=1
	ds_write_b32 v3, v2
; %bb.6:                                ;   in Loop: Header=BB192_2 Depth=1
	s_or_b64 exec, exec, s[12:13]
	ds_bpermute_b32 v2, v7, v2
	s_waitcnt lgkmcnt(0)
	; wave barrier
	v_cndmask_b32_e64 v2, v2, 0, s[16:17]
	v_add_u32_e32 v4, v2, v4
	v_add_u32_e32 v5, v4, v5
	;; [unrolled: 1-line block ×3, first 2 shown]
	ds_write2_b32 v6, v2, v4 offset0:1 offset1:2
	ds_write2_b32 v6, v5, v1 offset0:3 offset1:4
	s_waitcnt lgkmcnt(0)
	; wave barrier
	ds_read_b32 v1, v20 offset:4
	v_lshlrev_b32_e32 v4, 2, v21
	v_xor_b32_e32 v2, 0x80000000, v19
	s_waitcnt lgkmcnt(0)
	; wave barrier
	v_lshl_add_u32 v1, v1, 2, v4
	ds_write_b32 v1, v2
	s_waitcnt lgkmcnt(0)
	; wave barrier
	ds_read_b32 v19, v8
	s_waitcnt lgkmcnt(0)
	; wave barrier
	ds_write2_b32 v6, v3, v3 offset0:1 offset1:2
	ds_write2_b32 v6, v3, v3 offset0:3 offset1:4
	s_waitcnt lgkmcnt(0)
	v_lshrrev_b32_e32 v1, 8, v19
	v_and_b32_e32 v2, 0xff, v1
	v_lshl_add_u32 v20, v2, 2, v9
	v_and_b32_e32 v2, 1, v1
	v_add_co_u32_e64 v4, s[12:13], -1, v2
	v_addc_co_u32_e64 v5, s[12:13], 0, -1, s[12:13]
	v_cmp_ne_u32_e64 s[12:13], 0, v2
	v_xor_b32_e32 v4, s12, v4
	v_xor_b32_e32 v2, s13, v5
	v_and_b32_e32 v5, exec_lo, v4
	v_lshlrev_b32_e32 v4, 30, v1
	v_cmp_gt_i64_e64 s[12:13], 0, v[3:4]
	v_not_b32_e32 v4, v4
	v_ashrrev_i32_e32 v4, 31, v4
	v_xor_b32_e32 v21, s13, v4
	v_xor_b32_e32 v4, s12, v4
	v_and_b32_e32 v5, v5, v4
	v_lshlrev_b32_e32 v4, 29, v1
	v_cmp_gt_i64_e64 s[12:13], 0, v[3:4]
	v_not_b32_e32 v4, v4
	v_and_b32_e32 v2, exec_hi, v2
	v_ashrrev_i32_e32 v4, 31, v4
	v_and_b32_e32 v2, v2, v21
	v_xor_b32_e32 v21, s13, v4
	v_xor_b32_e32 v4, s12, v4
	v_and_b32_e32 v5, v5, v4
	v_lshlrev_b32_e32 v4, 28, v1
	v_cmp_gt_i64_e64 s[12:13], 0, v[3:4]
	v_not_b32_e32 v4, v4
	v_ashrrev_i32_e32 v4, 31, v4
	v_and_b32_e32 v2, v2, v21
	v_xor_b32_e32 v21, s13, v4
	v_xor_b32_e32 v4, s12, v4
	v_and_b32_e32 v5, v5, v4
	v_lshlrev_b32_e32 v4, 27, v1
	v_cmp_gt_i64_e64 s[12:13], 0, v[3:4]
	v_not_b32_e32 v4, v4
	;; [unrolled: 8-line block ×5, first 2 shown]
	v_ashrrev_i32_e32 v1, 31, v1
	v_xor_b32_e32 v4, s13, v1
	v_xor_b32_e32 v1, s12, v1
	v_and_b32_e32 v2, v2, v21
	v_and_b32_e32 v1, v5, v1
	v_and_b32_e32 v2, v2, v4
	v_mbcnt_lo_u32_b32 v4, v1, 0
	v_mbcnt_hi_u32_b32 v21, v2, v4
	v_cmp_ne_u64_e64 s[12:13], 0, v[1:2]
	v_cmp_eq_u32_e64 s[14:15], 0, v21
	s_and_b64 s[14:15], s[12:13], s[14:15]
	; wave barrier
	; wave barrier
	s_and_saveexec_b64 s[12:13], s[14:15]
; %bb.7:                                ;   in Loop: Header=BB192_2 Depth=1
	v_bcnt_u32_b32 v1, v1, 0
	v_bcnt_u32_b32 v1, v2, v1
	ds_write_b32 v20, v1 offset:4
; %bb.8:                                ;   in Loop: Header=BB192_2 Depth=1
	s_or_b64 exec, exec, s[12:13]
	; wave barrier
	s_waitcnt lgkmcnt(0)
	; wave barrier
	ds_read2_b32 v[4:5], v6 offset0:1 offset1:2
	ds_read2_b32 v[1:2], v6 offset0:3 offset1:4
	s_waitcnt lgkmcnt(1)
	v_add_u32_e32 v22, v5, v4
	s_waitcnt lgkmcnt(0)
	v_add3_u32 v2, v22, v1, v2
	s_nop 1
	v_mov_b32_dpp v22, v2 row_shr:1 row_mask:0xf bank_mask:0xf
	v_cndmask_b32_e64 v22, v22, 0, vcc
	v_add_u32_e32 v2, v22, v2
	s_nop 1
	v_mov_b32_dpp v22, v2 row_shr:2 row_mask:0xf bank_mask:0xf
	v_cndmask_b32_e64 v22, 0, v22, s[0:1]
	v_add_u32_e32 v2, v2, v22
	s_nop 1
	v_mov_b32_dpp v22, v2 row_shr:4 row_mask:0xf bank_mask:0xf
	v_cndmask_b32_e64 v22, 0, v22, s[2:3]
	;; [unrolled: 4-line block ×3, first 2 shown]
	v_add_u32_e32 v2, v2, v22
	s_nop 1
	v_mov_b32_dpp v22, v2 row_bcast:15 row_mask:0xf bank_mask:0xf
	v_cndmask_b32_e64 v22, v22, 0, s[6:7]
	v_add_u32_e32 v2, v2, v22
	s_nop 1
	v_mov_b32_dpp v22, v2 row_bcast:31 row_mask:0xf bank_mask:0xf
	v_cndmask_b32_e64 v22, 0, v22, s[8:9]
	v_add_u32_e32 v2, v2, v22
	s_and_saveexec_b64 s[12:13], s[10:11]
; %bb.9:                                ;   in Loop: Header=BB192_2 Depth=1
	ds_write_b32 v3, v2
; %bb.10:                               ;   in Loop: Header=BB192_2 Depth=1
	s_or_b64 exec, exec, s[12:13]
	ds_bpermute_b32 v2, v7, v2
	s_waitcnt lgkmcnt(0)
	; wave barrier
	v_cndmask_b32_e64 v2, v2, 0, s[16:17]
	v_add_u32_e32 v4, v2, v4
	v_add_u32_e32 v5, v4, v5
	;; [unrolled: 1-line block ×3, first 2 shown]
	ds_write2_b32 v6, v2, v4 offset0:1 offset1:2
	ds_write2_b32 v6, v5, v1 offset0:3 offset1:4
	s_waitcnt lgkmcnt(0)
	; wave barrier
	ds_read_b32 v1, v20 offset:4
	v_lshlrev_b32_e32 v2, 2, v21
	s_waitcnt lgkmcnt(0)
	; wave barrier
	v_lshl_add_u32 v1, v1, 2, v2
	ds_write_b32 v1, v19
	s_waitcnt lgkmcnt(0)
	; wave barrier
	ds_read_b32 v19, v8
	s_waitcnt lgkmcnt(0)
	; wave barrier
	ds_write2_b32 v6, v3, v3 offset0:1 offset1:2
	ds_write2_b32 v6, v3, v3 offset0:3 offset1:4
	s_waitcnt lgkmcnt(0)
	v_and_b32_sdwa v1, v19, s23 dst_sel:DWORD dst_unused:UNUSED_PAD src0_sel:WORD_1 src1_sel:DWORD
	v_lshl_add_u32 v20, v1, 2, v9
	v_and_b32_sdwa v1, v19, v11 dst_sel:DWORD dst_unused:UNUSED_PAD src0_sel:WORD_1 src1_sel:DWORD
	v_add_co_u32_e64 v2, s[12:13], -1, v1
	v_addc_co_u32_e64 v4, s[12:13], 0, -1, s[12:13]
	v_cmp_ne_u32_e64 s[12:13], 0, v1
	v_xor_b32_e32 v1, s13, v4
	v_lshlrev_b32_sdwa v4, v12, v19 dst_sel:DWORD dst_unused:UNUSED_PAD src0_sel:DWORD src1_sel:WORD_1
	v_xor_b32_e32 v2, s12, v2
	v_cmp_gt_i64_e64 s[12:13], 0, v[3:4]
	v_not_b32_e32 v4, v4
	v_ashrrev_i32_e32 v4, 31, v4
	v_and_b32_e32 v2, exec_lo, v2
	v_xor_b32_e32 v5, s13, v4
	v_xor_b32_e32 v4, s12, v4
	v_and_b32_e32 v2, v2, v4
	v_lshlrev_b32_sdwa v4, v13, v19 dst_sel:DWORD dst_unused:UNUSED_PAD src0_sel:DWORD src1_sel:WORD_1
	v_cmp_gt_i64_e64 s[12:13], 0, v[3:4]
	v_not_b32_e32 v4, v4
	v_and_b32_e32 v1, exec_hi, v1
	v_ashrrev_i32_e32 v4, 31, v4
	v_and_b32_e32 v1, v1, v5
	v_xor_b32_e32 v5, s13, v4
	v_xor_b32_e32 v4, s12, v4
	v_and_b32_e32 v2, v2, v4
	v_lshlrev_b32_sdwa v4, v14, v19 dst_sel:DWORD dst_unused:UNUSED_PAD src0_sel:DWORD src1_sel:WORD_1
	v_cmp_gt_i64_e64 s[12:13], 0, v[3:4]
	v_not_b32_e32 v4, v4
	v_ashrrev_i32_e32 v4, 31, v4
	v_and_b32_e32 v1, v1, v5
	v_xor_b32_e32 v5, s13, v4
	v_xor_b32_e32 v4, s12, v4
	v_and_b32_e32 v2, v2, v4
	v_lshlrev_b32_sdwa v4, v15, v19 dst_sel:DWORD dst_unused:UNUSED_PAD src0_sel:DWORD src1_sel:WORD_1
	v_cmp_gt_i64_e64 s[12:13], 0, v[3:4]
	v_not_b32_e32 v4, v4
	;; [unrolled: 8-line block ×4, first 2 shown]
	v_ashrrev_i32_e32 v4, 31, v4
	v_and_b32_e32 v1, v1, v5
	v_xor_b32_e32 v5, s13, v4
	v_xor_b32_e32 v4, s12, v4
	v_and_b32_e32 v1, v1, v5
	v_and_b32_e32 v5, v2, v4
	v_lshlrev_b32_sdwa v4, v18, v19 dst_sel:DWORD dst_unused:UNUSED_PAD src0_sel:DWORD src1_sel:WORD_1
	v_cmp_gt_i64_e64 s[12:13], 0, v[3:4]
	v_not_b32_e32 v2, v4
	v_ashrrev_i32_e32 v2, 31, v2
	v_xor_b32_e32 v4, s13, v2
	v_xor_b32_e32 v21, s12, v2
	v_and_b32_e32 v2, v1, v4
	v_and_b32_e32 v1, v5, v21
	v_mbcnt_lo_u32_b32 v4, v1, 0
	v_mbcnt_hi_u32_b32 v21, v2, v4
	v_cmp_ne_u64_e64 s[12:13], 0, v[1:2]
	v_cmp_eq_u32_e64 s[14:15], 0, v21
	s_and_b64 s[14:15], s[12:13], s[14:15]
	; wave barrier
	; wave barrier
	s_and_saveexec_b64 s[12:13], s[14:15]
; %bb.11:                               ;   in Loop: Header=BB192_2 Depth=1
	v_bcnt_u32_b32 v1, v1, 0
	v_bcnt_u32_b32 v1, v2, v1
	ds_write_b32 v20, v1 offset:4
; %bb.12:                               ;   in Loop: Header=BB192_2 Depth=1
	s_or_b64 exec, exec, s[12:13]
	; wave barrier
	s_waitcnt lgkmcnt(0)
	; wave barrier
	ds_read2_b32 v[4:5], v6 offset0:1 offset1:2
	ds_read2_b32 v[1:2], v6 offset0:3 offset1:4
	s_waitcnt lgkmcnt(1)
	v_add_u32_e32 v22, v5, v4
	s_waitcnt lgkmcnt(0)
	v_add3_u32 v2, v22, v1, v2
	s_nop 1
	v_mov_b32_dpp v22, v2 row_shr:1 row_mask:0xf bank_mask:0xf
	v_cndmask_b32_e64 v22, v22, 0, vcc
	v_add_u32_e32 v2, v22, v2
	s_nop 1
	v_mov_b32_dpp v22, v2 row_shr:2 row_mask:0xf bank_mask:0xf
	v_cndmask_b32_e64 v22, 0, v22, s[0:1]
	v_add_u32_e32 v2, v2, v22
	s_nop 1
	v_mov_b32_dpp v22, v2 row_shr:4 row_mask:0xf bank_mask:0xf
	v_cndmask_b32_e64 v22, 0, v22, s[2:3]
	;; [unrolled: 4-line block ×3, first 2 shown]
	v_add_u32_e32 v2, v2, v22
	s_nop 1
	v_mov_b32_dpp v22, v2 row_bcast:15 row_mask:0xf bank_mask:0xf
	v_cndmask_b32_e64 v22, v22, 0, s[6:7]
	v_add_u32_e32 v2, v2, v22
	s_nop 1
	v_mov_b32_dpp v22, v2 row_bcast:31 row_mask:0xf bank_mask:0xf
	v_cndmask_b32_e64 v22, 0, v22, s[8:9]
	v_add_u32_e32 v2, v2, v22
	s_and_saveexec_b64 s[12:13], s[10:11]
; %bb.13:                               ;   in Loop: Header=BB192_2 Depth=1
	ds_write_b32 v3, v2
; %bb.14:                               ;   in Loop: Header=BB192_2 Depth=1
	s_or_b64 exec, exec, s[12:13]
	ds_bpermute_b32 v2, v7, v2
	s_waitcnt lgkmcnt(0)
	; wave barrier
	v_cndmask_b32_e64 v2, v2, 0, s[16:17]
	v_add_u32_e32 v4, v2, v4
	v_add_u32_e32 v5, v4, v5
	;; [unrolled: 1-line block ×3, first 2 shown]
	ds_write2_b32 v6, v2, v4 offset0:1 offset1:2
	ds_write2_b32 v6, v5, v1 offset0:3 offset1:4
	s_waitcnt lgkmcnt(0)
	; wave barrier
	ds_read_b32 v1, v20 offset:4
	v_lshlrev_b32_e32 v2, 2, v21
	s_waitcnt lgkmcnt(0)
	; wave barrier
	v_lshl_add_u32 v1, v1, 2, v2
	ds_write_b32 v1, v19
	s_waitcnt lgkmcnt(0)
	; wave barrier
	ds_read_b32 v19, v8
	s_waitcnt lgkmcnt(0)
	; wave barrier
	ds_write2_b32 v6, v3, v3 offset0:1 offset1:2
	ds_write2_b32 v6, v3, v3 offset0:3 offset1:4
	s_waitcnt lgkmcnt(0)
	v_lshrrev_b32_e32 v1, 24, v19
	v_and_b32_e32 v2, 1, v1
	v_add_co_u32_e64 v4, s[12:13], -1, v2
	v_addc_co_u32_e64 v5, s[12:13], 0, -1, s[12:13]
	v_cmp_ne_u32_e64 s[12:13], 0, v2
	v_xor_b32_e32 v4, s12, v4
	v_xor_b32_e32 v2, s13, v5
	v_and_b32_e32 v5, exec_lo, v4
	v_lshlrev_b32_e32 v4, 30, v1
	v_cmp_gt_i64_e64 s[12:13], 0, v[3:4]
	v_not_b32_e32 v4, v4
	v_ashrrev_i32_e32 v4, 31, v4
	v_xor_b32_e32 v21, s13, v4
	v_xor_b32_e32 v4, s12, v4
	v_and_b32_e32 v5, v5, v4
	v_lshlrev_b32_e32 v4, 29, v1
	v_cmp_gt_i64_e64 s[12:13], 0, v[3:4]
	v_not_b32_e32 v4, v4
	v_and_b32_e32 v2, exec_hi, v2
	v_ashrrev_i32_e32 v4, 31, v4
	v_and_b32_e32 v2, v2, v21
	v_xor_b32_e32 v21, s13, v4
	v_xor_b32_e32 v4, s12, v4
	v_and_b32_e32 v5, v5, v4
	v_lshlrev_b32_e32 v4, 28, v1
	v_cmp_gt_i64_e64 s[12:13], 0, v[3:4]
	v_not_b32_e32 v4, v4
	v_ashrrev_i32_e32 v4, 31, v4
	v_and_b32_e32 v2, v2, v21
	v_xor_b32_e32 v21, s13, v4
	v_xor_b32_e32 v4, s12, v4
	v_and_b32_e32 v5, v5, v4
	v_lshlrev_b32_e32 v4, 27, v1
	v_cmp_gt_i64_e64 s[12:13], 0, v[3:4]
	v_not_b32_e32 v4, v4
	;; [unrolled: 8-line block ×4, first 2 shown]
	v_ashrrev_i32_e32 v4, 31, v4
	v_and_b32_e32 v2, v2, v21
	v_xor_b32_e32 v21, s13, v4
	v_xor_b32_e32 v4, s12, v4
	v_and_b32_e32 v5, v5, v4
	v_lshlrev_b32_e32 v4, 24, v1
	v_lshl_add_u32 v20, v1, 2, v9
	v_cmp_gt_i64_e64 s[12:13], 0, v[3:4]
	v_not_b32_e32 v1, v4
	v_ashrrev_i32_e32 v1, 31, v1
	v_xor_b32_e32 v4, s13, v1
	v_xor_b32_e32 v1, s12, v1
	v_and_b32_e32 v2, v2, v21
	v_and_b32_e32 v1, v5, v1
	;; [unrolled: 1-line block ×3, first 2 shown]
	v_mbcnt_lo_u32_b32 v4, v1, 0
	v_mbcnt_hi_u32_b32 v21, v2, v4
	v_cmp_ne_u64_e64 s[12:13], 0, v[1:2]
	v_cmp_eq_u32_e64 s[14:15], 0, v21
	s_and_b64 s[14:15], s[12:13], s[14:15]
	; wave barrier
	; wave barrier
	s_and_saveexec_b64 s[12:13], s[14:15]
; %bb.15:                               ;   in Loop: Header=BB192_2 Depth=1
	v_bcnt_u32_b32 v1, v1, 0
	v_bcnt_u32_b32 v1, v2, v1
	ds_write_b32 v20, v1 offset:4
; %bb.16:                               ;   in Loop: Header=BB192_2 Depth=1
	s_or_b64 exec, exec, s[12:13]
	; wave barrier
	s_waitcnt lgkmcnt(0)
	; wave barrier
	ds_read2_b32 v[4:5], v6 offset0:1 offset1:2
	ds_read2_b32 v[1:2], v6 offset0:3 offset1:4
	s_waitcnt lgkmcnt(1)
	v_add_u32_e32 v22, v5, v4
	s_waitcnt lgkmcnt(0)
	v_add3_u32 v2, v22, v1, v2
	s_nop 1
	v_mov_b32_dpp v22, v2 row_shr:1 row_mask:0xf bank_mask:0xf
	v_cndmask_b32_e64 v22, v22, 0, vcc
	v_add_u32_e32 v2, v22, v2
	s_nop 1
	v_mov_b32_dpp v22, v2 row_shr:2 row_mask:0xf bank_mask:0xf
	v_cndmask_b32_e64 v22, 0, v22, s[0:1]
	v_add_u32_e32 v2, v2, v22
	s_nop 1
	v_mov_b32_dpp v22, v2 row_shr:4 row_mask:0xf bank_mask:0xf
	v_cndmask_b32_e64 v22, 0, v22, s[2:3]
	;; [unrolled: 4-line block ×3, first 2 shown]
	v_add_u32_e32 v2, v2, v22
	s_nop 1
	v_mov_b32_dpp v22, v2 row_bcast:15 row_mask:0xf bank_mask:0xf
	v_cndmask_b32_e64 v22, v22, 0, s[6:7]
	v_add_u32_e32 v2, v2, v22
	s_nop 1
	v_mov_b32_dpp v22, v2 row_bcast:31 row_mask:0xf bank_mask:0xf
	v_cndmask_b32_e64 v22, 0, v22, s[8:9]
	v_add_u32_e32 v2, v2, v22
	s_and_saveexec_b64 s[12:13], s[10:11]
	s_cbranch_execz .LBB192_1
; %bb.17:                               ;   in Loop: Header=BB192_2 Depth=1
	ds_write_b32 v3, v2
	s_branch .LBB192_1
.LBB192_18:
	s_add_u32 s0, s18, s20
	s_addc_u32 s1, s19, s21
	v_lshlrev_b32_e32 v0, 2, v0
	global_store_dword v0, v19, s[0:1]
	s_endpgm
	.section	.rodata,"a",@progbits
	.p2align	6, 0x0
	.amdhsa_kernel _Z16sort_keys_kernelI22helper_blocked_stripediLj64ELj1ELj10EEvPKT0_PS1_
		.amdhsa_group_segment_fixed_size 1040
		.amdhsa_private_segment_fixed_size 0
		.amdhsa_kernarg_size 272
		.amdhsa_user_sgpr_count 6
		.amdhsa_user_sgpr_private_segment_buffer 1
		.amdhsa_user_sgpr_dispatch_ptr 0
		.amdhsa_user_sgpr_queue_ptr 0
		.amdhsa_user_sgpr_kernarg_segment_ptr 1
		.amdhsa_user_sgpr_dispatch_id 0
		.amdhsa_user_sgpr_flat_scratch_init 0
		.amdhsa_user_sgpr_private_segment_size 0
		.amdhsa_uses_dynamic_stack 0
		.amdhsa_system_sgpr_private_segment_wavefront_offset 0
		.amdhsa_system_sgpr_workgroup_id_x 1
		.amdhsa_system_sgpr_workgroup_id_y 0
		.amdhsa_system_sgpr_workgroup_id_z 0
		.amdhsa_system_sgpr_workgroup_info 0
		.amdhsa_system_vgpr_workitem_id 2
		.amdhsa_next_free_vgpr 23
		.amdhsa_next_free_sgpr 24
		.amdhsa_reserve_vcc 1
		.amdhsa_reserve_flat_scratch 0
		.amdhsa_float_round_mode_32 0
		.amdhsa_float_round_mode_16_64 0
		.amdhsa_float_denorm_mode_32 3
		.amdhsa_float_denorm_mode_16_64 3
		.amdhsa_dx10_clamp 1
		.amdhsa_ieee_mode 1
		.amdhsa_fp16_overflow 0
		.amdhsa_exception_fp_ieee_invalid_op 0
		.amdhsa_exception_fp_denorm_src 0
		.amdhsa_exception_fp_ieee_div_zero 0
		.amdhsa_exception_fp_ieee_overflow 0
		.amdhsa_exception_fp_ieee_underflow 0
		.amdhsa_exception_fp_ieee_inexact 0
		.amdhsa_exception_int_div_zero 0
	.end_amdhsa_kernel
	.section	.text._Z16sort_keys_kernelI22helper_blocked_stripediLj64ELj1ELj10EEvPKT0_PS1_,"axG",@progbits,_Z16sort_keys_kernelI22helper_blocked_stripediLj64ELj1ELj10EEvPKT0_PS1_,comdat
.Lfunc_end192:
	.size	_Z16sort_keys_kernelI22helper_blocked_stripediLj64ELj1ELj10EEvPKT0_PS1_, .Lfunc_end192-_Z16sort_keys_kernelI22helper_blocked_stripediLj64ELj1ELj10EEvPKT0_PS1_
                                        ; -- End function
	.set _Z16sort_keys_kernelI22helper_blocked_stripediLj64ELj1ELj10EEvPKT0_PS1_.num_vgpr, 23
	.set _Z16sort_keys_kernelI22helper_blocked_stripediLj64ELj1ELj10EEvPKT0_PS1_.num_agpr, 0
	.set _Z16sort_keys_kernelI22helper_blocked_stripediLj64ELj1ELj10EEvPKT0_PS1_.numbered_sgpr, 24
	.set _Z16sort_keys_kernelI22helper_blocked_stripediLj64ELj1ELj10EEvPKT0_PS1_.num_named_barrier, 0
	.set _Z16sort_keys_kernelI22helper_blocked_stripediLj64ELj1ELj10EEvPKT0_PS1_.private_seg_size, 0
	.set _Z16sort_keys_kernelI22helper_blocked_stripediLj64ELj1ELj10EEvPKT0_PS1_.uses_vcc, 1
	.set _Z16sort_keys_kernelI22helper_blocked_stripediLj64ELj1ELj10EEvPKT0_PS1_.uses_flat_scratch, 0
	.set _Z16sort_keys_kernelI22helper_blocked_stripediLj64ELj1ELj10EEvPKT0_PS1_.has_dyn_sized_stack, 0
	.set _Z16sort_keys_kernelI22helper_blocked_stripediLj64ELj1ELj10EEvPKT0_PS1_.has_recursion, 0
	.set _Z16sort_keys_kernelI22helper_blocked_stripediLj64ELj1ELj10EEvPKT0_PS1_.has_indirect_call, 0
	.section	.AMDGPU.csdata,"",@progbits
; Kernel info:
; codeLenInByte = 3172
; TotalNumSgprs: 28
; NumVgprs: 23
; ScratchSize: 0
; MemoryBound: 0
; FloatMode: 240
; IeeeMode: 1
; LDSByteSize: 1040 bytes/workgroup (compile time only)
; SGPRBlocks: 3
; VGPRBlocks: 5
; NumSGPRsForWavesPerEU: 28
; NumVGPRsForWavesPerEU: 23
; Occupancy: 10
; WaveLimiterHint : 0
; COMPUTE_PGM_RSRC2:SCRATCH_EN: 0
; COMPUTE_PGM_RSRC2:USER_SGPR: 6
; COMPUTE_PGM_RSRC2:TRAP_HANDLER: 0
; COMPUTE_PGM_RSRC2:TGID_X_EN: 1
; COMPUTE_PGM_RSRC2:TGID_Y_EN: 0
; COMPUTE_PGM_RSRC2:TGID_Z_EN: 0
; COMPUTE_PGM_RSRC2:TIDIG_COMP_CNT: 2
	.section	.text._Z17sort_pairs_kernelI22helper_blocked_stripediLj64ELj1ELj10EEvPKT0_PS1_,"axG",@progbits,_Z17sort_pairs_kernelI22helper_blocked_stripediLj64ELj1ELj10EEvPKT0_PS1_,comdat
	.protected	_Z17sort_pairs_kernelI22helper_blocked_stripediLj64ELj1ELj10EEvPKT0_PS1_ ; -- Begin function _Z17sort_pairs_kernelI22helper_blocked_stripediLj64ELj1ELj10EEvPKT0_PS1_
	.globl	_Z17sort_pairs_kernelI22helper_blocked_stripediLj64ELj1ELj10EEvPKT0_PS1_
	.p2align	8
	.type	_Z17sort_pairs_kernelI22helper_blocked_stripediLj64ELj1ELj10EEvPKT0_PS1_,@function
_Z17sort_pairs_kernelI22helper_blocked_stripediLj64ELj1ELj10EEvPKT0_PS1_: ; @_Z17sort_pairs_kernelI22helper_blocked_stripediLj64ELj1ELj10EEvPKT0_PS1_
; %bb.0:
	s_load_dwordx4 s[16:19], s[4:5], 0x0
	s_load_dword s24, s[4:5], 0x1c
	s_lshl_b32 s0, s6, 6
	s_mov_b32 s1, 0
	s_lshl_b64 s[20:21], s[0:1], 2
	s_waitcnt lgkmcnt(0)
	s_add_u32 s0, s16, s20
	s_addc_u32 s1, s17, s21
	v_lshlrev_b32_e32 v3, 2, v0
	global_load_dword v4, v3, s[0:1]
	v_mbcnt_lo_u32_b32 v5, -1, 0
	v_mbcnt_hi_u32_b32 v5, -1, v5
	s_lshr_b32 s25, s24, 16
	v_subrev_co_u32_e64 v17, s[14:15], 1, v5
	v_and_b32_e32 v18, 64, v5
	s_and_b32 s24, s24, 0xffff
	v_mad_u32_u24 v1, v2, s25, v1
	v_cmp_lt_i32_e64 s[16:17], v17, v18
	v_mad_u32_u24 v1, v1, s24, v0
	v_lshlrev_b32_e32 v12, 4, v0
	v_cmp_eq_u32_e64 s[12:13], 0, v0
	v_mul_i32_i24_e32 v14, -12, v0
	v_and_b32_e32 v15, 15, v5
	v_and_b32_e32 v16, 16, v5
	v_cmp_lt_u32_e64 s[0:1], 31, v5
	v_lshlrev_b32_e32 v13, 2, v5
	v_cndmask_b32_e64 v5, v17, v5, s[16:17]
	v_lshrrev_b32_e32 v1, 4, v1
	v_mov_b32_e32 v3, 0
	s_mov_b32 s22, 10
	s_movk_i32 s23, 0xff
	v_mov_b32_e32 v6, 30
	v_mov_b32_e32 v7, 29
	;; [unrolled: 1-line block ×6, first 2 shown]
	v_cmp_eq_u32_e32 vcc, 63, v0
	v_add_u32_e32 v14, v12, v14
	v_cmp_eq_u32_e64 s[2:3], 0, v15
	v_cmp_lt_u32_e64 s[4:5], 1, v15
	v_cmp_lt_u32_e64 s[6:7], 3, v15
	v_cmp_lt_u32_e64 s[8:9], 7, v15
	v_cmp_eq_u32_e64 s[10:11], 0, v16
	v_lshlrev_b32_e32 v15, 2, v5
	s_or_b64 s[16:17], s[12:13], s[14:15]
	v_and_b32_e32 v16, 0xffffffc, v1
	v_mov_b32_e32 v17, 24
	s_waitcnt vmcnt(0)
	v_add_u32_e32 v18, 1, v4
	v_xor_b32_e32 v19, 0x80000000, v4
	s_branch .LBB193_2
.LBB193_1:                              ;   in Loop: Header=BB193_2 Depth=1
	s_or_b64 exec, exec, s[12:13]
	ds_bpermute_b32 v2, v15, v2
	s_waitcnt lgkmcnt(0)
	; wave barrier
	s_add_i32 s22, s22, -1
	s_cmp_eq_u32 s22, 0
	v_cndmask_b32_e64 v2, v2, 0, s[16:17]
	v_add_u32_e32 v4, v2, v4
	v_add_u32_e32 v5, v4, v5
	;; [unrolled: 1-line block ×3, first 2 shown]
	ds_write2_b32 v12, v2, v4 offset0:1 offset1:2
	ds_write2_b32 v12, v5, v1 offset0:3 offset1:4
	s_waitcnt lgkmcnt(0)
	; wave barrier
	ds_read_b32 v1, v20 offset:4
	v_lshlrev_b32_e32 v2, 2, v21
	s_waitcnt lgkmcnt(0)
	; wave barrier
	v_lshl_add_u32 v1, v1, 2, v2
	ds_write_b32 v1, v19
	s_waitcnt lgkmcnt(0)
	; wave barrier
	ds_read_b32 v19, v14
	s_waitcnt lgkmcnt(0)
	; wave barrier
	ds_write_b32 v1, v18
	s_waitcnt lgkmcnt(0)
	; wave barrier
	ds_read_b32 v18, v14
	s_cbranch_scc1 .LBB193_18
.LBB193_2:                              ; =>This Inner Loop Header: Depth=1
	v_and_b32_e32 v1, 0xff, v19
	v_lshl_add_u32 v20, v1, 2, v16
	v_and_b32_e32 v1, 1, v19
	v_add_co_u32_e64 v2, s[12:13], -1, v1
	v_addc_co_u32_e64 v4, s[12:13], 0, -1, s[12:13]
	v_cmp_ne_u32_e64 s[12:13], 0, v1
	v_xor_b32_e32 v1, s13, v4
	v_lshlrev_b32_e32 v4, 30, v19
	v_xor_b32_e32 v2, s12, v2
	v_cmp_gt_i64_e64 s[12:13], 0, v[3:4]
	v_not_b32_e32 v4, v4
	v_ashrrev_i32_e32 v4, 31, v4
	v_and_b32_e32 v2, exec_lo, v2
	v_xor_b32_e32 v5, s13, v4
	v_xor_b32_e32 v4, s12, v4
	v_and_b32_e32 v2, v2, v4
	v_lshlrev_b32_e32 v4, 29, v19
	v_cmp_gt_i64_e64 s[12:13], 0, v[3:4]
	v_not_b32_e32 v4, v4
	v_and_b32_e32 v1, exec_hi, v1
	v_ashrrev_i32_e32 v4, 31, v4
	v_and_b32_e32 v1, v1, v5
	v_xor_b32_e32 v5, s13, v4
	v_xor_b32_e32 v4, s12, v4
	v_and_b32_e32 v2, v2, v4
	v_lshlrev_b32_e32 v4, 28, v19
	v_cmp_gt_i64_e64 s[12:13], 0, v[3:4]
	v_not_b32_e32 v4, v4
	v_ashrrev_i32_e32 v4, 31, v4
	v_and_b32_e32 v1, v1, v5
	v_xor_b32_e32 v5, s13, v4
	v_xor_b32_e32 v4, s12, v4
	v_and_b32_e32 v2, v2, v4
	v_lshlrev_b32_e32 v4, 27, v19
	v_cmp_gt_i64_e64 s[12:13], 0, v[3:4]
	v_not_b32_e32 v4, v4
	;; [unrolled: 8-line block ×4, first 2 shown]
	v_ashrrev_i32_e32 v4, 31, v4
	v_and_b32_e32 v1, v1, v5
	v_xor_b32_e32 v5, s13, v4
	v_xor_b32_e32 v4, s12, v4
	v_and_b32_e32 v1, v1, v5
	v_and_b32_e32 v5, v2, v4
	v_lshlrev_b32_e32 v4, 24, v19
	v_cmp_gt_i64_e64 s[12:13], 0, v[3:4]
	v_not_b32_e32 v2, v4
	v_ashrrev_i32_e32 v2, 31, v2
	v_xor_b32_e32 v4, s13, v2
	v_xor_b32_e32 v21, s12, v2
	v_and_b32_e32 v2, v1, v4
	v_and_b32_e32 v1, v5, v21
	v_mbcnt_lo_u32_b32 v4, v1, 0
	v_mbcnt_hi_u32_b32 v21, v2, v4
	v_cmp_ne_u64_e64 s[12:13], 0, v[1:2]
	v_cmp_eq_u32_e64 s[14:15], 0, v21
	s_and_b64 s[14:15], s[12:13], s[14:15]
	ds_write2_b32 v12, v3, v3 offset0:1 offset1:2
	ds_write2_b32 v12, v3, v3 offset0:3 offset1:4
	s_waitcnt lgkmcnt(0)
	; wave barrier
	; wave barrier
	s_and_saveexec_b64 s[12:13], s[14:15]
; %bb.3:                                ;   in Loop: Header=BB193_2 Depth=1
	v_bcnt_u32_b32 v1, v1, 0
	v_bcnt_u32_b32 v1, v2, v1
	ds_write_b32 v20, v1 offset:4
; %bb.4:                                ;   in Loop: Header=BB193_2 Depth=1
	s_or_b64 exec, exec, s[12:13]
	; wave barrier
	s_waitcnt lgkmcnt(0)
	; wave barrier
	ds_read2_b32 v[4:5], v12 offset0:1 offset1:2
	ds_read2_b32 v[1:2], v12 offset0:3 offset1:4
	s_waitcnt lgkmcnt(1)
	v_add_u32_e32 v22, v5, v4
	s_waitcnt lgkmcnt(0)
	v_add3_u32 v2, v22, v1, v2
	s_nop 1
	v_mov_b32_dpp v22, v2 row_shr:1 row_mask:0xf bank_mask:0xf
	v_cndmask_b32_e64 v22, v22, 0, s[2:3]
	v_add_u32_e32 v2, v22, v2
	s_nop 1
	v_mov_b32_dpp v22, v2 row_shr:2 row_mask:0xf bank_mask:0xf
	v_cndmask_b32_e64 v22, 0, v22, s[4:5]
	v_add_u32_e32 v2, v2, v22
	;; [unrolled: 4-line block ×4, first 2 shown]
	s_nop 1
	v_mov_b32_dpp v22, v2 row_bcast:15 row_mask:0xf bank_mask:0xf
	v_cndmask_b32_e64 v22, v22, 0, s[10:11]
	v_add_u32_e32 v2, v2, v22
	s_nop 1
	v_mov_b32_dpp v22, v2 row_bcast:31 row_mask:0xf bank_mask:0xf
	v_cndmask_b32_e64 v22, 0, v22, s[0:1]
	v_add_u32_e32 v2, v2, v22
	s_and_saveexec_b64 s[12:13], vcc
; %bb.5:                                ;   in Loop: Header=BB193_2 Depth=1
	ds_write_b32 v3, v2
; %bb.6:                                ;   in Loop: Header=BB193_2 Depth=1
	s_or_b64 exec, exec, s[12:13]
	ds_bpermute_b32 v2, v15, v2
	s_waitcnt lgkmcnt(0)
	; wave barrier
	v_cndmask_b32_e64 v2, v2, 0, s[16:17]
	v_add_u32_e32 v4, v2, v4
	v_add_u32_e32 v5, v4, v5
	;; [unrolled: 1-line block ×3, first 2 shown]
	ds_write2_b32 v12, v2, v4 offset0:1 offset1:2
	ds_write2_b32 v12, v5, v1 offset0:3 offset1:4
	s_waitcnt lgkmcnt(0)
	; wave barrier
	ds_read_b32 v1, v20 offset:4
	v_lshlrev_b32_e32 v2, 2, v21
	s_waitcnt lgkmcnt(0)
	; wave barrier
	v_lshl_add_u32 v1, v1, 2, v2
	ds_write_b32 v1, v19
	s_waitcnt lgkmcnt(0)
	; wave barrier
	ds_read_b32 v19, v13
	s_waitcnt lgkmcnt(0)
	; wave barrier
	ds_write_b32 v1, v18
	s_waitcnt lgkmcnt(0)
	v_lshrrev_b32_e32 v1, 8, v19
	v_and_b32_e32 v2, 0xff, v1
	v_lshl_add_u32 v20, v2, 2, v16
	v_and_b32_e32 v2, 1, v1
	v_add_co_u32_e64 v4, s[12:13], -1, v2
	v_addc_co_u32_e64 v5, s[12:13], 0, -1, s[12:13]
	v_cmp_ne_u32_e64 s[12:13], 0, v2
	v_xor_b32_e32 v4, s12, v4
	v_xor_b32_e32 v2, s13, v5
	v_and_b32_e32 v5, exec_lo, v4
	v_lshlrev_b32_e32 v4, 30, v1
	v_cmp_gt_i64_e64 s[12:13], 0, v[3:4]
	v_not_b32_e32 v4, v4
	v_ashrrev_i32_e32 v4, 31, v4
	v_xor_b32_e32 v21, s13, v4
	v_xor_b32_e32 v4, s12, v4
	v_and_b32_e32 v5, v5, v4
	v_lshlrev_b32_e32 v4, 29, v1
	v_cmp_gt_i64_e64 s[12:13], 0, v[3:4]
	v_not_b32_e32 v4, v4
	v_and_b32_e32 v2, exec_hi, v2
	v_ashrrev_i32_e32 v4, 31, v4
	v_and_b32_e32 v2, v2, v21
	v_xor_b32_e32 v21, s13, v4
	v_xor_b32_e32 v4, s12, v4
	v_and_b32_e32 v5, v5, v4
	v_lshlrev_b32_e32 v4, 28, v1
	v_cmp_gt_i64_e64 s[12:13], 0, v[3:4]
	v_not_b32_e32 v4, v4
	v_ashrrev_i32_e32 v4, 31, v4
	v_and_b32_e32 v2, v2, v21
	v_xor_b32_e32 v21, s13, v4
	v_xor_b32_e32 v4, s12, v4
	v_and_b32_e32 v5, v5, v4
	v_lshlrev_b32_e32 v4, 27, v1
	v_cmp_gt_i64_e64 s[12:13], 0, v[3:4]
	v_not_b32_e32 v4, v4
	;; [unrolled: 8-line block ×5, first 2 shown]
	v_ashrrev_i32_e32 v1, 31, v1
	v_xor_b32_e32 v4, s13, v1
	v_xor_b32_e32 v1, s12, v1
	; wave barrier
	ds_read_b32 v18, v13
	v_and_b32_e32 v2, v2, v21
	v_and_b32_e32 v1, v5, v1
	;; [unrolled: 1-line block ×3, first 2 shown]
	v_mbcnt_lo_u32_b32 v4, v1, 0
	v_mbcnt_hi_u32_b32 v21, v2, v4
	v_cmp_ne_u64_e64 s[12:13], 0, v[1:2]
	v_cmp_eq_u32_e64 s[14:15], 0, v21
	s_and_b64 s[14:15], s[12:13], s[14:15]
	s_waitcnt lgkmcnt(0)
	; wave barrier
	ds_write2_b32 v12, v3, v3 offset0:1 offset1:2
	ds_write2_b32 v12, v3, v3 offset0:3 offset1:4
	s_waitcnt lgkmcnt(0)
	; wave barrier
	; wave barrier
	s_and_saveexec_b64 s[12:13], s[14:15]
; %bb.7:                                ;   in Loop: Header=BB193_2 Depth=1
	v_bcnt_u32_b32 v1, v1, 0
	v_bcnt_u32_b32 v1, v2, v1
	ds_write_b32 v20, v1 offset:4
; %bb.8:                                ;   in Loop: Header=BB193_2 Depth=1
	s_or_b64 exec, exec, s[12:13]
	; wave barrier
	s_waitcnt lgkmcnt(0)
	; wave barrier
	ds_read2_b32 v[4:5], v12 offset0:1 offset1:2
	ds_read2_b32 v[1:2], v12 offset0:3 offset1:4
	s_waitcnt lgkmcnt(1)
	v_add_u32_e32 v22, v5, v4
	s_waitcnt lgkmcnt(0)
	v_add3_u32 v2, v22, v1, v2
	s_nop 1
	v_mov_b32_dpp v22, v2 row_shr:1 row_mask:0xf bank_mask:0xf
	v_cndmask_b32_e64 v22, v22, 0, s[2:3]
	v_add_u32_e32 v2, v22, v2
	s_nop 1
	v_mov_b32_dpp v22, v2 row_shr:2 row_mask:0xf bank_mask:0xf
	v_cndmask_b32_e64 v22, 0, v22, s[4:5]
	v_add_u32_e32 v2, v2, v22
	;; [unrolled: 4-line block ×4, first 2 shown]
	s_nop 1
	v_mov_b32_dpp v22, v2 row_bcast:15 row_mask:0xf bank_mask:0xf
	v_cndmask_b32_e64 v22, v22, 0, s[10:11]
	v_add_u32_e32 v2, v2, v22
	s_nop 1
	v_mov_b32_dpp v22, v2 row_bcast:31 row_mask:0xf bank_mask:0xf
	v_cndmask_b32_e64 v22, 0, v22, s[0:1]
	v_add_u32_e32 v2, v2, v22
	s_and_saveexec_b64 s[12:13], vcc
; %bb.9:                                ;   in Loop: Header=BB193_2 Depth=1
	ds_write_b32 v3, v2
; %bb.10:                               ;   in Loop: Header=BB193_2 Depth=1
	s_or_b64 exec, exec, s[12:13]
	ds_bpermute_b32 v2, v15, v2
	s_waitcnt lgkmcnt(0)
	; wave barrier
	v_cndmask_b32_e64 v2, v2, 0, s[16:17]
	v_add_u32_e32 v4, v2, v4
	v_add_u32_e32 v5, v4, v5
	;; [unrolled: 1-line block ×3, first 2 shown]
	ds_write2_b32 v12, v2, v4 offset0:1 offset1:2
	ds_write2_b32 v12, v5, v1 offset0:3 offset1:4
	s_waitcnt lgkmcnt(0)
	; wave barrier
	ds_read_b32 v1, v20 offset:4
	v_lshlrev_b32_e32 v2, 2, v21
	s_waitcnt lgkmcnt(0)
	; wave barrier
	v_lshl_add_u32 v1, v1, 2, v2
	ds_write_b32 v1, v19
	s_waitcnt lgkmcnt(0)
	; wave barrier
	ds_read_b32 v19, v13
	s_waitcnt lgkmcnt(0)
	; wave barrier
	ds_write_b32 v1, v18
	s_waitcnt lgkmcnt(0)
	v_and_b32_sdwa v1, v19, s23 dst_sel:DWORD dst_unused:UNUSED_PAD src0_sel:WORD_1 src1_sel:DWORD
	v_lshl_add_u32 v20, v1, 2, v16
	v_mov_b32_e32 v1, 1
	v_and_b32_sdwa v1, v19, v1 dst_sel:DWORD dst_unused:UNUSED_PAD src0_sel:WORD_1 src1_sel:DWORD
	v_add_co_u32_e64 v2, s[12:13], -1, v1
	v_addc_co_u32_e64 v4, s[12:13], 0, -1, s[12:13]
	v_cmp_ne_u32_e64 s[12:13], 0, v1
	v_xor_b32_e32 v1, s13, v4
	v_lshlrev_b32_sdwa v4, v6, v19 dst_sel:DWORD dst_unused:UNUSED_PAD src0_sel:DWORD src1_sel:WORD_1
	v_xor_b32_e32 v2, s12, v2
	v_cmp_gt_i64_e64 s[12:13], 0, v[3:4]
	v_not_b32_e32 v4, v4
	v_ashrrev_i32_e32 v4, 31, v4
	v_and_b32_e32 v2, exec_lo, v2
	v_xor_b32_e32 v5, s13, v4
	v_xor_b32_e32 v4, s12, v4
	v_and_b32_e32 v2, v2, v4
	v_lshlrev_b32_sdwa v4, v7, v19 dst_sel:DWORD dst_unused:UNUSED_PAD src0_sel:DWORD src1_sel:WORD_1
	v_cmp_gt_i64_e64 s[12:13], 0, v[3:4]
	v_not_b32_e32 v4, v4
	v_and_b32_e32 v1, exec_hi, v1
	v_ashrrev_i32_e32 v4, 31, v4
	v_and_b32_e32 v1, v1, v5
	v_xor_b32_e32 v5, s13, v4
	v_xor_b32_e32 v4, s12, v4
	v_and_b32_e32 v2, v2, v4
	v_lshlrev_b32_sdwa v4, v8, v19 dst_sel:DWORD dst_unused:UNUSED_PAD src0_sel:DWORD src1_sel:WORD_1
	v_cmp_gt_i64_e64 s[12:13], 0, v[3:4]
	v_not_b32_e32 v4, v4
	v_ashrrev_i32_e32 v4, 31, v4
	v_and_b32_e32 v1, v1, v5
	v_xor_b32_e32 v5, s13, v4
	v_xor_b32_e32 v4, s12, v4
	v_and_b32_e32 v2, v2, v4
	v_lshlrev_b32_sdwa v4, v9, v19 dst_sel:DWORD dst_unused:UNUSED_PAD src0_sel:DWORD src1_sel:WORD_1
	v_cmp_gt_i64_e64 s[12:13], 0, v[3:4]
	v_not_b32_e32 v4, v4
	;; [unrolled: 8-line block ×4, first 2 shown]
	v_ashrrev_i32_e32 v4, 31, v4
	v_and_b32_e32 v1, v1, v5
	v_xor_b32_e32 v5, s13, v4
	v_xor_b32_e32 v4, s12, v4
	v_and_b32_e32 v1, v1, v5
	v_and_b32_e32 v5, v2, v4
	v_lshlrev_b32_sdwa v4, v17, v19 dst_sel:DWORD dst_unused:UNUSED_PAD src0_sel:DWORD src1_sel:WORD_1
	v_cmp_gt_i64_e64 s[12:13], 0, v[3:4]
	v_not_b32_e32 v2, v4
	v_ashrrev_i32_e32 v2, 31, v2
	v_xor_b32_e32 v4, s13, v2
	v_xor_b32_e32 v21, s12, v2
	; wave barrier
	ds_read_b32 v18, v13
	v_and_b32_e32 v2, v1, v4
	v_and_b32_e32 v1, v5, v21
	v_mbcnt_lo_u32_b32 v4, v1, 0
	v_mbcnt_hi_u32_b32 v21, v2, v4
	v_cmp_ne_u64_e64 s[12:13], 0, v[1:2]
	v_cmp_eq_u32_e64 s[14:15], 0, v21
	s_and_b64 s[14:15], s[12:13], s[14:15]
	s_waitcnt lgkmcnt(0)
	; wave barrier
	ds_write2_b32 v12, v3, v3 offset0:1 offset1:2
	ds_write2_b32 v12, v3, v3 offset0:3 offset1:4
	s_waitcnt lgkmcnt(0)
	; wave barrier
	; wave barrier
	s_and_saveexec_b64 s[12:13], s[14:15]
; %bb.11:                               ;   in Loop: Header=BB193_2 Depth=1
	v_bcnt_u32_b32 v1, v1, 0
	v_bcnt_u32_b32 v1, v2, v1
	ds_write_b32 v20, v1 offset:4
; %bb.12:                               ;   in Loop: Header=BB193_2 Depth=1
	s_or_b64 exec, exec, s[12:13]
	; wave barrier
	s_waitcnt lgkmcnt(0)
	; wave barrier
	ds_read2_b32 v[4:5], v12 offset0:1 offset1:2
	ds_read2_b32 v[1:2], v12 offset0:3 offset1:4
	s_waitcnt lgkmcnt(1)
	v_add_u32_e32 v22, v5, v4
	s_waitcnt lgkmcnt(0)
	v_add3_u32 v2, v22, v1, v2
	s_nop 1
	v_mov_b32_dpp v22, v2 row_shr:1 row_mask:0xf bank_mask:0xf
	v_cndmask_b32_e64 v22, v22, 0, s[2:3]
	v_add_u32_e32 v2, v22, v2
	s_nop 1
	v_mov_b32_dpp v22, v2 row_shr:2 row_mask:0xf bank_mask:0xf
	v_cndmask_b32_e64 v22, 0, v22, s[4:5]
	v_add_u32_e32 v2, v2, v22
	;; [unrolled: 4-line block ×4, first 2 shown]
	s_nop 1
	v_mov_b32_dpp v22, v2 row_bcast:15 row_mask:0xf bank_mask:0xf
	v_cndmask_b32_e64 v22, v22, 0, s[10:11]
	v_add_u32_e32 v2, v2, v22
	s_nop 1
	v_mov_b32_dpp v22, v2 row_bcast:31 row_mask:0xf bank_mask:0xf
	v_cndmask_b32_e64 v22, 0, v22, s[0:1]
	v_add_u32_e32 v2, v2, v22
	s_and_saveexec_b64 s[12:13], vcc
; %bb.13:                               ;   in Loop: Header=BB193_2 Depth=1
	ds_write_b32 v3, v2
; %bb.14:                               ;   in Loop: Header=BB193_2 Depth=1
	s_or_b64 exec, exec, s[12:13]
	ds_bpermute_b32 v2, v15, v2
	s_waitcnt lgkmcnt(0)
	; wave barrier
	v_cndmask_b32_e64 v2, v2, 0, s[16:17]
	v_add_u32_e32 v4, v2, v4
	v_add_u32_e32 v5, v4, v5
	;; [unrolled: 1-line block ×3, first 2 shown]
	ds_write2_b32 v12, v2, v4 offset0:1 offset1:2
	ds_write2_b32 v12, v5, v1 offset0:3 offset1:4
	s_waitcnt lgkmcnt(0)
	; wave barrier
	ds_read_b32 v1, v20 offset:4
	v_lshlrev_b32_e32 v2, 2, v21
	s_waitcnt lgkmcnt(0)
	; wave barrier
	v_lshl_add_u32 v1, v1, 2, v2
	ds_write_b32 v1, v19
	s_waitcnt lgkmcnt(0)
	; wave barrier
	ds_read_b32 v19, v13
	s_waitcnt lgkmcnt(0)
	; wave barrier
	ds_write_b32 v1, v18
	s_waitcnt lgkmcnt(0)
	v_lshrrev_b32_e32 v1, 24, v19
	v_and_b32_e32 v2, 1, v1
	v_add_co_u32_e64 v4, s[12:13], -1, v2
	v_addc_co_u32_e64 v5, s[12:13], 0, -1, s[12:13]
	v_cmp_ne_u32_e64 s[12:13], 0, v2
	v_xor_b32_e32 v4, s12, v4
	v_xor_b32_e32 v2, s13, v5
	v_and_b32_e32 v5, exec_lo, v4
	v_lshlrev_b32_e32 v4, 30, v1
	v_cmp_gt_i64_e64 s[12:13], 0, v[3:4]
	v_not_b32_e32 v4, v4
	v_ashrrev_i32_e32 v4, 31, v4
	v_xor_b32_e32 v21, s13, v4
	v_xor_b32_e32 v4, s12, v4
	v_and_b32_e32 v5, v5, v4
	v_lshlrev_b32_e32 v4, 29, v1
	v_cmp_gt_i64_e64 s[12:13], 0, v[3:4]
	v_not_b32_e32 v4, v4
	v_and_b32_e32 v2, exec_hi, v2
	v_ashrrev_i32_e32 v4, 31, v4
	v_and_b32_e32 v2, v2, v21
	v_xor_b32_e32 v21, s13, v4
	v_xor_b32_e32 v4, s12, v4
	v_and_b32_e32 v5, v5, v4
	v_lshlrev_b32_e32 v4, 28, v1
	v_cmp_gt_i64_e64 s[12:13], 0, v[3:4]
	v_not_b32_e32 v4, v4
	v_ashrrev_i32_e32 v4, 31, v4
	v_and_b32_e32 v2, v2, v21
	v_xor_b32_e32 v21, s13, v4
	v_xor_b32_e32 v4, s12, v4
	v_and_b32_e32 v5, v5, v4
	v_lshlrev_b32_e32 v4, 27, v1
	v_cmp_gt_i64_e64 s[12:13], 0, v[3:4]
	v_not_b32_e32 v4, v4
	;; [unrolled: 8-line block ×4, first 2 shown]
	v_ashrrev_i32_e32 v4, 31, v4
	v_and_b32_e32 v2, v2, v21
	v_xor_b32_e32 v21, s13, v4
	v_xor_b32_e32 v4, s12, v4
	v_and_b32_e32 v5, v5, v4
	v_lshlrev_b32_e32 v4, 24, v1
	v_lshl_add_u32 v20, v1, 2, v16
	v_cmp_gt_i64_e64 s[12:13], 0, v[3:4]
	v_not_b32_e32 v1, v4
	v_ashrrev_i32_e32 v1, 31, v1
	v_xor_b32_e32 v4, s13, v1
	v_xor_b32_e32 v1, s12, v1
	; wave barrier
	ds_read_b32 v18, v13
	v_and_b32_e32 v2, v2, v21
	v_and_b32_e32 v1, v5, v1
	;; [unrolled: 1-line block ×3, first 2 shown]
	v_mbcnt_lo_u32_b32 v4, v1, 0
	v_mbcnt_hi_u32_b32 v21, v2, v4
	v_cmp_ne_u64_e64 s[12:13], 0, v[1:2]
	v_cmp_eq_u32_e64 s[14:15], 0, v21
	s_and_b64 s[14:15], s[12:13], s[14:15]
	s_waitcnt lgkmcnt(0)
	; wave barrier
	ds_write2_b32 v12, v3, v3 offset0:1 offset1:2
	ds_write2_b32 v12, v3, v3 offset0:3 offset1:4
	s_waitcnt lgkmcnt(0)
	; wave barrier
	; wave barrier
	s_and_saveexec_b64 s[12:13], s[14:15]
; %bb.15:                               ;   in Loop: Header=BB193_2 Depth=1
	v_bcnt_u32_b32 v1, v1, 0
	v_bcnt_u32_b32 v1, v2, v1
	ds_write_b32 v20, v1 offset:4
; %bb.16:                               ;   in Loop: Header=BB193_2 Depth=1
	s_or_b64 exec, exec, s[12:13]
	; wave barrier
	s_waitcnt lgkmcnt(0)
	; wave barrier
	ds_read2_b32 v[4:5], v12 offset0:1 offset1:2
	ds_read2_b32 v[1:2], v12 offset0:3 offset1:4
	s_waitcnt lgkmcnt(1)
	v_add_u32_e32 v22, v5, v4
	s_waitcnt lgkmcnt(0)
	v_add3_u32 v2, v22, v1, v2
	s_nop 1
	v_mov_b32_dpp v22, v2 row_shr:1 row_mask:0xf bank_mask:0xf
	v_cndmask_b32_e64 v22, v22, 0, s[2:3]
	v_add_u32_e32 v2, v22, v2
	s_nop 1
	v_mov_b32_dpp v22, v2 row_shr:2 row_mask:0xf bank_mask:0xf
	v_cndmask_b32_e64 v22, 0, v22, s[4:5]
	v_add_u32_e32 v2, v2, v22
	;; [unrolled: 4-line block ×4, first 2 shown]
	s_nop 1
	v_mov_b32_dpp v22, v2 row_bcast:15 row_mask:0xf bank_mask:0xf
	v_cndmask_b32_e64 v22, v22, 0, s[10:11]
	v_add_u32_e32 v2, v2, v22
	s_nop 1
	v_mov_b32_dpp v22, v2 row_bcast:31 row_mask:0xf bank_mask:0xf
	v_cndmask_b32_e64 v22, 0, v22, s[0:1]
	v_add_u32_e32 v2, v2, v22
	s_and_saveexec_b64 s[12:13], vcc
	s_cbranch_execz .LBB193_1
; %bb.17:                               ;   in Loop: Header=BB193_2 Depth=1
	ds_write_b32 v3, v2
	s_branch .LBB193_1
.LBB193_18:
	s_brev_b32 s0, 1
	s_waitcnt lgkmcnt(0)
	v_add3_u32 v1, v18, v19, s0
	s_add_u32 s0, s18, s20
	s_addc_u32 s1, s19, s21
	v_lshlrev_b32_e32 v0, 2, v0
	global_store_dword v0, v1, s[0:1]
	s_endpgm
	.section	.rodata,"a",@progbits
	.p2align	6, 0x0
	.amdhsa_kernel _Z17sort_pairs_kernelI22helper_blocked_stripediLj64ELj1ELj10EEvPKT0_PS1_
		.amdhsa_group_segment_fixed_size 1040
		.amdhsa_private_segment_fixed_size 0
		.amdhsa_kernarg_size 272
		.amdhsa_user_sgpr_count 6
		.amdhsa_user_sgpr_private_segment_buffer 1
		.amdhsa_user_sgpr_dispatch_ptr 0
		.amdhsa_user_sgpr_queue_ptr 0
		.amdhsa_user_sgpr_kernarg_segment_ptr 1
		.amdhsa_user_sgpr_dispatch_id 0
		.amdhsa_user_sgpr_flat_scratch_init 0
		.amdhsa_user_sgpr_private_segment_size 0
		.amdhsa_uses_dynamic_stack 0
		.amdhsa_system_sgpr_private_segment_wavefront_offset 0
		.amdhsa_system_sgpr_workgroup_id_x 1
		.amdhsa_system_sgpr_workgroup_id_y 0
		.amdhsa_system_sgpr_workgroup_id_z 0
		.amdhsa_system_sgpr_workgroup_info 0
		.amdhsa_system_vgpr_workitem_id 2
		.amdhsa_next_free_vgpr 23
		.amdhsa_next_free_sgpr 26
		.amdhsa_reserve_vcc 1
		.amdhsa_reserve_flat_scratch 0
		.amdhsa_float_round_mode_32 0
		.amdhsa_float_round_mode_16_64 0
		.amdhsa_float_denorm_mode_32 3
		.amdhsa_float_denorm_mode_16_64 3
		.amdhsa_dx10_clamp 1
		.amdhsa_ieee_mode 1
		.amdhsa_fp16_overflow 0
		.amdhsa_exception_fp_ieee_invalid_op 0
		.amdhsa_exception_fp_denorm_src 0
		.amdhsa_exception_fp_ieee_div_zero 0
		.amdhsa_exception_fp_ieee_overflow 0
		.amdhsa_exception_fp_ieee_underflow 0
		.amdhsa_exception_fp_ieee_inexact 0
		.amdhsa_exception_int_div_zero 0
	.end_amdhsa_kernel
	.section	.text._Z17sort_pairs_kernelI22helper_blocked_stripediLj64ELj1ELj10EEvPKT0_PS1_,"axG",@progbits,_Z17sort_pairs_kernelI22helper_blocked_stripediLj64ELj1ELj10EEvPKT0_PS1_,comdat
.Lfunc_end193:
	.size	_Z17sort_pairs_kernelI22helper_blocked_stripediLj64ELj1ELj10EEvPKT0_PS1_, .Lfunc_end193-_Z17sort_pairs_kernelI22helper_blocked_stripediLj64ELj1ELj10EEvPKT0_PS1_
                                        ; -- End function
	.set _Z17sort_pairs_kernelI22helper_blocked_stripediLj64ELj1ELj10EEvPKT0_PS1_.num_vgpr, 23
	.set _Z17sort_pairs_kernelI22helper_blocked_stripediLj64ELj1ELj10EEvPKT0_PS1_.num_agpr, 0
	.set _Z17sort_pairs_kernelI22helper_blocked_stripediLj64ELj1ELj10EEvPKT0_PS1_.numbered_sgpr, 26
	.set _Z17sort_pairs_kernelI22helper_blocked_stripediLj64ELj1ELj10EEvPKT0_PS1_.num_named_barrier, 0
	.set _Z17sort_pairs_kernelI22helper_blocked_stripediLj64ELj1ELj10EEvPKT0_PS1_.private_seg_size, 0
	.set _Z17sort_pairs_kernelI22helper_blocked_stripediLj64ELj1ELj10EEvPKT0_PS1_.uses_vcc, 1
	.set _Z17sort_pairs_kernelI22helper_blocked_stripediLj64ELj1ELj10EEvPKT0_PS1_.uses_flat_scratch, 0
	.set _Z17sort_pairs_kernelI22helper_blocked_stripediLj64ELj1ELj10EEvPKT0_PS1_.has_dyn_sized_stack, 0
	.set _Z17sort_pairs_kernelI22helper_blocked_stripediLj64ELj1ELj10EEvPKT0_PS1_.has_recursion, 0
	.set _Z17sort_pairs_kernelI22helper_blocked_stripediLj64ELj1ELj10EEvPKT0_PS1_.has_indirect_call, 0
	.section	.AMDGPU.csdata,"",@progbits
; Kernel info:
; codeLenInByte = 3276
; TotalNumSgprs: 30
; NumVgprs: 23
; ScratchSize: 0
; MemoryBound: 0
; FloatMode: 240
; IeeeMode: 1
; LDSByteSize: 1040 bytes/workgroup (compile time only)
; SGPRBlocks: 3
; VGPRBlocks: 5
; NumSGPRsForWavesPerEU: 30
; NumVGPRsForWavesPerEU: 23
; Occupancy: 10
; WaveLimiterHint : 0
; COMPUTE_PGM_RSRC2:SCRATCH_EN: 0
; COMPUTE_PGM_RSRC2:USER_SGPR: 6
; COMPUTE_PGM_RSRC2:TRAP_HANDLER: 0
; COMPUTE_PGM_RSRC2:TGID_X_EN: 1
; COMPUTE_PGM_RSRC2:TGID_Y_EN: 0
; COMPUTE_PGM_RSRC2:TGID_Z_EN: 0
; COMPUTE_PGM_RSRC2:TIDIG_COMP_CNT: 2
	.section	.text._Z16sort_keys_kernelI22helper_blocked_stripediLj64ELj3ELj10EEvPKT0_PS1_,"axG",@progbits,_Z16sort_keys_kernelI22helper_blocked_stripediLj64ELj3ELj10EEvPKT0_PS1_,comdat
	.protected	_Z16sort_keys_kernelI22helper_blocked_stripediLj64ELj3ELj10EEvPKT0_PS1_ ; -- Begin function _Z16sort_keys_kernelI22helper_blocked_stripediLj64ELj3ELj10EEvPKT0_PS1_
	.globl	_Z16sort_keys_kernelI22helper_blocked_stripediLj64ELj3ELj10EEvPKT0_PS1_
	.p2align	8
	.type	_Z16sort_keys_kernelI22helper_blocked_stripediLj64ELj3ELj10EEvPKT0_PS1_,@function
_Z16sort_keys_kernelI22helper_blocked_stripediLj64ELj3ELj10EEvPKT0_PS1_: ; @_Z16sort_keys_kernelI22helper_blocked_stripediLj64ELj3ELj10EEvPKT0_PS1_
; %bb.0:
	s_load_dwordx4 s[16:19], s[4:5], 0x0
	s_load_dword s2, s[4:5], 0x1c
	s_mul_i32 s20, s6, 0xc0
	s_mov_b32 s21, 0
	s_lshl_b64 s[22:23], s[20:21], 2
	s_waitcnt lgkmcnt(0)
	s_add_u32 s0, s16, s22
	v_mul_u32_u24_e32 v3, 3, v0
	s_addc_u32 s1, s17, s23
	v_lshlrev_b32_e32 v3, 2, v3
	global_load_dwordx3 v[3:5], v3, s[0:1]
	v_mbcnt_lo_u32_b32 v6, -1, 0
	v_mbcnt_hi_u32_b32 v9, -1, v6
	s_lshr_b32 s0, s2, 16
	s_and_b32 s1, s2, 0xffff
	v_mad_u32_u24 v1, v2, s0, v1
	v_and_b32_e32 v2, 15, v9
	v_mad_u32_u24 v1, v1, s1, v0
	v_cmp_eq_u32_e64 s[0:1], 0, v2
	v_cmp_lt_u32_e64 s[2:3], 1, v2
	v_cmp_lt_u32_e64 s[4:5], 3, v2
	;; [unrolled: 1-line block ×3, first 2 shown]
	v_and_b32_e32 v2, 16, v9
	v_cmp_eq_u32_e64 s[8:9], 0, v2
	v_subrev_co_u32_e32 v2, vcc, 1, v9
	v_and_b32_e32 v10, 64, v9
	v_cmp_lt_i32_e64 s[14:15], v2, v10
	v_cndmask_b32_e64 v2, v2, v9, s[14:15]
	v_mul_u32_u24_e32 v6, 12, v9
	v_lshlrev_b32_e32 v7, 2, v9
	v_lshlrev_b32_e32 v8, 4, v0
	v_cmp_lt_u32_e64 s[10:11], 31, v9
	v_lshlrev_b32_e32 v9, 2, v2
	v_cmp_eq_u32_e64 s[14:15], 0, v0
	v_lshrrev_b32_e32 v1, 4, v1
	v_mul_i32_i24_e32 v2, -12, v0
	v_cmp_eq_u32_e64 s[12:13], 63, v0
	s_or_b64 s[16:17], s[14:15], vcc
	v_and_b32_e32 v10, 0xffffffc, v1
	v_mov_b32_e32 v1, 0
	v_add_u32_e32 v11, v8, v2
	s_branch .LBB194_2
.LBB194_1:                              ;   in Loop: Header=BB194_2 Depth=1
	v_lshlrev_b32_e32 v2, 2, v16
	; wave barrier
	ds_write_b32 v2, v15
	v_lshlrev_b32_e32 v2, 2, v5
	ds_write_b32 v2, v13
	v_lshlrev_b32_e32 v2, 2, v4
	ds_write_b32 v2, v12
	s_waitcnt lgkmcnt(0)
	; wave barrier
	ds_read2st64_b32 v[3:4], v11 offset1:1
	ds_read_b32 v2, v11 offset:512
	s_add_i32 s21, s21, 1
	s_cmp_eq_u32 s21, 10
	s_waitcnt lgkmcnt(1)
	v_xor_b32_e32 v3, 0x80000000, v3
	v_xor_b32_e32 v4, 0x80000000, v4
	s_waitcnt lgkmcnt(0)
	v_xor_b32_e32 v5, 0x80000000, v2
	s_cbranch_scc1 .LBB194_14
.LBB194_2:                              ; =>This Loop Header: Depth=1
                                        ;     Child Loop BB194_4 Depth 2
	s_waitcnt vmcnt(0)
	v_xor_b32_e32 v2, 0x80000000, v3
	v_xor_b32_e32 v3, 0x80000000, v4
	;; [unrolled: 1-line block ×3, first 2 shown]
	ds_write2_b32 v6, v2, v3 offset1:1
	ds_write_b32 v6, v4 offset:8
	; wave barrier
	ds_read2st64_b32 v[2:3], v7 offset1:1
	ds_read_b32 v17, v7 offset:512
	v_mov_b32_e32 v14, v1
	s_waitcnt lgkmcnt(0)
	; wave barrier
	; wave barrier
	;; [unrolled: 1-line block ×3, first 2 shown]
	s_branch .LBB194_4
.LBB194_3:                              ;   in Loop: Header=BB194_4 Depth=2
	s_andn2_b64 vcc, exec, s[14:15]
	s_cbranch_vccz .LBB194_1
.LBB194_4:                              ;   Parent Loop BB194_2 Depth=1
                                        ; =>  This Inner Loop Header: Depth=2
	v_mov_b32_e32 v15, v2
	v_mov_b32_e32 v13, v3
	v_lshrrev_b32_e32 v3, v14, v15
	v_and_b32_e32 v2, 0xff, v3
	v_lshl_add_u32 v16, v2, 2, v10
	v_and_b32_e32 v2, 1, v3
	v_add_co_u32_e32 v4, vcc, -1, v2
	v_addc_co_u32_e64 v5, s[14:15], 0, -1, vcc
	v_cmp_ne_u32_e32 vcc, 0, v2
	v_xor_b32_e32 v2, vcc_hi, v5
	v_and_b32_e32 v5, exec_hi, v2
	v_lshlrev_b32_e32 v2, 30, v3
	v_xor_b32_e32 v4, vcc_lo, v4
	v_cmp_gt_i64_e32 vcc, 0, v[1:2]
	v_not_b32_e32 v2, v2
	v_ashrrev_i32_e32 v2, 31, v2
	v_mov_b32_e32 v12, v17
	v_and_b32_e32 v4, exec_lo, v4
	v_xor_b32_e32 v17, vcc_hi, v2
	v_xor_b32_e32 v2, vcc_lo, v2
	v_and_b32_e32 v4, v4, v2
	v_lshlrev_b32_e32 v2, 29, v3
	v_cmp_gt_i64_e32 vcc, 0, v[1:2]
	v_not_b32_e32 v2, v2
	v_ashrrev_i32_e32 v2, 31, v2
	v_and_b32_e32 v5, v5, v17
	v_xor_b32_e32 v17, vcc_hi, v2
	v_xor_b32_e32 v2, vcc_lo, v2
	v_and_b32_e32 v4, v4, v2
	v_lshlrev_b32_e32 v2, 28, v3
	v_cmp_gt_i64_e32 vcc, 0, v[1:2]
	v_not_b32_e32 v2, v2
	v_ashrrev_i32_e32 v2, 31, v2
	v_and_b32_e32 v5, v5, v17
	v_xor_b32_e32 v17, vcc_hi, v2
	v_xor_b32_e32 v2, vcc_lo, v2
	v_and_b32_e32 v4, v4, v2
	v_lshlrev_b32_e32 v2, 27, v3
	v_cmp_gt_i64_e32 vcc, 0, v[1:2]
	v_not_b32_e32 v2, v2
	v_ashrrev_i32_e32 v2, 31, v2
	v_and_b32_e32 v5, v5, v17
	v_xor_b32_e32 v17, vcc_hi, v2
	v_xor_b32_e32 v2, vcc_lo, v2
	v_and_b32_e32 v4, v4, v2
	v_lshlrev_b32_e32 v2, 26, v3
	v_cmp_gt_i64_e32 vcc, 0, v[1:2]
	v_not_b32_e32 v2, v2
	v_ashrrev_i32_e32 v2, 31, v2
	v_and_b32_e32 v5, v5, v17
	v_xor_b32_e32 v17, vcc_hi, v2
	v_xor_b32_e32 v2, vcc_lo, v2
	v_and_b32_e32 v4, v4, v2
	v_lshlrev_b32_e32 v2, 25, v3
	v_cmp_gt_i64_e32 vcc, 0, v[1:2]
	v_not_b32_e32 v2, v2
	v_ashrrev_i32_e32 v2, 31, v2
	v_and_b32_e32 v5, v5, v17
	v_xor_b32_e32 v17, vcc_hi, v2
	v_xor_b32_e32 v2, vcc_lo, v2
	v_and_b32_e32 v4, v4, v2
	v_lshlrev_b32_e32 v2, 24, v3
	v_cmp_gt_i64_e32 vcc, 0, v[1:2]
	v_not_b32_e32 v2, v2
	v_ashrrev_i32_e32 v2, 31, v2
	v_xor_b32_e32 v3, vcc_hi, v2
	v_xor_b32_e32 v2, vcc_lo, v2
	v_and_b32_e32 v5, v5, v17
	v_and_b32_e32 v2, v4, v2
	;; [unrolled: 1-line block ×3, first 2 shown]
	v_mbcnt_lo_u32_b32 v4, v2, 0
	v_mbcnt_hi_u32_b32 v17, v3, v4
	v_cmp_ne_u64_e32 vcc, 0, v[2:3]
	v_cmp_eq_u32_e64 s[14:15], 0, v17
	s_and_b64 s[24:25], vcc, s[14:15]
	ds_write2_b32 v8, v1, v1 offset0:1 offset1:2
	ds_write2_b32 v8, v1, v1 offset0:3 offset1:4
	s_waitcnt lgkmcnt(0)
	; wave barrier
	; wave barrier
	s_and_saveexec_b64 s[14:15], s[24:25]
; %bb.5:                                ;   in Loop: Header=BB194_4 Depth=2
	v_bcnt_u32_b32 v2, v2, 0
	v_bcnt_u32_b32 v2, v3, v2
	ds_write_b32 v16, v2 offset:4
; %bb.6:                                ;   in Loop: Header=BB194_4 Depth=2
	s_or_b64 exec, exec, s[14:15]
	v_lshrrev_b32_e32 v3, v14, v13
	v_and_b32_e32 v2, 0xff, v3
	v_lshl_add_u32 v19, v2, 2, v10
	v_and_b32_e32 v2, 1, v3
	v_add_co_u32_e32 v4, vcc, -1, v2
	v_addc_co_u32_e64 v5, s[14:15], 0, -1, vcc
	v_cmp_ne_u32_e32 vcc, 0, v2
	v_xor_b32_e32 v2, vcc_hi, v5
	v_and_b32_e32 v5, exec_hi, v2
	v_lshlrev_b32_e32 v2, 30, v3
	v_xor_b32_e32 v4, vcc_lo, v4
	v_cmp_gt_i64_e32 vcc, 0, v[1:2]
	v_not_b32_e32 v2, v2
	v_ashrrev_i32_e32 v2, 31, v2
	v_and_b32_e32 v4, exec_lo, v4
	v_xor_b32_e32 v20, vcc_hi, v2
	v_xor_b32_e32 v2, vcc_lo, v2
	v_and_b32_e32 v4, v4, v2
	v_lshlrev_b32_e32 v2, 29, v3
	v_cmp_gt_i64_e32 vcc, 0, v[1:2]
	v_not_b32_e32 v2, v2
	v_ashrrev_i32_e32 v2, 31, v2
	v_and_b32_e32 v5, v5, v20
	v_xor_b32_e32 v20, vcc_hi, v2
	v_xor_b32_e32 v2, vcc_lo, v2
	v_and_b32_e32 v4, v4, v2
	v_lshlrev_b32_e32 v2, 28, v3
	v_cmp_gt_i64_e32 vcc, 0, v[1:2]
	v_not_b32_e32 v2, v2
	v_ashrrev_i32_e32 v2, 31, v2
	v_and_b32_e32 v5, v5, v20
	;; [unrolled: 8-line block ×5, first 2 shown]
	v_xor_b32_e32 v20, vcc_hi, v2
	v_xor_b32_e32 v2, vcc_lo, v2
	v_and_b32_e32 v4, v4, v2
	v_lshlrev_b32_e32 v2, 24, v3
	v_cmp_gt_i64_e32 vcc, 0, v[1:2]
	v_not_b32_e32 v2, v2
	v_ashrrev_i32_e32 v2, 31, v2
	v_xor_b32_e32 v3, vcc_hi, v2
	v_xor_b32_e32 v2, vcc_lo, v2
	; wave barrier
	ds_read_b32 v18, v19 offset:4
	v_and_b32_e32 v5, v5, v20
	v_and_b32_e32 v2, v4, v2
	;; [unrolled: 1-line block ×3, first 2 shown]
	v_mbcnt_lo_u32_b32 v4, v2, 0
	v_mbcnt_hi_u32_b32 v20, v3, v4
	v_cmp_ne_u64_e32 vcc, 0, v[2:3]
	v_cmp_eq_u32_e64 s[14:15], 0, v20
	s_and_b64 s[24:25], vcc, s[14:15]
	; wave barrier
	s_and_saveexec_b64 s[14:15], s[24:25]
	s_cbranch_execz .LBB194_8
; %bb.7:                                ;   in Loop: Header=BB194_4 Depth=2
	v_bcnt_u32_b32 v2, v2, 0
	v_bcnt_u32_b32 v2, v3, v2
	s_waitcnt lgkmcnt(0)
	v_add_u32_e32 v2, v18, v2
	ds_write_b32 v19, v2 offset:4
.LBB194_8:                              ;   in Loop: Header=BB194_4 Depth=2
	s_or_b64 exec, exec, s[14:15]
	v_lshrrev_b32_e32 v3, v14, v12
	v_and_b32_e32 v2, 0xff, v3
	v_lshl_add_u32 v22, v2, 2, v10
	v_and_b32_e32 v2, 1, v3
	v_add_co_u32_e32 v4, vcc, -1, v2
	v_addc_co_u32_e64 v5, s[14:15], 0, -1, vcc
	v_cmp_ne_u32_e32 vcc, 0, v2
	v_xor_b32_e32 v2, vcc_hi, v5
	v_and_b32_e32 v5, exec_hi, v2
	v_lshlrev_b32_e32 v2, 30, v3
	v_xor_b32_e32 v4, vcc_lo, v4
	v_cmp_gt_i64_e32 vcc, 0, v[1:2]
	v_not_b32_e32 v2, v2
	v_ashrrev_i32_e32 v2, 31, v2
	v_and_b32_e32 v4, exec_lo, v4
	v_xor_b32_e32 v23, vcc_hi, v2
	v_xor_b32_e32 v2, vcc_lo, v2
	v_and_b32_e32 v4, v4, v2
	v_lshlrev_b32_e32 v2, 29, v3
	v_cmp_gt_i64_e32 vcc, 0, v[1:2]
	v_not_b32_e32 v2, v2
	v_ashrrev_i32_e32 v2, 31, v2
	v_and_b32_e32 v5, v5, v23
	v_xor_b32_e32 v23, vcc_hi, v2
	v_xor_b32_e32 v2, vcc_lo, v2
	v_and_b32_e32 v4, v4, v2
	v_lshlrev_b32_e32 v2, 28, v3
	v_cmp_gt_i64_e32 vcc, 0, v[1:2]
	v_not_b32_e32 v2, v2
	v_ashrrev_i32_e32 v2, 31, v2
	v_and_b32_e32 v5, v5, v23
	;; [unrolled: 8-line block ×5, first 2 shown]
	v_xor_b32_e32 v23, vcc_hi, v2
	v_xor_b32_e32 v2, vcc_lo, v2
	v_and_b32_e32 v4, v4, v2
	v_lshlrev_b32_e32 v2, 24, v3
	v_cmp_gt_i64_e32 vcc, 0, v[1:2]
	v_not_b32_e32 v2, v2
	v_ashrrev_i32_e32 v2, 31, v2
	v_xor_b32_e32 v3, vcc_hi, v2
	v_xor_b32_e32 v2, vcc_lo, v2
	; wave barrier
	ds_read_b32 v21, v22 offset:4
	v_and_b32_e32 v5, v5, v23
	v_and_b32_e32 v2, v4, v2
	;; [unrolled: 1-line block ×3, first 2 shown]
	v_mbcnt_lo_u32_b32 v4, v2, 0
	v_mbcnt_hi_u32_b32 v23, v3, v4
	v_cmp_ne_u64_e32 vcc, 0, v[2:3]
	v_cmp_eq_u32_e64 s[14:15], 0, v23
	s_and_b64 s[24:25], vcc, s[14:15]
	; wave barrier
	s_and_saveexec_b64 s[14:15], s[24:25]
	s_cbranch_execz .LBB194_10
; %bb.9:                                ;   in Loop: Header=BB194_4 Depth=2
	v_bcnt_u32_b32 v2, v2, 0
	v_bcnt_u32_b32 v2, v3, v2
	s_waitcnt lgkmcnt(0)
	v_add_u32_e32 v2, v21, v2
	ds_write_b32 v22, v2 offset:4
.LBB194_10:                             ;   in Loop: Header=BB194_4 Depth=2
	s_or_b64 exec, exec, s[14:15]
	; wave barrier
	s_waitcnt lgkmcnt(0)
	; wave barrier
	ds_read2_b32 v[4:5], v8 offset0:1 offset1:2
	ds_read2_b32 v[2:3], v8 offset0:3 offset1:4
	s_waitcnt lgkmcnt(1)
	v_add_u32_e32 v24, v5, v4
	s_waitcnt lgkmcnt(0)
	v_add3_u32 v3, v24, v2, v3
	s_nop 1
	v_mov_b32_dpp v24, v3 row_shr:1 row_mask:0xf bank_mask:0xf
	v_cndmask_b32_e64 v24, v24, 0, s[0:1]
	v_add_u32_e32 v3, v24, v3
	s_nop 1
	v_mov_b32_dpp v24, v3 row_shr:2 row_mask:0xf bank_mask:0xf
	v_cndmask_b32_e64 v24, 0, v24, s[2:3]
	v_add_u32_e32 v3, v3, v24
	;; [unrolled: 4-line block ×4, first 2 shown]
	s_nop 1
	v_mov_b32_dpp v24, v3 row_bcast:15 row_mask:0xf bank_mask:0xf
	v_cndmask_b32_e64 v24, v24, 0, s[8:9]
	v_add_u32_e32 v3, v3, v24
	s_nop 1
	v_mov_b32_dpp v24, v3 row_bcast:31 row_mask:0xf bank_mask:0xf
	v_cndmask_b32_e64 v24, 0, v24, s[10:11]
	v_add_u32_e32 v3, v3, v24
	s_and_saveexec_b64 s[14:15], s[12:13]
; %bb.11:                               ;   in Loop: Header=BB194_4 Depth=2
	ds_write_b32 v1, v3
; %bb.12:                               ;   in Loop: Header=BB194_4 Depth=2
	s_or_b64 exec, exec, s[14:15]
	ds_bpermute_b32 v3, v9, v3
	s_waitcnt lgkmcnt(0)
	; wave barrier
	v_cmp_lt_u32_e32 vcc, 23, v14
	s_and_b64 vcc, exec, vcc
	v_cndmask_b32_e64 v3, v3, 0, s[16:17]
	v_add_u32_e32 v4, v3, v4
	v_add_u32_e32 v5, v4, v5
	;; [unrolled: 1-line block ×3, first 2 shown]
	ds_write2_b32 v8, v3, v4 offset0:1 offset1:2
	ds_write2_b32 v8, v5, v2 offset0:3 offset1:4
	s_waitcnt lgkmcnt(0)
	; wave barrier
	ds_read_b32 v2, v16 offset:4
	ds_read_b32 v3, v19 offset:4
	;; [unrolled: 1-line block ×3, first 2 shown]
	s_mov_b64 s[14:15], -1
	s_waitcnt lgkmcnt(2)
	v_add_u32_e32 v16, v2, v17
	s_waitcnt lgkmcnt(1)
	v_add3_u32 v5, v20, v18, v3
	s_waitcnt lgkmcnt(0)
	v_add3_u32 v4, v23, v21, v4
                                        ; implicit-def: $vgpr17
                                        ; implicit-def: $vgpr3
	s_cbranch_vccnz .LBB194_3
; %bb.13:                               ;   in Loop: Header=BB194_4 Depth=2
	v_lshlrev_b32_e32 v2, 2, v16
	; wave barrier
	ds_write_b32 v2, v15
	v_lshlrev_b32_e32 v2, 2, v5
	ds_write_b32 v2, v13
	v_lshlrev_b32_e32 v2, 2, v4
	ds_write_b32 v2, v12
	s_waitcnt lgkmcnt(0)
	; wave barrier
	ds_read2st64_b32 v[2:3], v7 offset1:1
	ds_read_b32 v17, v7 offset:512
	v_add_u32_e32 v14, 8, v14
	s_mov_b64 s[14:15], 0
	s_waitcnt lgkmcnt(0)
	; wave barrier
	s_branch .LBB194_3
.LBB194_14:
	s_add_u32 s0, s18, s22
	s_addc_u32 s1, s19, s23
	v_lshlrev_b32_e32 v0, 2, v0
	global_store_dword v0, v3, s[0:1]
	global_store_dword v0, v4, s[0:1] offset:256
	global_store_dword v0, v5, s[0:1] offset:512
	s_endpgm
	.section	.rodata,"a",@progbits
	.p2align	6, 0x0
	.amdhsa_kernel _Z16sort_keys_kernelI22helper_blocked_stripediLj64ELj3ELj10EEvPKT0_PS1_
		.amdhsa_group_segment_fixed_size 1040
		.amdhsa_private_segment_fixed_size 0
		.amdhsa_kernarg_size 272
		.amdhsa_user_sgpr_count 6
		.amdhsa_user_sgpr_private_segment_buffer 1
		.amdhsa_user_sgpr_dispatch_ptr 0
		.amdhsa_user_sgpr_queue_ptr 0
		.amdhsa_user_sgpr_kernarg_segment_ptr 1
		.amdhsa_user_sgpr_dispatch_id 0
		.amdhsa_user_sgpr_flat_scratch_init 0
		.amdhsa_user_sgpr_private_segment_size 0
		.amdhsa_uses_dynamic_stack 0
		.amdhsa_system_sgpr_private_segment_wavefront_offset 0
		.amdhsa_system_sgpr_workgroup_id_x 1
		.amdhsa_system_sgpr_workgroup_id_y 0
		.amdhsa_system_sgpr_workgroup_id_z 0
		.amdhsa_system_sgpr_workgroup_info 0
		.amdhsa_system_vgpr_workitem_id 2
		.amdhsa_next_free_vgpr 25
		.amdhsa_next_free_sgpr 26
		.amdhsa_reserve_vcc 1
		.amdhsa_reserve_flat_scratch 0
		.amdhsa_float_round_mode_32 0
		.amdhsa_float_round_mode_16_64 0
		.amdhsa_float_denorm_mode_32 3
		.amdhsa_float_denorm_mode_16_64 3
		.amdhsa_dx10_clamp 1
		.amdhsa_ieee_mode 1
		.amdhsa_fp16_overflow 0
		.amdhsa_exception_fp_ieee_invalid_op 0
		.amdhsa_exception_fp_denorm_src 0
		.amdhsa_exception_fp_ieee_div_zero 0
		.amdhsa_exception_fp_ieee_overflow 0
		.amdhsa_exception_fp_ieee_underflow 0
		.amdhsa_exception_fp_ieee_inexact 0
		.amdhsa_exception_int_div_zero 0
	.end_amdhsa_kernel
	.section	.text._Z16sort_keys_kernelI22helper_blocked_stripediLj64ELj3ELj10EEvPKT0_PS1_,"axG",@progbits,_Z16sort_keys_kernelI22helper_blocked_stripediLj64ELj3ELj10EEvPKT0_PS1_,comdat
.Lfunc_end194:
	.size	_Z16sort_keys_kernelI22helper_blocked_stripediLj64ELj3ELj10EEvPKT0_PS1_, .Lfunc_end194-_Z16sort_keys_kernelI22helper_blocked_stripediLj64ELj3ELj10EEvPKT0_PS1_
                                        ; -- End function
	.set _Z16sort_keys_kernelI22helper_blocked_stripediLj64ELj3ELj10EEvPKT0_PS1_.num_vgpr, 25
	.set _Z16sort_keys_kernelI22helper_blocked_stripediLj64ELj3ELj10EEvPKT0_PS1_.num_agpr, 0
	.set _Z16sort_keys_kernelI22helper_blocked_stripediLj64ELj3ELj10EEvPKT0_PS1_.numbered_sgpr, 26
	.set _Z16sort_keys_kernelI22helper_blocked_stripediLj64ELj3ELj10EEvPKT0_PS1_.num_named_barrier, 0
	.set _Z16sort_keys_kernelI22helper_blocked_stripediLj64ELj3ELj10EEvPKT0_PS1_.private_seg_size, 0
	.set _Z16sort_keys_kernelI22helper_blocked_stripediLj64ELj3ELj10EEvPKT0_PS1_.uses_vcc, 1
	.set _Z16sort_keys_kernelI22helper_blocked_stripediLj64ELj3ELj10EEvPKT0_PS1_.uses_flat_scratch, 0
	.set _Z16sort_keys_kernelI22helper_blocked_stripediLj64ELj3ELj10EEvPKT0_PS1_.has_dyn_sized_stack, 0
	.set _Z16sort_keys_kernelI22helper_blocked_stripediLj64ELj3ELj10EEvPKT0_PS1_.has_recursion, 0
	.set _Z16sort_keys_kernelI22helper_blocked_stripediLj64ELj3ELj10EEvPKT0_PS1_.has_indirect_call, 0
	.section	.AMDGPU.csdata,"",@progbits
; Kernel info:
; codeLenInByte = 1968
; TotalNumSgprs: 30
; NumVgprs: 25
; ScratchSize: 0
; MemoryBound: 0
; FloatMode: 240
; IeeeMode: 1
; LDSByteSize: 1040 bytes/workgroup (compile time only)
; SGPRBlocks: 3
; VGPRBlocks: 6
; NumSGPRsForWavesPerEU: 30
; NumVGPRsForWavesPerEU: 25
; Occupancy: 9
; WaveLimiterHint : 1
; COMPUTE_PGM_RSRC2:SCRATCH_EN: 0
; COMPUTE_PGM_RSRC2:USER_SGPR: 6
; COMPUTE_PGM_RSRC2:TRAP_HANDLER: 0
; COMPUTE_PGM_RSRC2:TGID_X_EN: 1
; COMPUTE_PGM_RSRC2:TGID_Y_EN: 0
; COMPUTE_PGM_RSRC2:TGID_Z_EN: 0
; COMPUTE_PGM_RSRC2:TIDIG_COMP_CNT: 2
	.section	.text._Z17sort_pairs_kernelI22helper_blocked_stripediLj64ELj3ELj10EEvPKT0_PS1_,"axG",@progbits,_Z17sort_pairs_kernelI22helper_blocked_stripediLj64ELj3ELj10EEvPKT0_PS1_,comdat
	.protected	_Z17sort_pairs_kernelI22helper_blocked_stripediLj64ELj3ELj10EEvPKT0_PS1_ ; -- Begin function _Z17sort_pairs_kernelI22helper_blocked_stripediLj64ELj3ELj10EEvPKT0_PS1_
	.globl	_Z17sort_pairs_kernelI22helper_blocked_stripediLj64ELj3ELj10EEvPKT0_PS1_
	.p2align	8
	.type	_Z17sort_pairs_kernelI22helper_blocked_stripediLj64ELj3ELj10EEvPKT0_PS1_,@function
_Z17sort_pairs_kernelI22helper_blocked_stripediLj64ELj3ELj10EEvPKT0_PS1_: ; @_Z17sort_pairs_kernelI22helper_blocked_stripediLj64ELj3ELj10EEvPKT0_PS1_
; %bb.0:
	s_load_dwordx4 s[16:19], s[4:5], 0x0
	s_load_dword s24, s[4:5], 0x1c
	s_mul_i32 s22, s6, 0xc0
	s_mov_b32 s23, 0
	s_lshl_b64 s[20:21], s[22:23], 2
	s_waitcnt lgkmcnt(0)
	s_add_u32 s0, s16, s20
	v_mul_u32_u24_e32 v3, 3, v0
	s_addc_u32 s1, s17, s21
	v_lshlrev_b32_e32 v3, 2, v3
	global_load_dwordx3 v[3:5], v3, s[0:1]
	v_mbcnt_lo_u32_b32 v7, -1, 0
	v_mbcnt_hi_u32_b32 v7, -1, v7
	s_lshr_b32 s22, s24, 16
	v_subrev_co_u32_e64 v13, s[14:15], 1, v7
	v_and_b32_e32 v15, 64, v7
	s_and_b32 s24, s24, 0xffff
	v_mad_u32_u24 v1, v2, s22, v1
	v_cmp_lt_i32_e64 s[16:17], v13, v15
	v_mad_u32_u24 v1, v1, s24, v0
	v_lshlrev_b32_e32 v9, 4, v0
	v_cmp_eq_u32_e32 vcc, 0, v0
	v_mul_i32_i24_e32 v14, -12, v0
	v_mul_u32_u24_e32 v10, 12, v7
	v_lshlrev_b32_e32 v11, 2, v7
	v_and_b32_e32 v8, 15, v7
	v_and_b32_e32 v12, 16, v7
	v_cmp_lt_u32_e64 s[2:3], 31, v7
	v_cndmask_b32_e64 v7, v13, v7, s[16:17]
	v_lshrrev_b32_e32 v1, 4, v1
	v_mov_b32_e32 v6, 0
	v_cmp_eq_u32_e64 s[0:1], 63, v0
	v_cmp_eq_u32_e64 s[4:5], 0, v8
	v_cmp_lt_u32_e64 s[6:7], 1, v8
	v_cmp_lt_u32_e64 s[8:9], 3, v8
	;; [unrolled: 1-line block ×3, first 2 shown]
	v_cmp_eq_u32_e64 s[12:13], 0, v12
	v_lshlrev_b32_e32 v12, 2, v7
	s_or_b64 s[16:17], vcc, s[14:15]
	v_and_b32_e32 v13, 0xffffffc, v1
	v_add_u32_e32 v14, v9, v14
	s_waitcnt vmcnt(0)
	v_add_u32_e32 v7, 1, v3
	v_add_u32_e32 v8, 1, v4
	;; [unrolled: 1-line block ×3, first 2 shown]
	s_branch .LBB195_2
.LBB195_1:                              ;   in Loop: Header=BB195_2 Depth=1
	v_lshlrev_b32_e32 v3, 2, v21
	v_lshlrev_b32_e32 v4, 2, v20
	;; [unrolled: 1-line block ×3, first 2 shown]
	; wave barrier
	ds_write_b32 v3, v19
	ds_write_b32 v4, v18
	;; [unrolled: 1-line block ×3, first 2 shown]
	s_waitcnt lgkmcnt(0)
	; wave barrier
	ds_read2st64_b32 v[1:2], v14 offset1:1
	ds_read_b32 v16, v14 offset:512
	s_waitcnt lgkmcnt(0)
	; wave barrier
	ds_write_b32 v3, v15
	ds_write_b32 v4, v8
	;; [unrolled: 1-line block ×3, first 2 shown]
	s_waitcnt lgkmcnt(0)
	; wave barrier
	ds_read2st64_b32 v[7:8], v14 offset1:1
	ds_read_b32 v15, v14 offset:512
	s_add_i32 s23, s23, 1
	v_xor_b32_e32 v3, 0x80000000, v1
	v_xor_b32_e32 v4, 0x80000000, v2
	s_cmp_eq_u32 s23, 10
	v_xor_b32_e32 v5, 0x80000000, v16
	s_cbranch_scc1 .LBB195_14
.LBB195_2:                              ; =>This Loop Header: Depth=1
                                        ;     Child Loop BB195_4 Depth 2
	v_xor_b32_e32 v1, 0x80000000, v3
	v_xor_b32_e32 v2, 0x80000000, v4
	;; [unrolled: 1-line block ×3, first 2 shown]
	ds_write2_b32 v10, v1, v2 offset1:1
	ds_write_b32 v10, v3 offset:8
	; wave barrier
	ds_read2st64_b32 v[1:2], v11 offset1:1
	ds_read_b32 v22, v11 offset:512
	; wave barrier
	s_waitcnt lgkmcnt(5)
	ds_write2_b32 v10, v7, v8 offset1:1
	s_waitcnt lgkmcnt(5)
	ds_write_b32 v10, v15 offset:8
	; wave barrier
	ds_read2st64_b32 v[3:4], v11 offset1:1
	ds_read_b32 v23, v11 offset:512
	v_mov_b32_e32 v17, v6
	s_waitcnt lgkmcnt(0)
	; wave barrier
	s_branch .LBB195_4
.LBB195_3:                              ;   in Loop: Header=BB195_4 Depth=2
	s_andn2_b64 vcc, exec, s[14:15]
	s_cbranch_vccz .LBB195_1
.LBB195_4:                              ;   Parent Loop BB195_2 Depth=1
                                        ; =>  This Inner Loop Header: Depth=2
	v_mov_b32_e32 v19, v1
	v_lshrrev_b32_e32 v1, v17, v19
	v_mov_b32_e32 v18, v2
	v_and_b32_e32 v2, 0xff, v1
	v_lshl_add_u32 v20, v2, 2, v13
	v_and_b32_e32 v2, 1, v1
	v_mov_b32_e32 v15, v3
	v_add_co_u32_e32 v3, vcc, -1, v2
	v_mov_b32_e32 v8, v4
	v_addc_co_u32_e64 v4, s[14:15], 0, -1, vcc
	v_cmp_ne_u32_e32 vcc, 0, v2
	v_lshlrev_b32_e32 v7, 30, v1
	v_xor_b32_e32 v2, vcc_hi, v4
	v_xor_b32_e32 v3, vcc_lo, v3
	v_cmp_gt_i64_e32 vcc, 0, v[6:7]
	v_not_b32_e32 v4, v7
	v_ashrrev_i32_e32 v4, 31, v4
	v_and_b32_e32 v2, exec_hi, v2
	v_xor_b32_e32 v7, vcc_hi, v4
	v_and_b32_e32 v3, exec_lo, v3
	v_xor_b32_e32 v4, vcc_lo, v4
	v_and_b32_e32 v2, v2, v7
	v_lshlrev_b32_e32 v7, 29, v1
	v_and_b32_e32 v3, v3, v4
	v_cmp_gt_i64_e32 vcc, 0, v[6:7]
	v_not_b32_e32 v4, v7
	v_ashrrev_i32_e32 v4, 31, v4
	v_xor_b32_e32 v7, vcc_hi, v4
	v_xor_b32_e32 v4, vcc_lo, v4
	v_and_b32_e32 v2, v2, v7
	v_lshlrev_b32_e32 v7, 28, v1
	v_and_b32_e32 v3, v3, v4
	v_cmp_gt_i64_e32 vcc, 0, v[6:7]
	v_not_b32_e32 v4, v7
	v_ashrrev_i32_e32 v4, 31, v4
	v_xor_b32_e32 v7, vcc_hi, v4
	;; [unrolled: 8-line block ×5, first 2 shown]
	v_and_b32_e32 v2, v2, v7
	v_lshlrev_b32_e32 v7, 24, v1
	v_xor_b32_e32 v4, vcc_lo, v4
	v_cmp_gt_i64_e32 vcc, 0, v[6:7]
	v_not_b32_e32 v1, v7
	v_ashrrev_i32_e32 v1, 31, v1
	v_and_b32_e32 v3, v3, v4
	v_xor_b32_e32 v4, vcc_hi, v1
	v_xor_b32_e32 v1, vcc_lo, v1
	v_and_b32_e32 v1, v3, v1
	v_and_b32_e32 v2, v2, v4
	v_mbcnt_lo_u32_b32 v3, v1, 0
	v_mbcnt_hi_u32_b32 v21, v2, v3
	v_cmp_ne_u64_e32 vcc, 0, v[1:2]
	v_cmp_eq_u32_e64 s[14:15], 0, v21
	v_mov_b32_e32 v16, v22
	v_mov_b32_e32 v5, v23
	s_and_b64 s[24:25], vcc, s[14:15]
	ds_write2_b32 v9, v6, v6 offset0:1 offset1:2
	ds_write2_b32 v9, v6, v6 offset0:3 offset1:4
	s_waitcnt lgkmcnt(0)
	; wave barrier
	; wave barrier
	s_and_saveexec_b64 s[14:15], s[24:25]
; %bb.5:                                ;   in Loop: Header=BB195_4 Depth=2
	v_bcnt_u32_b32 v1, v1, 0
	v_bcnt_u32_b32 v1, v2, v1
	ds_write_b32 v20, v1 offset:4
; %bb.6:                                ;   in Loop: Header=BB195_4 Depth=2
	s_or_b64 exec, exec, s[14:15]
	v_lshrrev_b32_e32 v1, v17, v18
	v_and_b32_e32 v2, 0xff, v1
	v_lshl_add_u32 v23, v2, 2, v13
	v_and_b32_e32 v2, 1, v1
	v_add_co_u32_e32 v3, vcc, -1, v2
	v_addc_co_u32_e64 v4, s[14:15], 0, -1, vcc
	v_cmp_ne_u32_e32 vcc, 0, v2
	v_lshlrev_b32_e32 v7, 30, v1
	v_xor_b32_e32 v2, vcc_hi, v4
	v_xor_b32_e32 v3, vcc_lo, v3
	v_cmp_gt_i64_e32 vcc, 0, v[6:7]
	v_not_b32_e32 v4, v7
	v_ashrrev_i32_e32 v4, 31, v4
	v_and_b32_e32 v2, exec_hi, v2
	v_xor_b32_e32 v7, vcc_hi, v4
	v_and_b32_e32 v3, exec_lo, v3
	v_xor_b32_e32 v4, vcc_lo, v4
	v_and_b32_e32 v2, v2, v7
	v_lshlrev_b32_e32 v7, 29, v1
	v_and_b32_e32 v3, v3, v4
	v_cmp_gt_i64_e32 vcc, 0, v[6:7]
	v_not_b32_e32 v4, v7
	v_ashrrev_i32_e32 v4, 31, v4
	v_xor_b32_e32 v7, vcc_hi, v4
	v_xor_b32_e32 v4, vcc_lo, v4
	v_and_b32_e32 v2, v2, v7
	v_lshlrev_b32_e32 v7, 28, v1
	v_and_b32_e32 v3, v3, v4
	v_cmp_gt_i64_e32 vcc, 0, v[6:7]
	v_not_b32_e32 v4, v7
	v_ashrrev_i32_e32 v4, 31, v4
	v_xor_b32_e32 v7, vcc_hi, v4
	v_xor_b32_e32 v4, vcc_lo, v4
	v_and_b32_e32 v2, v2, v7
	v_lshlrev_b32_e32 v7, 27, v1
	v_and_b32_e32 v3, v3, v4
	v_cmp_gt_i64_e32 vcc, 0, v[6:7]
	v_not_b32_e32 v4, v7
	v_ashrrev_i32_e32 v4, 31, v4
	v_xor_b32_e32 v7, vcc_hi, v4
	v_xor_b32_e32 v4, vcc_lo, v4
	v_and_b32_e32 v2, v2, v7
	v_lshlrev_b32_e32 v7, 26, v1
	v_and_b32_e32 v3, v3, v4
	v_cmp_gt_i64_e32 vcc, 0, v[6:7]
	v_not_b32_e32 v4, v7
	v_ashrrev_i32_e32 v4, 31, v4
	v_xor_b32_e32 v7, vcc_hi, v4
	v_xor_b32_e32 v4, vcc_lo, v4
	v_and_b32_e32 v2, v2, v7
	v_lshlrev_b32_e32 v7, 25, v1
	v_and_b32_e32 v3, v3, v4
	v_cmp_gt_i64_e32 vcc, 0, v[6:7]
	v_not_b32_e32 v4, v7
	v_ashrrev_i32_e32 v4, 31, v4
	v_xor_b32_e32 v7, vcc_hi, v4
	v_and_b32_e32 v2, v2, v7
	v_lshlrev_b32_e32 v7, 24, v1
	v_xor_b32_e32 v4, vcc_lo, v4
	v_cmp_gt_i64_e32 vcc, 0, v[6:7]
	v_not_b32_e32 v1, v7
	v_ashrrev_i32_e32 v1, 31, v1
	v_and_b32_e32 v3, v3, v4
	v_xor_b32_e32 v4, vcc_hi, v1
	v_xor_b32_e32 v1, vcc_lo, v1
	; wave barrier
	ds_read_b32 v22, v23 offset:4
	v_and_b32_e32 v1, v3, v1
	v_and_b32_e32 v2, v2, v4
	v_mbcnt_lo_u32_b32 v3, v1, 0
	v_mbcnt_hi_u32_b32 v24, v2, v3
	v_cmp_ne_u64_e32 vcc, 0, v[1:2]
	v_cmp_eq_u32_e64 s[14:15], 0, v24
	s_and_b64 s[24:25], vcc, s[14:15]
	; wave barrier
	s_and_saveexec_b64 s[14:15], s[24:25]
	s_cbranch_execz .LBB195_8
; %bb.7:                                ;   in Loop: Header=BB195_4 Depth=2
	v_bcnt_u32_b32 v1, v1, 0
	v_bcnt_u32_b32 v1, v2, v1
	s_waitcnt lgkmcnt(0)
	v_add_u32_e32 v1, v22, v1
	ds_write_b32 v23, v1 offset:4
.LBB195_8:                              ;   in Loop: Header=BB195_4 Depth=2
	s_or_b64 exec, exec, s[14:15]
	v_lshrrev_b32_e32 v1, v17, v16
	v_and_b32_e32 v2, 0xff, v1
	v_lshl_add_u32 v26, v2, 2, v13
	v_and_b32_e32 v2, 1, v1
	v_add_co_u32_e32 v3, vcc, -1, v2
	v_addc_co_u32_e64 v4, s[14:15], 0, -1, vcc
	v_cmp_ne_u32_e32 vcc, 0, v2
	v_lshlrev_b32_e32 v7, 30, v1
	v_xor_b32_e32 v2, vcc_hi, v4
	v_xor_b32_e32 v3, vcc_lo, v3
	v_cmp_gt_i64_e32 vcc, 0, v[6:7]
	v_not_b32_e32 v4, v7
	v_ashrrev_i32_e32 v4, 31, v4
	v_and_b32_e32 v2, exec_hi, v2
	v_xor_b32_e32 v7, vcc_hi, v4
	v_and_b32_e32 v3, exec_lo, v3
	v_xor_b32_e32 v4, vcc_lo, v4
	v_and_b32_e32 v2, v2, v7
	v_lshlrev_b32_e32 v7, 29, v1
	v_and_b32_e32 v3, v3, v4
	v_cmp_gt_i64_e32 vcc, 0, v[6:7]
	v_not_b32_e32 v4, v7
	v_ashrrev_i32_e32 v4, 31, v4
	v_xor_b32_e32 v7, vcc_hi, v4
	v_xor_b32_e32 v4, vcc_lo, v4
	v_and_b32_e32 v2, v2, v7
	v_lshlrev_b32_e32 v7, 28, v1
	v_and_b32_e32 v3, v3, v4
	v_cmp_gt_i64_e32 vcc, 0, v[6:7]
	v_not_b32_e32 v4, v7
	v_ashrrev_i32_e32 v4, 31, v4
	v_xor_b32_e32 v7, vcc_hi, v4
	;; [unrolled: 8-line block ×5, first 2 shown]
	v_and_b32_e32 v2, v2, v7
	v_lshlrev_b32_e32 v7, 24, v1
	v_xor_b32_e32 v4, vcc_lo, v4
	v_cmp_gt_i64_e32 vcc, 0, v[6:7]
	v_not_b32_e32 v1, v7
	v_ashrrev_i32_e32 v1, 31, v1
	v_and_b32_e32 v3, v3, v4
	v_xor_b32_e32 v4, vcc_hi, v1
	v_xor_b32_e32 v1, vcc_lo, v1
	; wave barrier
	ds_read_b32 v25, v26 offset:4
	v_and_b32_e32 v1, v3, v1
	v_and_b32_e32 v2, v2, v4
	v_mbcnt_lo_u32_b32 v3, v1, 0
	v_mbcnt_hi_u32_b32 v7, v2, v3
	v_cmp_ne_u64_e32 vcc, 0, v[1:2]
	v_cmp_eq_u32_e64 s[14:15], 0, v7
	s_and_b64 s[24:25], vcc, s[14:15]
	; wave barrier
	s_and_saveexec_b64 s[14:15], s[24:25]
	s_cbranch_execz .LBB195_10
; %bb.9:                                ;   in Loop: Header=BB195_4 Depth=2
	v_bcnt_u32_b32 v1, v1, 0
	v_bcnt_u32_b32 v1, v2, v1
	s_waitcnt lgkmcnt(0)
	v_add_u32_e32 v1, v25, v1
	ds_write_b32 v26, v1 offset:4
.LBB195_10:                             ;   in Loop: Header=BB195_4 Depth=2
	s_or_b64 exec, exec, s[14:15]
	; wave barrier
	s_waitcnt lgkmcnt(0)
	; wave barrier
	ds_read2_b32 v[3:4], v9 offset0:1 offset1:2
	ds_read2_b32 v[1:2], v9 offset0:3 offset1:4
	s_waitcnt lgkmcnt(1)
	v_add_u32_e32 v27, v4, v3
	s_waitcnt lgkmcnt(0)
	v_add3_u32 v2, v27, v1, v2
	s_nop 1
	v_mov_b32_dpp v27, v2 row_shr:1 row_mask:0xf bank_mask:0xf
	v_cndmask_b32_e64 v27, v27, 0, s[4:5]
	v_add_u32_e32 v2, v27, v2
	s_nop 1
	v_mov_b32_dpp v27, v2 row_shr:2 row_mask:0xf bank_mask:0xf
	v_cndmask_b32_e64 v27, 0, v27, s[6:7]
	v_add_u32_e32 v2, v2, v27
	;; [unrolled: 4-line block ×4, first 2 shown]
	s_nop 1
	v_mov_b32_dpp v27, v2 row_bcast:15 row_mask:0xf bank_mask:0xf
	v_cndmask_b32_e64 v27, v27, 0, s[12:13]
	v_add_u32_e32 v2, v2, v27
	s_nop 1
	v_mov_b32_dpp v27, v2 row_bcast:31 row_mask:0xf bank_mask:0xf
	v_cndmask_b32_e64 v27, 0, v27, s[2:3]
	v_add_u32_e32 v2, v2, v27
	s_and_saveexec_b64 s[14:15], s[0:1]
; %bb.11:                               ;   in Loop: Header=BB195_4 Depth=2
	ds_write_b32 v6, v2
; %bb.12:                               ;   in Loop: Header=BB195_4 Depth=2
	s_or_b64 exec, exec, s[14:15]
	ds_bpermute_b32 v2, v12, v2
	s_waitcnt lgkmcnt(0)
	; wave barrier
	v_cmp_lt_u32_e32 vcc, 23, v17
	s_and_b64 vcc, exec, vcc
	v_cndmask_b32_e64 v2, v2, 0, s[16:17]
	v_add_u32_e32 v3, v2, v3
	v_add_u32_e32 v4, v3, v4
	;; [unrolled: 1-line block ×3, first 2 shown]
	ds_write2_b32 v9, v2, v3 offset0:1 offset1:2
	ds_write2_b32 v9, v4, v1 offset0:3 offset1:4
	s_waitcnt lgkmcnt(0)
	; wave barrier
	ds_read_b32 v1, v20 offset:4
	ds_read_b32 v2, v23 offset:4
	;; [unrolled: 1-line block ×3, first 2 shown]
	s_mov_b64 s[14:15], -1
                                        ; implicit-def: $vgpr23
	s_waitcnt lgkmcnt(2)
	v_add_u32_e32 v21, v1, v21
	s_waitcnt lgkmcnt(1)
	v_add3_u32 v20, v24, v22, v2
	s_waitcnt lgkmcnt(0)
	v_add3_u32 v7, v7, v25, v3
                                        ; implicit-def: $vgpr22
                                        ; implicit-def: $vgpr2
                                        ; implicit-def: $vgpr4
	s_cbranch_vccnz .LBB195_3
; %bb.13:                               ;   in Loop: Header=BB195_4 Depth=2
	v_lshlrev_b32_e32 v3, 2, v21
	v_lshlrev_b32_e32 v4, 2, v20
	;; [unrolled: 1-line block ×3, first 2 shown]
	; wave barrier
	ds_write_b32 v3, v19
	ds_write_b32 v4, v18
	;; [unrolled: 1-line block ×3, first 2 shown]
	s_waitcnt lgkmcnt(0)
	; wave barrier
	ds_read2st64_b32 v[1:2], v11 offset1:1
	ds_read_b32 v22, v11 offset:512
	s_waitcnt lgkmcnt(0)
	; wave barrier
	ds_write_b32 v3, v15
	ds_write_b32 v4, v8
	;; [unrolled: 1-line block ×3, first 2 shown]
	s_waitcnt lgkmcnt(0)
	; wave barrier
	ds_read2st64_b32 v[3:4], v11 offset1:1
	ds_read_b32 v23, v11 offset:512
	v_add_u32_e32 v17, 8, v17
	s_mov_b64 s[14:15], 0
	s_waitcnt lgkmcnt(0)
	; wave barrier
	s_branch .LBB195_3
.LBB195_14:
	s_add_u32 s0, s18, s20
	s_waitcnt lgkmcnt(1)
	v_add_u32_e32 v1, v3, v7
	s_addc_u32 s1, s19, s21
	v_lshlrev_b32_e32 v0, 2, v0
	v_add_u32_e32 v2, v4, v8
	s_waitcnt lgkmcnt(0)
	v_add_u32_e32 v3, v5, v15
	global_store_dword v0, v1, s[0:1]
	global_store_dword v0, v2, s[0:1] offset:256
	global_store_dword v0, v3, s[0:1] offset:512
	s_endpgm
	.section	.rodata,"a",@progbits
	.p2align	6, 0x0
	.amdhsa_kernel _Z17sort_pairs_kernelI22helper_blocked_stripediLj64ELj3ELj10EEvPKT0_PS1_
		.amdhsa_group_segment_fixed_size 1040
		.amdhsa_private_segment_fixed_size 0
		.amdhsa_kernarg_size 272
		.amdhsa_user_sgpr_count 6
		.amdhsa_user_sgpr_private_segment_buffer 1
		.amdhsa_user_sgpr_dispatch_ptr 0
		.amdhsa_user_sgpr_queue_ptr 0
		.amdhsa_user_sgpr_kernarg_segment_ptr 1
		.amdhsa_user_sgpr_dispatch_id 0
		.amdhsa_user_sgpr_flat_scratch_init 0
		.amdhsa_user_sgpr_private_segment_size 0
		.amdhsa_uses_dynamic_stack 0
		.amdhsa_system_sgpr_private_segment_wavefront_offset 0
		.amdhsa_system_sgpr_workgroup_id_x 1
		.amdhsa_system_sgpr_workgroup_id_y 0
		.amdhsa_system_sgpr_workgroup_id_z 0
		.amdhsa_system_sgpr_workgroup_info 0
		.amdhsa_system_vgpr_workitem_id 2
		.amdhsa_next_free_vgpr 28
		.amdhsa_next_free_sgpr 26
		.amdhsa_reserve_vcc 1
		.amdhsa_reserve_flat_scratch 0
		.amdhsa_float_round_mode_32 0
		.amdhsa_float_round_mode_16_64 0
		.amdhsa_float_denorm_mode_32 3
		.amdhsa_float_denorm_mode_16_64 3
		.amdhsa_dx10_clamp 1
		.amdhsa_ieee_mode 1
		.amdhsa_fp16_overflow 0
		.amdhsa_exception_fp_ieee_invalid_op 0
		.amdhsa_exception_fp_denorm_src 0
		.amdhsa_exception_fp_ieee_div_zero 0
		.amdhsa_exception_fp_ieee_overflow 0
		.amdhsa_exception_fp_ieee_underflow 0
		.amdhsa_exception_fp_ieee_inexact 0
		.amdhsa_exception_int_div_zero 0
	.end_amdhsa_kernel
	.section	.text._Z17sort_pairs_kernelI22helper_blocked_stripediLj64ELj3ELj10EEvPKT0_PS1_,"axG",@progbits,_Z17sort_pairs_kernelI22helper_blocked_stripediLj64ELj3ELj10EEvPKT0_PS1_,comdat
.Lfunc_end195:
	.size	_Z17sort_pairs_kernelI22helper_blocked_stripediLj64ELj3ELj10EEvPKT0_PS1_, .Lfunc_end195-_Z17sort_pairs_kernelI22helper_blocked_stripediLj64ELj3ELj10EEvPKT0_PS1_
                                        ; -- End function
	.set _Z17sort_pairs_kernelI22helper_blocked_stripediLj64ELj3ELj10EEvPKT0_PS1_.num_vgpr, 28
	.set _Z17sort_pairs_kernelI22helper_blocked_stripediLj64ELj3ELj10EEvPKT0_PS1_.num_agpr, 0
	.set _Z17sort_pairs_kernelI22helper_blocked_stripediLj64ELj3ELj10EEvPKT0_PS1_.numbered_sgpr, 26
	.set _Z17sort_pairs_kernelI22helper_blocked_stripediLj64ELj3ELj10EEvPKT0_PS1_.num_named_barrier, 0
	.set _Z17sort_pairs_kernelI22helper_blocked_stripediLj64ELj3ELj10EEvPKT0_PS1_.private_seg_size, 0
	.set _Z17sort_pairs_kernelI22helper_blocked_stripediLj64ELj3ELj10EEvPKT0_PS1_.uses_vcc, 1
	.set _Z17sort_pairs_kernelI22helper_blocked_stripediLj64ELj3ELj10EEvPKT0_PS1_.uses_flat_scratch, 0
	.set _Z17sort_pairs_kernelI22helper_blocked_stripediLj64ELj3ELj10EEvPKT0_PS1_.has_dyn_sized_stack, 0
	.set _Z17sort_pairs_kernelI22helper_blocked_stripediLj64ELj3ELj10EEvPKT0_PS1_.has_recursion, 0
	.set _Z17sort_pairs_kernelI22helper_blocked_stripediLj64ELj3ELj10EEvPKT0_PS1_.has_indirect_call, 0
	.section	.AMDGPU.csdata,"",@progbits
; Kernel info:
; codeLenInByte = 2140
; TotalNumSgprs: 30
; NumVgprs: 28
; ScratchSize: 0
; MemoryBound: 0
; FloatMode: 240
; IeeeMode: 1
; LDSByteSize: 1040 bytes/workgroup (compile time only)
; SGPRBlocks: 3
; VGPRBlocks: 6
; NumSGPRsForWavesPerEU: 30
; NumVGPRsForWavesPerEU: 28
; Occupancy: 9
; WaveLimiterHint : 1
; COMPUTE_PGM_RSRC2:SCRATCH_EN: 0
; COMPUTE_PGM_RSRC2:USER_SGPR: 6
; COMPUTE_PGM_RSRC2:TRAP_HANDLER: 0
; COMPUTE_PGM_RSRC2:TGID_X_EN: 1
; COMPUTE_PGM_RSRC2:TGID_Y_EN: 0
; COMPUTE_PGM_RSRC2:TGID_Z_EN: 0
; COMPUTE_PGM_RSRC2:TIDIG_COMP_CNT: 2
	.section	.text._Z16sort_keys_kernelI22helper_blocked_stripediLj64ELj4ELj10EEvPKT0_PS1_,"axG",@progbits,_Z16sort_keys_kernelI22helper_blocked_stripediLj64ELj4ELj10EEvPKT0_PS1_,comdat
	.protected	_Z16sort_keys_kernelI22helper_blocked_stripediLj64ELj4ELj10EEvPKT0_PS1_ ; -- Begin function _Z16sort_keys_kernelI22helper_blocked_stripediLj64ELj4ELj10EEvPKT0_PS1_
	.globl	_Z16sort_keys_kernelI22helper_blocked_stripediLj64ELj4ELj10EEvPKT0_PS1_
	.p2align	8
	.type	_Z16sort_keys_kernelI22helper_blocked_stripediLj64ELj4ELj10EEvPKT0_PS1_,@function
_Z16sort_keys_kernelI22helper_blocked_stripediLj64ELj4ELj10EEvPKT0_PS1_: ; @_Z16sort_keys_kernelI22helper_blocked_stripediLj64ELj4ELj10EEvPKT0_PS1_
; %bb.0:
	s_load_dwordx4 s[24:27], s[4:5], 0x0
	s_load_dword s8, s[4:5], 0x1c
	s_lshl_b32 s28, s6, 8
	s_mov_b32 s29, 0
	s_lshl_b64 s[30:31], s[28:29], 2
	s_waitcnt lgkmcnt(0)
	s_add_u32 s0, s24, s30
	s_addc_u32 s1, s25, s31
	v_lshlrev_b32_e32 v7, 4, v0
	global_load_dwordx4 v[3:6], v7, s[0:1]
	v_mbcnt_lo_u32_b32 v8, -1, 0
	v_mbcnt_hi_u32_b32 v13, -1, v8
	s_lshr_b32 s9, s8, 16
	s_and_b32 s8, s8, 0xffff
	v_mad_u32_u24 v1, v2, s9, v1
	v_and_b32_e32 v2, 15, v13
	v_mad_u32_u24 v1, v1, s8, v0
	v_cmp_eq_u32_e64 s[8:9], 0, v2
	v_cmp_lt_u32_e64 s[10:11], 1, v2
	v_cmp_lt_u32_e64 s[12:13], 3, v2
	;; [unrolled: 1-line block ×3, first 2 shown]
	v_and_b32_e32 v2, 16, v13
	v_and_b32_e32 v12, 64, v13
	v_cmp_eq_u32_e64 s[16:17], 0, v2
	v_subrev_co_u32_e32 v2, vcc, 1, v13
	v_lshrrev_b32_e32 v11, 2, v13
	v_and_b32_e32 v8, 3, v13
	v_cmp_lt_i32_e64 s[22:23], v2, v12
	v_cmp_eq_u32_e64 s[0:1], 3, v8
	v_cmp_eq_u32_e64 s[2:3], 2, v8
	;; [unrolled: 1-line block ×4, first 2 shown]
	v_or_b32_e32 v8, v11, v12
	v_add_u32_e32 v11, 48, v11
	v_cndmask_b32_e64 v2, v2, v13, s[22:23]
	v_lshlrev_b32_e32 v8, 2, v8
	v_and_or_b32 v11, v11, 63, v12
	v_lshlrev_b32_e32 v12, 2, v2
	v_cmp_eq_u32_e64 s[22:23], 0, v0
	v_lshrrev_b32_e32 v1, 4, v1
	v_mul_i32_i24_e32 v2, -12, v0
	v_add_u32_e32 v9, 64, v8
	v_or_b32_e32 v10, 0x80, v8
	v_lshlrev_b32_e32 v11, 2, v11
	v_cmp_lt_u32_e64 s[18:19], 31, v13
	v_cmp_eq_u32_e64 s[20:21], 63, v0
	s_or_b64 s[24:25], s[22:23], vcc
	v_lshlrev_b32_e32 v13, 2, v13
	v_and_b32_e32 v14, 0xffffffc, v1
	v_mov_b32_e32 v1, 0
	v_add_u32_e32 v15, v7, v2
	s_branch .LBB196_2
.LBB196_1:                              ;   in Loop: Header=BB196_2 Depth=1
	v_lshlrev_b32_e32 v2, 2, v23
	; wave barrier
	ds_write_b32 v2, v19
	v_lshlrev_b32_e32 v2, 2, v22
	ds_write_b32 v2, v18
	v_lshlrev_b32_e32 v2, 2, v21
	;; [unrolled: 2-line block ×3, first 2 shown]
	ds_write_b32 v2, v6
	s_waitcnt lgkmcnt(0)
	; wave barrier
	ds_read2st64_b32 v[3:4], v15 offset1:1
	ds_read2st64_b32 v[5:6], v15 offset0:2 offset1:3
	s_add_i32 s29, s29, 1
	s_cmp_eq_u32 s29, 10
	s_waitcnt lgkmcnt(1)
	v_xor_b32_e32 v3, 0x80000000, v3
	v_xor_b32_e32 v4, 0x80000000, v4
	s_waitcnt lgkmcnt(0)
	v_xor_b32_e32 v5, 0x80000000, v5
	v_xor_b32_e32 v6, 0x80000000, v6
	s_cbranch_scc1 .LBB196_16
.LBB196_2:                              ; =>This Loop Header: Depth=1
                                        ;     Child Loop BB196_4 Depth 2
	s_waitcnt vmcnt(0)
	v_xor_b32_e32 v16, 0x80000000, v3
	ds_bpermute_b32 v2, v8, v16
	v_xor_b32_e32 v4, 0x80000000, v4
	v_xor_b32_e32 v5, 0x80000000, v5
	ds_bpermute_b32 v3, v8, v4
	ds_bpermute_b32 v17, v8, v5
	;; [unrolled: 1-line block ×3, first 2 shown]
	v_xor_b32_e32 v6, 0x80000000, v6
	ds_bpermute_b32 v18, v8, v6
	s_waitcnt lgkmcnt(4)
	v_cndmask_b32_e64 v2, 0, v2, s[6:7]
	ds_bpermute_b32 v20, v9, v4
	s_waitcnt lgkmcnt(4)
	v_cndmask_b32_e64 v2, v2, v3, s[4:5]
	s_waitcnt lgkmcnt(3)
	v_cndmask_b32_e64 v2, v2, v17, s[2:3]
	;; [unrolled: 2-line block ×3, first 2 shown]
	ds_bpermute_b32 v17, v9, v5
	ds_bpermute_b32 v19, v10, v16
	s_waitcnt lgkmcnt(3)
	v_cndmask_b32_e64 v2, v2, v18, s[0:1]
	ds_bpermute_b32 v18, v9, v6
	s_waitcnt lgkmcnt(3)
	v_cndmask_b32_e64 v3, v3, v20, s[4:5]
	ds_bpermute_b32 v16, v11, v16
	ds_bpermute_b32 v20, v10, v4
	s_waitcnt lgkmcnt(4)
	v_cndmask_b32_e64 v3, v3, v17, s[2:3]
	s_waitcnt lgkmcnt(3)
	v_cndmask_b32_e64 v17, 0, v19, s[6:7]
	ds_bpermute_b32 v19, v11, v4
	ds_bpermute_b32 v21, v10, v5
	ds_bpermute_b32 v5, v11, v5
	s_waitcnt lgkmcnt(5)
	v_cndmask_b32_e64 v3, v3, v18, s[0:1]
	ds_bpermute_b32 v18, v10, v6
	ds_bpermute_b32 v6, v11, v6
	s_waitcnt lgkmcnt(6)
	v_cndmask_b32_e64 v16, 0, v16, s[6:7]
	s_waitcnt lgkmcnt(5)
	v_cndmask_b32_e64 v17, v17, v20, s[4:5]
	;; [unrolled: 2-line block ×7, first 2 shown]
	v_mov_b32_e32 v17, v1
	; wave barrier
	s_branch .LBB196_4
.LBB196_3:                              ;   in Loop: Header=BB196_4 Depth=2
	s_andn2_b64 vcc, exec, s[22:23]
	s_cbranch_vccz .LBB196_1
.LBB196_4:                              ;   Parent Loop BB196_2 Depth=1
                                        ; =>  This Inner Loop Header: Depth=2
	v_mov_b32_e32 v19, v2
	v_mov_b32_e32 v18, v3
	v_lshrrev_b32_e32 v3, v17, v19
	v_and_b32_e32 v2, 0xff, v3
	v_lshl_add_u32 v20, v2, 2, v14
	v_and_b32_e32 v2, 1, v3
	v_mov_b32_e32 v16, v4
	v_add_co_u32_e32 v4, vcc, -1, v2
	v_mov_b32_e32 v6, v5
	v_addc_co_u32_e64 v5, s[22:23], 0, -1, vcc
	v_cmp_ne_u32_e32 vcc, 0, v2
	v_xor_b32_e32 v2, vcc_hi, v5
	v_and_b32_e32 v5, exec_hi, v2
	v_lshlrev_b32_e32 v2, 30, v3
	v_xor_b32_e32 v4, vcc_lo, v4
	v_cmp_gt_i64_e32 vcc, 0, v[1:2]
	v_not_b32_e32 v2, v2
	v_ashrrev_i32_e32 v2, 31, v2
	v_and_b32_e32 v4, exec_lo, v4
	v_xor_b32_e32 v21, vcc_hi, v2
	v_xor_b32_e32 v2, vcc_lo, v2
	v_and_b32_e32 v4, v4, v2
	v_lshlrev_b32_e32 v2, 29, v3
	v_cmp_gt_i64_e32 vcc, 0, v[1:2]
	v_not_b32_e32 v2, v2
	v_ashrrev_i32_e32 v2, 31, v2
	v_and_b32_e32 v5, v5, v21
	v_xor_b32_e32 v21, vcc_hi, v2
	v_xor_b32_e32 v2, vcc_lo, v2
	v_and_b32_e32 v4, v4, v2
	v_lshlrev_b32_e32 v2, 28, v3
	v_cmp_gt_i64_e32 vcc, 0, v[1:2]
	v_not_b32_e32 v2, v2
	v_ashrrev_i32_e32 v2, 31, v2
	v_and_b32_e32 v5, v5, v21
	;; [unrolled: 8-line block ×5, first 2 shown]
	v_xor_b32_e32 v21, vcc_hi, v2
	v_xor_b32_e32 v2, vcc_lo, v2
	v_and_b32_e32 v4, v4, v2
	v_lshlrev_b32_e32 v2, 24, v3
	v_cmp_gt_i64_e32 vcc, 0, v[1:2]
	v_not_b32_e32 v2, v2
	v_ashrrev_i32_e32 v2, 31, v2
	v_xor_b32_e32 v3, vcc_hi, v2
	v_xor_b32_e32 v2, vcc_lo, v2
	v_and_b32_e32 v5, v5, v21
	v_and_b32_e32 v2, v4, v2
	;; [unrolled: 1-line block ×3, first 2 shown]
	v_mbcnt_lo_u32_b32 v4, v2, 0
	v_mbcnt_hi_u32_b32 v21, v3, v4
	v_cmp_ne_u64_e32 vcc, 0, v[2:3]
	v_cmp_eq_u32_e64 s[22:23], 0, v21
	s_and_b64 s[34:35], vcc, s[22:23]
	ds_write2_b32 v7, v1, v1 offset0:1 offset1:2
	ds_write2_b32 v7, v1, v1 offset0:3 offset1:4
	s_waitcnt lgkmcnt(0)
	; wave barrier
	; wave barrier
	s_and_saveexec_b64 s[22:23], s[34:35]
; %bb.5:                                ;   in Loop: Header=BB196_4 Depth=2
	v_bcnt_u32_b32 v2, v2, 0
	v_bcnt_u32_b32 v2, v3, v2
	ds_write_b32 v20, v2 offset:4
; %bb.6:                                ;   in Loop: Header=BB196_4 Depth=2
	s_or_b64 exec, exec, s[22:23]
	v_lshrrev_b32_e32 v3, v17, v18
	v_and_b32_e32 v2, 0xff, v3
	v_lshl_add_u32 v23, v2, 2, v14
	v_and_b32_e32 v2, 1, v3
	v_add_co_u32_e32 v4, vcc, -1, v2
	v_addc_co_u32_e64 v5, s[22:23], 0, -1, vcc
	v_cmp_ne_u32_e32 vcc, 0, v2
	v_xor_b32_e32 v2, vcc_hi, v5
	v_and_b32_e32 v5, exec_hi, v2
	v_lshlrev_b32_e32 v2, 30, v3
	v_xor_b32_e32 v4, vcc_lo, v4
	v_cmp_gt_i64_e32 vcc, 0, v[1:2]
	v_not_b32_e32 v2, v2
	v_ashrrev_i32_e32 v2, 31, v2
	v_and_b32_e32 v4, exec_lo, v4
	v_xor_b32_e32 v24, vcc_hi, v2
	v_xor_b32_e32 v2, vcc_lo, v2
	v_and_b32_e32 v4, v4, v2
	v_lshlrev_b32_e32 v2, 29, v3
	v_cmp_gt_i64_e32 vcc, 0, v[1:2]
	v_not_b32_e32 v2, v2
	v_ashrrev_i32_e32 v2, 31, v2
	v_and_b32_e32 v5, v5, v24
	v_xor_b32_e32 v24, vcc_hi, v2
	v_xor_b32_e32 v2, vcc_lo, v2
	v_and_b32_e32 v4, v4, v2
	v_lshlrev_b32_e32 v2, 28, v3
	v_cmp_gt_i64_e32 vcc, 0, v[1:2]
	v_not_b32_e32 v2, v2
	v_ashrrev_i32_e32 v2, 31, v2
	v_and_b32_e32 v5, v5, v24
	;; [unrolled: 8-line block ×5, first 2 shown]
	v_xor_b32_e32 v24, vcc_hi, v2
	v_xor_b32_e32 v2, vcc_lo, v2
	v_and_b32_e32 v4, v4, v2
	v_lshlrev_b32_e32 v2, 24, v3
	v_cmp_gt_i64_e32 vcc, 0, v[1:2]
	v_not_b32_e32 v2, v2
	v_ashrrev_i32_e32 v2, 31, v2
	v_xor_b32_e32 v3, vcc_hi, v2
	v_xor_b32_e32 v2, vcc_lo, v2
	; wave barrier
	ds_read_b32 v22, v23 offset:4
	v_and_b32_e32 v5, v5, v24
	v_and_b32_e32 v2, v4, v2
	;; [unrolled: 1-line block ×3, first 2 shown]
	v_mbcnt_lo_u32_b32 v4, v2, 0
	v_mbcnt_hi_u32_b32 v24, v3, v4
	v_cmp_ne_u64_e32 vcc, 0, v[2:3]
	v_cmp_eq_u32_e64 s[22:23], 0, v24
	s_and_b64 s[34:35], vcc, s[22:23]
	; wave barrier
	s_and_saveexec_b64 s[22:23], s[34:35]
	s_cbranch_execz .LBB196_8
; %bb.7:                                ;   in Loop: Header=BB196_4 Depth=2
	v_bcnt_u32_b32 v2, v2, 0
	v_bcnt_u32_b32 v2, v3, v2
	s_waitcnt lgkmcnt(0)
	v_add_u32_e32 v2, v22, v2
	ds_write_b32 v23, v2 offset:4
.LBB196_8:                              ;   in Loop: Header=BB196_4 Depth=2
	s_or_b64 exec, exec, s[22:23]
	v_lshrrev_b32_e32 v3, v17, v16
	v_and_b32_e32 v2, 0xff, v3
	v_lshl_add_u32 v26, v2, 2, v14
	v_and_b32_e32 v2, 1, v3
	v_add_co_u32_e32 v4, vcc, -1, v2
	v_addc_co_u32_e64 v5, s[22:23], 0, -1, vcc
	v_cmp_ne_u32_e32 vcc, 0, v2
	v_xor_b32_e32 v2, vcc_hi, v5
	v_and_b32_e32 v5, exec_hi, v2
	v_lshlrev_b32_e32 v2, 30, v3
	v_xor_b32_e32 v4, vcc_lo, v4
	v_cmp_gt_i64_e32 vcc, 0, v[1:2]
	v_not_b32_e32 v2, v2
	v_ashrrev_i32_e32 v2, 31, v2
	v_and_b32_e32 v4, exec_lo, v4
	v_xor_b32_e32 v27, vcc_hi, v2
	v_xor_b32_e32 v2, vcc_lo, v2
	v_and_b32_e32 v4, v4, v2
	v_lshlrev_b32_e32 v2, 29, v3
	v_cmp_gt_i64_e32 vcc, 0, v[1:2]
	v_not_b32_e32 v2, v2
	v_ashrrev_i32_e32 v2, 31, v2
	v_and_b32_e32 v5, v5, v27
	v_xor_b32_e32 v27, vcc_hi, v2
	v_xor_b32_e32 v2, vcc_lo, v2
	v_and_b32_e32 v4, v4, v2
	v_lshlrev_b32_e32 v2, 28, v3
	v_cmp_gt_i64_e32 vcc, 0, v[1:2]
	v_not_b32_e32 v2, v2
	v_ashrrev_i32_e32 v2, 31, v2
	v_and_b32_e32 v5, v5, v27
	;; [unrolled: 8-line block ×5, first 2 shown]
	v_xor_b32_e32 v27, vcc_hi, v2
	v_xor_b32_e32 v2, vcc_lo, v2
	v_and_b32_e32 v4, v4, v2
	v_lshlrev_b32_e32 v2, 24, v3
	v_cmp_gt_i64_e32 vcc, 0, v[1:2]
	v_not_b32_e32 v2, v2
	v_ashrrev_i32_e32 v2, 31, v2
	v_xor_b32_e32 v3, vcc_hi, v2
	v_xor_b32_e32 v2, vcc_lo, v2
	; wave barrier
	ds_read_b32 v25, v26 offset:4
	v_and_b32_e32 v5, v5, v27
	v_and_b32_e32 v2, v4, v2
	;; [unrolled: 1-line block ×3, first 2 shown]
	v_mbcnt_lo_u32_b32 v4, v2, 0
	v_mbcnt_hi_u32_b32 v27, v3, v4
	v_cmp_ne_u64_e32 vcc, 0, v[2:3]
	v_cmp_eq_u32_e64 s[22:23], 0, v27
	s_and_b64 s[34:35], vcc, s[22:23]
	; wave barrier
	s_and_saveexec_b64 s[22:23], s[34:35]
	s_cbranch_execz .LBB196_10
; %bb.9:                                ;   in Loop: Header=BB196_4 Depth=2
	v_bcnt_u32_b32 v2, v2, 0
	v_bcnt_u32_b32 v2, v3, v2
	s_waitcnt lgkmcnt(0)
	v_add_u32_e32 v2, v25, v2
	ds_write_b32 v26, v2 offset:4
.LBB196_10:                             ;   in Loop: Header=BB196_4 Depth=2
	s_or_b64 exec, exec, s[22:23]
	v_lshrrev_b32_e32 v3, v17, v6
	v_and_b32_e32 v2, 0xff, v3
	v_lshl_add_u32 v29, v2, 2, v14
	v_and_b32_e32 v2, 1, v3
	v_add_co_u32_e32 v4, vcc, -1, v2
	v_addc_co_u32_e64 v5, s[22:23], 0, -1, vcc
	v_cmp_ne_u32_e32 vcc, 0, v2
	v_xor_b32_e32 v2, vcc_hi, v5
	v_and_b32_e32 v5, exec_hi, v2
	v_lshlrev_b32_e32 v2, 30, v3
	v_xor_b32_e32 v4, vcc_lo, v4
	v_cmp_gt_i64_e32 vcc, 0, v[1:2]
	v_not_b32_e32 v2, v2
	v_ashrrev_i32_e32 v2, 31, v2
	v_and_b32_e32 v4, exec_lo, v4
	v_xor_b32_e32 v30, vcc_hi, v2
	v_xor_b32_e32 v2, vcc_lo, v2
	v_and_b32_e32 v4, v4, v2
	v_lshlrev_b32_e32 v2, 29, v3
	v_cmp_gt_i64_e32 vcc, 0, v[1:2]
	v_not_b32_e32 v2, v2
	v_ashrrev_i32_e32 v2, 31, v2
	v_and_b32_e32 v5, v5, v30
	v_xor_b32_e32 v30, vcc_hi, v2
	v_xor_b32_e32 v2, vcc_lo, v2
	v_and_b32_e32 v4, v4, v2
	v_lshlrev_b32_e32 v2, 28, v3
	v_cmp_gt_i64_e32 vcc, 0, v[1:2]
	v_not_b32_e32 v2, v2
	v_ashrrev_i32_e32 v2, 31, v2
	v_and_b32_e32 v5, v5, v30
	;; [unrolled: 8-line block ×5, first 2 shown]
	v_xor_b32_e32 v30, vcc_hi, v2
	v_xor_b32_e32 v2, vcc_lo, v2
	v_and_b32_e32 v4, v4, v2
	v_lshlrev_b32_e32 v2, 24, v3
	v_cmp_gt_i64_e32 vcc, 0, v[1:2]
	v_not_b32_e32 v2, v2
	v_ashrrev_i32_e32 v2, 31, v2
	v_xor_b32_e32 v3, vcc_hi, v2
	v_xor_b32_e32 v2, vcc_lo, v2
	; wave barrier
	ds_read_b32 v28, v29 offset:4
	v_and_b32_e32 v5, v5, v30
	v_and_b32_e32 v2, v4, v2
	;; [unrolled: 1-line block ×3, first 2 shown]
	v_mbcnt_lo_u32_b32 v4, v2, 0
	v_mbcnt_hi_u32_b32 v30, v3, v4
	v_cmp_ne_u64_e32 vcc, 0, v[2:3]
	v_cmp_eq_u32_e64 s[22:23], 0, v30
	s_and_b64 s[34:35], vcc, s[22:23]
	; wave barrier
	s_and_saveexec_b64 s[22:23], s[34:35]
	s_cbranch_execz .LBB196_12
; %bb.11:                               ;   in Loop: Header=BB196_4 Depth=2
	v_bcnt_u32_b32 v2, v2, 0
	v_bcnt_u32_b32 v2, v3, v2
	s_waitcnt lgkmcnt(0)
	v_add_u32_e32 v2, v28, v2
	ds_write_b32 v29, v2 offset:4
.LBB196_12:                             ;   in Loop: Header=BB196_4 Depth=2
	s_or_b64 exec, exec, s[22:23]
	; wave barrier
	s_waitcnt lgkmcnt(0)
	; wave barrier
	ds_read2_b32 v[4:5], v7 offset0:1 offset1:2
	ds_read2_b32 v[2:3], v7 offset0:3 offset1:4
	s_waitcnt lgkmcnt(1)
	v_add_u32_e32 v31, v5, v4
	s_waitcnt lgkmcnt(0)
	v_add3_u32 v3, v31, v2, v3
	s_nop 1
	v_mov_b32_dpp v31, v3 row_shr:1 row_mask:0xf bank_mask:0xf
	v_cndmask_b32_e64 v31, v31, 0, s[8:9]
	v_add_u32_e32 v3, v31, v3
	s_nop 1
	v_mov_b32_dpp v31, v3 row_shr:2 row_mask:0xf bank_mask:0xf
	v_cndmask_b32_e64 v31, 0, v31, s[10:11]
	v_add_u32_e32 v3, v3, v31
	;; [unrolled: 4-line block ×4, first 2 shown]
	s_nop 1
	v_mov_b32_dpp v31, v3 row_bcast:15 row_mask:0xf bank_mask:0xf
	v_cndmask_b32_e64 v31, v31, 0, s[16:17]
	v_add_u32_e32 v3, v3, v31
	s_nop 1
	v_mov_b32_dpp v31, v3 row_bcast:31 row_mask:0xf bank_mask:0xf
	v_cndmask_b32_e64 v31, 0, v31, s[18:19]
	v_add_u32_e32 v3, v3, v31
	s_and_saveexec_b64 s[22:23], s[20:21]
; %bb.13:                               ;   in Loop: Header=BB196_4 Depth=2
	ds_write_b32 v1, v3
; %bb.14:                               ;   in Loop: Header=BB196_4 Depth=2
	s_or_b64 exec, exec, s[22:23]
	ds_bpermute_b32 v3, v12, v3
	s_waitcnt lgkmcnt(0)
	; wave barrier
	v_cmp_lt_u32_e32 vcc, 23, v17
	s_and_b64 vcc, exec, vcc
	v_cndmask_b32_e64 v3, v3, 0, s[24:25]
	v_add_u32_e32 v4, v3, v4
	v_add_u32_e32 v5, v4, v5
	;; [unrolled: 1-line block ×3, first 2 shown]
	ds_write2_b32 v7, v3, v4 offset0:1 offset1:2
	ds_write2_b32 v7, v5, v2 offset0:3 offset1:4
	s_waitcnt lgkmcnt(0)
	; wave barrier
	ds_read_b32 v2, v20 offset:4
	ds_read_b32 v3, v23 offset:4
	;; [unrolled: 1-line block ×4, first 2 shown]
	s_mov_b64 s[22:23], -1
	s_waitcnt lgkmcnt(3)
	v_add_u32_e32 v23, v2, v21
	s_waitcnt lgkmcnt(2)
	v_add3_u32 v22, v24, v22, v3
	s_waitcnt lgkmcnt(1)
	v_add3_u32 v21, v27, v25, v4
	;; [unrolled: 2-line block ×3, first 2 shown]
                                        ; implicit-def: $vgpr5
                                        ; implicit-def: $vgpr3
	s_cbranch_vccnz .LBB196_3
; %bb.15:                               ;   in Loop: Header=BB196_4 Depth=2
	v_lshlrev_b32_e32 v2, 2, v23
	; wave barrier
	ds_write_b32 v2, v19
	v_lshlrev_b32_e32 v2, 2, v22
	ds_write_b32 v2, v18
	v_lshlrev_b32_e32 v2, 2, v21
	;; [unrolled: 2-line block ×3, first 2 shown]
	ds_write_b32 v2, v6
	s_waitcnt lgkmcnt(0)
	; wave barrier
	ds_read2st64_b32 v[2:3], v13 offset1:1
	ds_read2st64_b32 v[4:5], v13 offset0:2 offset1:3
	v_add_u32_e32 v17, 8, v17
	s_mov_b64 s[22:23], 0
	s_waitcnt lgkmcnt(0)
	; wave barrier
	s_branch .LBB196_3
.LBB196_16:
	s_add_u32 s0, s26, s30
	s_addc_u32 s1, s27, s31
	v_lshlrev_b32_e32 v0, 2, v0
	global_store_dword v0, v3, s[0:1]
	global_store_dword v0, v4, s[0:1] offset:256
	global_store_dword v0, v5, s[0:1] offset:512
	;; [unrolled: 1-line block ×3, first 2 shown]
	s_endpgm
	.section	.rodata,"a",@progbits
	.p2align	6, 0x0
	.amdhsa_kernel _Z16sort_keys_kernelI22helper_blocked_stripediLj64ELj4ELj10EEvPKT0_PS1_
		.amdhsa_group_segment_fixed_size 1040
		.amdhsa_private_segment_fixed_size 0
		.amdhsa_kernarg_size 272
		.amdhsa_user_sgpr_count 6
		.amdhsa_user_sgpr_private_segment_buffer 1
		.amdhsa_user_sgpr_dispatch_ptr 0
		.amdhsa_user_sgpr_queue_ptr 0
		.amdhsa_user_sgpr_kernarg_segment_ptr 1
		.amdhsa_user_sgpr_dispatch_id 0
		.amdhsa_user_sgpr_flat_scratch_init 0
		.amdhsa_user_sgpr_private_segment_size 0
		.amdhsa_uses_dynamic_stack 0
		.amdhsa_system_sgpr_private_segment_wavefront_offset 0
		.amdhsa_system_sgpr_workgroup_id_x 1
		.amdhsa_system_sgpr_workgroup_id_y 0
		.amdhsa_system_sgpr_workgroup_id_z 0
		.amdhsa_system_sgpr_workgroup_info 0
		.amdhsa_system_vgpr_workitem_id 2
		.amdhsa_next_free_vgpr 32
		.amdhsa_next_free_sgpr 36
		.amdhsa_reserve_vcc 1
		.amdhsa_reserve_flat_scratch 0
		.amdhsa_float_round_mode_32 0
		.amdhsa_float_round_mode_16_64 0
		.amdhsa_float_denorm_mode_32 3
		.amdhsa_float_denorm_mode_16_64 3
		.amdhsa_dx10_clamp 1
		.amdhsa_ieee_mode 1
		.amdhsa_fp16_overflow 0
		.amdhsa_exception_fp_ieee_invalid_op 0
		.amdhsa_exception_fp_denorm_src 0
		.amdhsa_exception_fp_ieee_div_zero 0
		.amdhsa_exception_fp_ieee_overflow 0
		.amdhsa_exception_fp_ieee_underflow 0
		.amdhsa_exception_fp_ieee_inexact 0
		.amdhsa_exception_int_div_zero 0
	.end_amdhsa_kernel
	.section	.text._Z16sort_keys_kernelI22helper_blocked_stripediLj64ELj4ELj10EEvPKT0_PS1_,"axG",@progbits,_Z16sort_keys_kernelI22helper_blocked_stripediLj64ELj4ELj10EEvPKT0_PS1_,comdat
.Lfunc_end196:
	.size	_Z16sort_keys_kernelI22helper_blocked_stripediLj64ELj4ELj10EEvPKT0_PS1_, .Lfunc_end196-_Z16sort_keys_kernelI22helper_blocked_stripediLj64ELj4ELj10EEvPKT0_PS1_
                                        ; -- End function
	.set _Z16sort_keys_kernelI22helper_blocked_stripediLj64ELj4ELj10EEvPKT0_PS1_.num_vgpr, 32
	.set _Z16sort_keys_kernelI22helper_blocked_stripediLj64ELj4ELj10EEvPKT0_PS1_.num_agpr, 0
	.set _Z16sort_keys_kernelI22helper_blocked_stripediLj64ELj4ELj10EEvPKT0_PS1_.numbered_sgpr, 36
	.set _Z16sort_keys_kernelI22helper_blocked_stripediLj64ELj4ELj10EEvPKT0_PS1_.num_named_barrier, 0
	.set _Z16sort_keys_kernelI22helper_blocked_stripediLj64ELj4ELj10EEvPKT0_PS1_.private_seg_size, 0
	.set _Z16sort_keys_kernelI22helper_blocked_stripediLj64ELj4ELj10EEvPKT0_PS1_.uses_vcc, 1
	.set _Z16sort_keys_kernelI22helper_blocked_stripediLj64ELj4ELj10EEvPKT0_PS1_.uses_flat_scratch, 0
	.set _Z16sort_keys_kernelI22helper_blocked_stripediLj64ELj4ELj10EEvPKT0_PS1_.has_dyn_sized_stack, 0
	.set _Z16sort_keys_kernelI22helper_blocked_stripediLj64ELj4ELj10EEvPKT0_PS1_.has_recursion, 0
	.set _Z16sort_keys_kernelI22helper_blocked_stripediLj64ELj4ELj10EEvPKT0_PS1_.has_indirect_call, 0
	.section	.AMDGPU.csdata,"",@progbits
; Kernel info:
; codeLenInByte = 2748
; TotalNumSgprs: 40
; NumVgprs: 32
; ScratchSize: 0
; MemoryBound: 0
; FloatMode: 240
; IeeeMode: 1
; LDSByteSize: 1040 bytes/workgroup (compile time only)
; SGPRBlocks: 4
; VGPRBlocks: 7
; NumSGPRsForWavesPerEU: 40
; NumVGPRsForWavesPerEU: 32
; Occupancy: 8
; WaveLimiterHint : 1
; COMPUTE_PGM_RSRC2:SCRATCH_EN: 0
; COMPUTE_PGM_RSRC2:USER_SGPR: 6
; COMPUTE_PGM_RSRC2:TRAP_HANDLER: 0
; COMPUTE_PGM_RSRC2:TGID_X_EN: 1
; COMPUTE_PGM_RSRC2:TGID_Y_EN: 0
; COMPUTE_PGM_RSRC2:TGID_Z_EN: 0
; COMPUTE_PGM_RSRC2:TIDIG_COMP_CNT: 2
	.section	.text._Z17sort_pairs_kernelI22helper_blocked_stripediLj64ELj4ELj10EEvPKT0_PS1_,"axG",@progbits,_Z17sort_pairs_kernelI22helper_blocked_stripediLj64ELj4ELj10EEvPKT0_PS1_,comdat
	.protected	_Z17sort_pairs_kernelI22helper_blocked_stripediLj64ELj4ELj10EEvPKT0_PS1_ ; -- Begin function _Z17sort_pairs_kernelI22helper_blocked_stripediLj64ELj4ELj10EEvPKT0_PS1_
	.globl	_Z17sort_pairs_kernelI22helper_blocked_stripediLj64ELj4ELj10EEvPKT0_PS1_
	.p2align	8
	.type	_Z17sort_pairs_kernelI22helper_blocked_stripediLj64ELj4ELj10EEvPKT0_PS1_,@function
_Z17sort_pairs_kernelI22helper_blocked_stripediLj64ELj4ELj10EEvPKT0_PS1_: ; @_Z17sort_pairs_kernelI22helper_blocked_stripediLj64ELj4ELj10EEvPKT0_PS1_
; %bb.0:
	s_load_dwordx4 s[24:27], s[4:5], 0x0
	s_load_dword s33, s[4:5], 0x1c
	s_lshl_b32 s30, s6, 8
	s_mov_b32 s31, 0
	s_lshl_b64 s[28:29], s[30:31], 2
	s_waitcnt lgkmcnt(0)
	s_add_u32 s0, s24, s28
	s_addc_u32 s1, s25, s29
	v_lshlrev_b32_e32 v12, 4, v0
	global_load_dwordx4 v[3:6], v12, s[0:1]
	v_mbcnt_lo_u32_b32 v8, -1, 0
	v_mbcnt_hi_u32_b32 v8, -1, v8
	s_lshr_b32 s30, s33, 16
	v_lshrrev_b32_e32 v9, 2, v8
	v_and_b32_e32 v10, 3, v8
	v_and_b32_e32 v11, 64, v8
	v_subrev_co_u32_e64 v16, s[22:23], 1, v8
	s_and_b32 s33, s33, 0xffff
	v_mad_u32_u24 v1, v2, s30, v1
	v_and_b32_e32 v14, 15, v8
	v_cmp_eq_u32_e64 s[4:5], 3, v10
	v_cmp_eq_u32_e64 s[6:7], 2, v10
	v_cmp_eq_u32_e64 s[8:9], 1, v10
	v_cmp_eq_u32_e64 s[10:11], 0, v10
	v_or_b32_e32 v10, v9, v11
	v_add_u32_e32 v9, 48, v9
	v_cmp_lt_i32_e64 s[24:25], v16, v11
	v_mad_u32_u24 v1, v1, s33, v0
	v_cmp_eq_u32_e32 vcc, 0, v0
	v_mul_i32_i24_e32 v20, -12, v0
	v_and_b32_e32 v15, 16, v8
	v_cmp_lt_u32_e64 s[2:3], 31, v8
	v_lshlrev_b32_e32 v13, 2, v8
	v_cmp_eq_u32_e64 s[12:13], 0, v14
	v_cmp_lt_u32_e64 s[14:15], 1, v14
	v_cmp_lt_u32_e64 s[16:17], 3, v14
	;; [unrolled: 1-line block ×3, first 2 shown]
	v_cndmask_b32_e64 v8, v16, v8, s[24:25]
	v_lshlrev_b32_e32 v14, 2, v10
	v_and_or_b32 v9, v9, 63, v11
	v_lshrrev_b32_e32 v1, 4, v1
	v_mov_b32_e32 v7, 0
	v_cmp_eq_u32_e64 s[0:1], 63, v0
	v_cmp_eq_u32_e64 s[20:21], 0, v15
	v_lshlrev_b32_e32 v15, 2, v8
	v_add_u32_e32 v16, 64, v14
	v_or_b32_e32 v17, 0x80, v14
	v_lshlrev_b32_e32 v18, 2, v9
	s_or_b64 s[24:25], vcc, s[22:23]
	v_and_b32_e32 v19, 0xffffffc, v1
	v_add_u32_e32 v20, v12, v20
	s_waitcnt vmcnt(0)
	v_add_u32_e32 v10, 1, v3
	v_add_u32_e32 v11, 1, v4
	;; [unrolled: 1-line block ×4, first 2 shown]
	s_branch .LBB197_2
.LBB197_1:                              ;   in Loop: Header=BB197_2 Depth=1
	v_lshlrev_b32_e32 v3, 2, v34
	v_lshlrev_b32_e32 v4, 2, v31
	v_lshlrev_b32_e32 v8, 2, v29
	v_lshlrev_b32_e32 v9, 2, v28
	; wave barrier
	ds_write_b32 v3, v27
	ds_write_b32 v4, v26
	ds_write_b32 v8, v25
	ds_write_b32 v9, v23
	s_waitcnt lgkmcnt(0)
	; wave barrier
	ds_read2st64_b32 v[1:2], v20 offset1:1
	ds_read2st64_b32 v[5:6], v20 offset0:2 offset1:3
	s_waitcnt lgkmcnt(0)
	; wave barrier
	ds_write_b32 v3, v22
	ds_write_b32 v4, v21
	;; [unrolled: 1-line block ×4, first 2 shown]
	s_waitcnt lgkmcnt(0)
	; wave barrier
	ds_read2st64_b32 v[10:11], v20 offset1:1
	ds_read2st64_b32 v[8:9], v20 offset0:2 offset1:3
	s_add_i32 s31, s31, 1
	v_xor_b32_e32 v3, 0x80000000, v1
	v_xor_b32_e32 v4, 0x80000000, v2
	;; [unrolled: 1-line block ×3, first 2 shown]
	s_cmp_eq_u32 s31, 10
	v_xor_b32_e32 v6, 0x80000000, v6
	s_cbranch_scc1 .LBB197_16
.LBB197_2:                              ; =>This Loop Header: Depth=1
                                        ;     Child Loop BB197_4 Depth 2
	v_xor_b32_e32 v3, 0x80000000, v3
	v_xor_b32_e32 v4, 0x80000000, v4
	ds_bpermute_b32 v1, v14, v3
	v_xor_b32_e32 v5, 0x80000000, v5
	ds_bpermute_b32 v2, v14, v4
	ds_bpermute_b32 v21, v14, v5
	;; [unrolled: 1-line block ×3, first 2 shown]
	s_waitcnt lgkmcnt(3)
	v_cndmask_b32_e64 v1, 0, v1, s[10:11]
	v_xor_b32_e32 v6, 0x80000000, v6
	ds_bpermute_b32 v23, v16, v4
	s_waitcnt lgkmcnt(3)
	v_cndmask_b32_e64 v1, v1, v2, s[8:9]
	s_waitcnt lgkmcnt(2)
	v_cndmask_b32_e64 v1, v1, v21, s[6:7]
	ds_bpermute_b32 v2, v14, v6
	s_waitcnt lgkmcnt(2)
	v_cndmask_b32_e64 v21, 0, v22, s[10:11]
	ds_bpermute_b32 v22, v16, v5
	ds_bpermute_b32 v25, v17, v3
	s_waitcnt lgkmcnt(3)
	v_cndmask_b32_e64 v21, v21, v23, s[8:9]
	s_waitcnt lgkmcnt(2)
	v_cndmask_b32_e64 v1, v1, v2, s[4:5]
	ds_bpermute_b32 v24, v16, v6
	s_waitcnt lgkmcnt(2)
	v_cndmask_b32_e64 v2, v21, v22, s[6:7]
	s_waitcnt lgkmcnt(1)
	v_cndmask_b32_e64 v21, 0, v25, s[10:11]
	ds_bpermute_b32 v22, v17, v4
	ds_bpermute_b32 v25, v18, v3
	;; [unrolled: 1-line block ×5, first 2 shown]
	s_waitcnt lgkmcnt(4)
	v_cndmask_b32_e64 v3, v21, v22, s[8:9]
	s_waitcnt lgkmcnt(3)
	v_cndmask_b32_e64 v21, 0, v25, s[10:11]
	v_cndmask_b32_e64 v2, v2, v24, s[4:5]
	ds_bpermute_b32 v24, v17, v6
	s_waitcnt lgkmcnt(3)
	v_cndmask_b32_e64 v4, v21, v4, s[8:9]
	ds_bpermute_b32 v6, v18, v6
	ds_bpermute_b32 v21, v14, v10
	;; [unrolled: 1-line block ×3, first 2 shown]
	s_waitcnt lgkmcnt(5)
	v_cndmask_b32_e64 v3, v3, v23, s[6:7]
	ds_bpermute_b32 v23, v14, v8
	s_waitcnt lgkmcnt(5)
	v_cndmask_b32_e64 v4, v4, v5, s[6:7]
	s_waitcnt lgkmcnt(3)
	v_cndmask_b32_e64 v4, v4, v6, s[4:5]
	;; [unrolled: 2-line block ×3, first 2 shown]
	ds_bpermute_b32 v6, v14, v9
	ds_bpermute_b32 v21, v16, v10
	s_waitcnt lgkmcnt(3)
	v_cndmask_b32_e64 v5, v5, v22, s[8:9]
	ds_bpermute_b32 v22, v16, v11
	s_waitcnt lgkmcnt(3)
	v_cndmask_b32_e64 v5, v5, v23, s[6:7]
	;; [unrolled: 3-line block ×3, first 2 shown]
	s_waitcnt lgkmcnt(2)
	v_cndmask_b32_e64 v6, 0, v21, s[10:11]
	ds_bpermute_b32 v21, v17, v10
	s_waitcnt lgkmcnt(2)
	v_cndmask_b32_e64 v6, v6, v22, s[8:9]
	ds_bpermute_b32 v22, v17, v11
	ds_bpermute_b32 v10, v18, v10
	ds_bpermute_b32 v11, v18, v11
	ds_bpermute_b32 v25, v17, v8
	s_waitcnt lgkmcnt(5)
	v_cndmask_b32_e64 v6, v6, v23, s[6:7]
	s_waitcnt lgkmcnt(4)
	v_cndmask_b32_e64 v21, 0, v21, s[10:11]
	ds_bpermute_b32 v23, v18, v8
	v_cndmask_b32_e64 v3, v3, v24, s[4:5]
	ds_bpermute_b32 v24, v16, v9
	s_waitcnt lgkmcnt(5)
	v_cndmask_b32_e64 v21, v21, v22, s[8:9]
	ds_bpermute_b32 v22, v17, v9
	ds_bpermute_b32 v9, v18, v9
	s_waitcnt lgkmcnt(6)
	v_cndmask_b32_e64 v10, 0, v10, s[10:11]
	s_waitcnt lgkmcnt(5)
	v_cndmask_b32_e64 v10, v10, v11, s[8:9]
	;; [unrolled: 2-line block ×7, first 2 shown]
	v_mov_b32_e32 v24, v7
	; wave barrier
	s_branch .LBB197_4
.LBB197_3:                              ;   in Loop: Header=BB197_4 Depth=2
	s_andn2_b64 vcc, exec, s[22:23]
	s_cbranch_vccz .LBB197_1
.LBB197_4:                              ;   Parent Loop BB197_2 Depth=1
                                        ; =>  This Inner Loop Header: Depth=2
	v_mov_b32_e32 v27, v1
	v_lshrrev_b32_e32 v1, v24, v27
	v_mov_b32_e32 v26, v2
	v_and_b32_e32 v2, 0xff, v1
	v_mov_b32_e32 v22, v5
	v_lshl_add_u32 v5, v2, 2, v19
	v_and_b32_e32 v2, 1, v1
	v_mov_b32_e32 v25, v3
	v_add_co_u32_e32 v3, vcc, -1, v2
	v_mov_b32_e32 v23, v4
	v_mov_b32_e32 v11, v8
	v_addc_co_u32_e64 v4, s[22:23], 0, -1, vcc
	v_cmp_ne_u32_e32 vcc, 0, v2
	v_lshlrev_b32_e32 v8, 30, v1
	v_xor_b32_e32 v2, vcc_hi, v4
	v_xor_b32_e32 v3, vcc_lo, v3
	v_cmp_gt_i64_e32 vcc, 0, v[7:8]
	v_not_b32_e32 v4, v8
	v_ashrrev_i32_e32 v4, 31, v4
	v_mov_b32_e32 v21, v6
	v_and_b32_e32 v3, exec_lo, v3
	v_xor_b32_e32 v6, vcc_hi, v4
	v_xor_b32_e32 v4, vcc_lo, v4
	v_lshlrev_b32_e32 v8, 29, v1
	v_and_b32_e32 v3, v3, v4
	v_cmp_gt_i64_e32 vcc, 0, v[7:8]
	v_not_b32_e32 v4, v8
	v_and_b32_e32 v2, exec_hi, v2
	v_ashrrev_i32_e32 v4, 31, v4
	v_and_b32_e32 v2, v2, v6
	v_xor_b32_e32 v6, vcc_hi, v4
	v_xor_b32_e32 v4, vcc_lo, v4
	v_lshlrev_b32_e32 v8, 28, v1
	v_and_b32_e32 v3, v3, v4
	v_cmp_gt_i64_e32 vcc, 0, v[7:8]
	v_not_b32_e32 v4, v8
	v_ashrrev_i32_e32 v4, 31, v4
	v_and_b32_e32 v2, v2, v6
	v_xor_b32_e32 v6, vcc_hi, v4
	v_xor_b32_e32 v4, vcc_lo, v4
	v_lshlrev_b32_e32 v8, 27, v1
	v_and_b32_e32 v3, v3, v4
	v_cmp_gt_i64_e32 vcc, 0, v[7:8]
	v_not_b32_e32 v4, v8
	;; [unrolled: 8-line block ×4, first 2 shown]
	v_ashrrev_i32_e32 v4, 31, v4
	v_lshlrev_b32_e32 v8, 24, v1
	v_and_b32_e32 v2, v2, v6
	v_xor_b32_e32 v6, vcc_hi, v4
	v_xor_b32_e32 v4, vcc_lo, v4
	v_cmp_gt_i64_e32 vcc, 0, v[7:8]
	v_not_b32_e32 v1, v8
	v_ashrrev_i32_e32 v1, 31, v1
	v_and_b32_e32 v3, v3, v4
	v_xor_b32_e32 v4, vcc_hi, v1
	v_xor_b32_e32 v1, vcc_lo, v1
	v_and_b32_e32 v2, v2, v6
	v_and_b32_e32 v1, v3, v1
	;; [unrolled: 1-line block ×3, first 2 shown]
	v_mbcnt_lo_u32_b32 v3, v1, 0
	v_mbcnt_hi_u32_b32 v6, v2, v3
	v_cmp_ne_u64_e32 vcc, 0, v[1:2]
	v_cmp_eq_u32_e64 s[22:23], 0, v6
	v_mov_b32_e32 v10, v9
	s_and_b64 s[34:35], vcc, s[22:23]
	ds_write2_b32 v12, v7, v7 offset0:1 offset1:2
	ds_write2_b32 v12, v7, v7 offset0:3 offset1:4
	s_waitcnt lgkmcnt(0)
	; wave barrier
	; wave barrier
	s_and_saveexec_b64 s[22:23], s[34:35]
; %bb.5:                                ;   in Loop: Header=BB197_4 Depth=2
	v_bcnt_u32_b32 v1, v1, 0
	v_bcnt_u32_b32 v1, v2, v1
	ds_write_b32 v5, v1 offset:4
; %bb.6:                                ;   in Loop: Header=BB197_4 Depth=2
	s_or_b64 exec, exec, s[22:23]
	v_lshrrev_b32_e32 v1, v24, v26
	v_and_b32_e32 v2, 0xff, v1
	v_lshl_add_u32 v28, v2, 2, v19
	v_and_b32_e32 v2, 1, v1
	v_add_co_u32_e32 v3, vcc, -1, v2
	v_addc_co_u32_e64 v4, s[22:23], 0, -1, vcc
	v_cmp_ne_u32_e32 vcc, 0, v2
	v_lshlrev_b32_e32 v8, 30, v1
	v_xor_b32_e32 v2, vcc_hi, v4
	v_xor_b32_e32 v3, vcc_lo, v3
	v_cmp_gt_i64_e32 vcc, 0, v[7:8]
	v_not_b32_e32 v4, v8
	v_ashrrev_i32_e32 v4, 31, v4
	v_and_b32_e32 v2, exec_hi, v2
	v_xor_b32_e32 v8, vcc_hi, v4
	v_and_b32_e32 v3, exec_lo, v3
	v_xor_b32_e32 v4, vcc_lo, v4
	v_and_b32_e32 v2, v2, v8
	v_lshlrev_b32_e32 v8, 29, v1
	v_and_b32_e32 v3, v3, v4
	v_cmp_gt_i64_e32 vcc, 0, v[7:8]
	v_not_b32_e32 v4, v8
	v_ashrrev_i32_e32 v4, 31, v4
	v_xor_b32_e32 v8, vcc_hi, v4
	v_xor_b32_e32 v4, vcc_lo, v4
	v_and_b32_e32 v2, v2, v8
	v_lshlrev_b32_e32 v8, 28, v1
	v_and_b32_e32 v3, v3, v4
	v_cmp_gt_i64_e32 vcc, 0, v[7:8]
	v_not_b32_e32 v4, v8
	v_ashrrev_i32_e32 v4, 31, v4
	v_xor_b32_e32 v8, vcc_hi, v4
	;; [unrolled: 8-line block ×5, first 2 shown]
	v_and_b32_e32 v2, v2, v8
	v_lshlrev_b32_e32 v8, 24, v1
	v_xor_b32_e32 v4, vcc_lo, v4
	v_cmp_gt_i64_e32 vcc, 0, v[7:8]
	v_not_b32_e32 v1, v8
	v_ashrrev_i32_e32 v1, 31, v1
	v_and_b32_e32 v3, v3, v4
	v_xor_b32_e32 v4, vcc_hi, v1
	v_xor_b32_e32 v1, vcc_lo, v1
	; wave barrier
	ds_read_b32 v9, v28 offset:4
	v_and_b32_e32 v1, v3, v1
	v_and_b32_e32 v2, v2, v4
	v_mbcnt_lo_u32_b32 v3, v1, 0
	v_mbcnt_hi_u32_b32 v29, v2, v3
	v_cmp_ne_u64_e32 vcc, 0, v[1:2]
	v_cmp_eq_u32_e64 s[22:23], 0, v29
	s_and_b64 s[34:35], vcc, s[22:23]
	; wave barrier
	s_and_saveexec_b64 s[22:23], s[34:35]
	s_cbranch_execz .LBB197_8
; %bb.7:                                ;   in Loop: Header=BB197_4 Depth=2
	v_bcnt_u32_b32 v1, v1, 0
	v_bcnt_u32_b32 v1, v2, v1
	s_waitcnt lgkmcnt(0)
	v_add_u32_e32 v1, v9, v1
	ds_write_b32 v28, v1 offset:4
.LBB197_8:                              ;   in Loop: Header=BB197_4 Depth=2
	s_or_b64 exec, exec, s[22:23]
	v_lshrrev_b32_e32 v1, v24, v25
	v_and_b32_e32 v2, 0xff, v1
	v_lshl_add_u32 v31, v2, 2, v19
	v_and_b32_e32 v2, 1, v1
	v_add_co_u32_e32 v3, vcc, -1, v2
	v_addc_co_u32_e64 v4, s[22:23], 0, -1, vcc
	v_cmp_ne_u32_e32 vcc, 0, v2
	v_lshlrev_b32_e32 v8, 30, v1
	v_xor_b32_e32 v2, vcc_hi, v4
	v_xor_b32_e32 v3, vcc_lo, v3
	v_cmp_gt_i64_e32 vcc, 0, v[7:8]
	v_not_b32_e32 v4, v8
	v_ashrrev_i32_e32 v4, 31, v4
	v_and_b32_e32 v2, exec_hi, v2
	v_xor_b32_e32 v8, vcc_hi, v4
	v_and_b32_e32 v3, exec_lo, v3
	v_xor_b32_e32 v4, vcc_lo, v4
	v_and_b32_e32 v2, v2, v8
	v_lshlrev_b32_e32 v8, 29, v1
	v_and_b32_e32 v3, v3, v4
	v_cmp_gt_i64_e32 vcc, 0, v[7:8]
	v_not_b32_e32 v4, v8
	v_ashrrev_i32_e32 v4, 31, v4
	v_xor_b32_e32 v8, vcc_hi, v4
	v_xor_b32_e32 v4, vcc_lo, v4
	v_and_b32_e32 v2, v2, v8
	v_lshlrev_b32_e32 v8, 28, v1
	v_and_b32_e32 v3, v3, v4
	v_cmp_gt_i64_e32 vcc, 0, v[7:8]
	v_not_b32_e32 v4, v8
	v_ashrrev_i32_e32 v4, 31, v4
	v_xor_b32_e32 v8, vcc_hi, v4
	;; [unrolled: 8-line block ×5, first 2 shown]
	v_and_b32_e32 v2, v2, v8
	v_lshlrev_b32_e32 v8, 24, v1
	v_xor_b32_e32 v4, vcc_lo, v4
	v_cmp_gt_i64_e32 vcc, 0, v[7:8]
	v_not_b32_e32 v1, v8
	v_ashrrev_i32_e32 v1, 31, v1
	v_and_b32_e32 v3, v3, v4
	v_xor_b32_e32 v4, vcc_hi, v1
	v_xor_b32_e32 v1, vcc_lo, v1
	; wave barrier
	ds_read_b32 v30, v31 offset:4
	v_and_b32_e32 v1, v3, v1
	v_and_b32_e32 v2, v2, v4
	v_mbcnt_lo_u32_b32 v3, v1, 0
	v_mbcnt_hi_u32_b32 v32, v2, v3
	v_cmp_ne_u64_e32 vcc, 0, v[1:2]
	v_cmp_eq_u32_e64 s[22:23], 0, v32
	s_and_b64 s[34:35], vcc, s[22:23]
	; wave barrier
	s_and_saveexec_b64 s[22:23], s[34:35]
	s_cbranch_execz .LBB197_10
; %bb.9:                                ;   in Loop: Header=BB197_4 Depth=2
	v_bcnt_u32_b32 v1, v1, 0
	v_bcnt_u32_b32 v1, v2, v1
	s_waitcnt lgkmcnt(0)
	v_add_u32_e32 v1, v30, v1
	ds_write_b32 v31, v1 offset:4
.LBB197_10:                             ;   in Loop: Header=BB197_4 Depth=2
	s_or_b64 exec, exec, s[22:23]
	v_lshrrev_b32_e32 v1, v24, v23
	v_and_b32_e32 v2, 0xff, v1
	v_lshl_add_u32 v34, v2, 2, v19
	v_and_b32_e32 v2, 1, v1
	v_add_co_u32_e32 v3, vcc, -1, v2
	v_addc_co_u32_e64 v4, s[22:23], 0, -1, vcc
	v_cmp_ne_u32_e32 vcc, 0, v2
	v_lshlrev_b32_e32 v8, 30, v1
	v_xor_b32_e32 v2, vcc_hi, v4
	v_xor_b32_e32 v3, vcc_lo, v3
	v_cmp_gt_i64_e32 vcc, 0, v[7:8]
	v_not_b32_e32 v4, v8
	v_ashrrev_i32_e32 v4, 31, v4
	v_and_b32_e32 v2, exec_hi, v2
	v_xor_b32_e32 v8, vcc_hi, v4
	v_and_b32_e32 v3, exec_lo, v3
	v_xor_b32_e32 v4, vcc_lo, v4
	v_and_b32_e32 v2, v2, v8
	v_lshlrev_b32_e32 v8, 29, v1
	v_and_b32_e32 v3, v3, v4
	v_cmp_gt_i64_e32 vcc, 0, v[7:8]
	v_not_b32_e32 v4, v8
	v_ashrrev_i32_e32 v4, 31, v4
	v_xor_b32_e32 v8, vcc_hi, v4
	v_xor_b32_e32 v4, vcc_lo, v4
	v_and_b32_e32 v2, v2, v8
	v_lshlrev_b32_e32 v8, 28, v1
	v_and_b32_e32 v3, v3, v4
	v_cmp_gt_i64_e32 vcc, 0, v[7:8]
	v_not_b32_e32 v4, v8
	v_ashrrev_i32_e32 v4, 31, v4
	v_xor_b32_e32 v8, vcc_hi, v4
	;; [unrolled: 8-line block ×5, first 2 shown]
	v_and_b32_e32 v2, v2, v8
	v_lshlrev_b32_e32 v8, 24, v1
	v_xor_b32_e32 v4, vcc_lo, v4
	v_cmp_gt_i64_e32 vcc, 0, v[7:8]
	v_not_b32_e32 v1, v8
	v_ashrrev_i32_e32 v1, 31, v1
	v_and_b32_e32 v3, v3, v4
	v_xor_b32_e32 v4, vcc_hi, v1
	v_xor_b32_e32 v1, vcc_lo, v1
	; wave barrier
	ds_read_b32 v33, v34 offset:4
	v_and_b32_e32 v1, v3, v1
	v_and_b32_e32 v2, v2, v4
	v_mbcnt_lo_u32_b32 v3, v1, 0
	v_mbcnt_hi_u32_b32 v8, v2, v3
	v_cmp_ne_u64_e32 vcc, 0, v[1:2]
	v_cmp_eq_u32_e64 s[22:23], 0, v8
	s_and_b64 s[34:35], vcc, s[22:23]
	; wave barrier
	s_and_saveexec_b64 s[22:23], s[34:35]
	s_cbranch_execz .LBB197_12
; %bb.11:                               ;   in Loop: Header=BB197_4 Depth=2
	v_bcnt_u32_b32 v1, v1, 0
	v_bcnt_u32_b32 v1, v2, v1
	s_waitcnt lgkmcnt(0)
	v_add_u32_e32 v1, v33, v1
	ds_write_b32 v34, v1 offset:4
.LBB197_12:                             ;   in Loop: Header=BB197_4 Depth=2
	s_or_b64 exec, exec, s[22:23]
	; wave barrier
	s_waitcnt lgkmcnt(0)
	; wave barrier
	ds_read2_b32 v[3:4], v12 offset0:1 offset1:2
	ds_read2_b32 v[1:2], v12 offset0:3 offset1:4
	s_waitcnt lgkmcnt(1)
	v_add_u32_e32 v35, v4, v3
	s_waitcnt lgkmcnt(0)
	v_add3_u32 v2, v35, v1, v2
	s_nop 1
	v_mov_b32_dpp v35, v2 row_shr:1 row_mask:0xf bank_mask:0xf
	v_cndmask_b32_e64 v35, v35, 0, s[12:13]
	v_add_u32_e32 v2, v35, v2
	s_nop 1
	v_mov_b32_dpp v35, v2 row_shr:2 row_mask:0xf bank_mask:0xf
	v_cndmask_b32_e64 v35, 0, v35, s[14:15]
	v_add_u32_e32 v2, v2, v35
	;; [unrolled: 4-line block ×4, first 2 shown]
	s_nop 1
	v_mov_b32_dpp v35, v2 row_bcast:15 row_mask:0xf bank_mask:0xf
	v_cndmask_b32_e64 v35, v35, 0, s[20:21]
	v_add_u32_e32 v2, v2, v35
	s_nop 1
	v_mov_b32_dpp v35, v2 row_bcast:31 row_mask:0xf bank_mask:0xf
	v_cndmask_b32_e64 v35, 0, v35, s[2:3]
	v_add_u32_e32 v2, v2, v35
	s_and_saveexec_b64 s[22:23], s[0:1]
; %bb.13:                               ;   in Loop: Header=BB197_4 Depth=2
	ds_write_b32 v7, v2
; %bb.14:                               ;   in Loop: Header=BB197_4 Depth=2
	s_or_b64 exec, exec, s[22:23]
	ds_bpermute_b32 v2, v15, v2
	s_waitcnt lgkmcnt(0)
	; wave barrier
	v_cmp_lt_u32_e32 vcc, 23, v24
	s_and_b64 vcc, exec, vcc
	v_cndmask_b32_e64 v2, v2, 0, s[24:25]
	v_add_u32_e32 v3, v2, v3
	v_add_u32_e32 v4, v3, v4
	;; [unrolled: 1-line block ×3, first 2 shown]
	ds_write2_b32 v12, v2, v3 offset0:1 offset1:2
	ds_write2_b32 v12, v4, v1 offset0:3 offset1:4
	s_waitcnt lgkmcnt(0)
	; wave barrier
	ds_read_b32 v1, v5 offset:4
	ds_read_b32 v2, v28 offset:4
	;; [unrolled: 1-line block ×4, first 2 shown]
	s_mov_b64 s[22:23], -1
	s_waitcnt lgkmcnt(3)
	v_add_u32_e32 v34, v1, v6
	s_waitcnt lgkmcnt(2)
	v_add3_u32 v31, v29, v9, v2
	s_waitcnt lgkmcnt(1)
	v_add3_u32 v29, v32, v30, v3
	;; [unrolled: 2-line block ×3, first 2 shown]
                                        ; implicit-def: $vgpr4
                                        ; implicit-def: $vgpr2
                                        ; implicit-def: $vgpr9
                                        ; implicit-def: $vgpr6
	s_cbranch_vccnz .LBB197_3
; %bb.15:                               ;   in Loop: Header=BB197_4 Depth=2
	v_lshlrev_b32_e32 v5, 2, v34
	v_lshlrev_b32_e32 v6, 2, v31
	;; [unrolled: 1-line block ×4, first 2 shown]
	; wave barrier
	ds_write_b32 v5, v27
	ds_write_b32 v6, v26
	;; [unrolled: 1-line block ×4, first 2 shown]
	s_waitcnt lgkmcnt(0)
	; wave barrier
	ds_read2st64_b32 v[1:2], v13 offset1:1
	ds_read2st64_b32 v[3:4], v13 offset0:2 offset1:3
	s_waitcnt lgkmcnt(0)
	; wave barrier
	ds_write_b32 v5, v22
	ds_write_b32 v6, v21
	;; [unrolled: 1-line block ×4, first 2 shown]
	s_waitcnt lgkmcnt(0)
	; wave barrier
	ds_read2st64_b32 v[5:6], v13 offset1:1
	ds_read2st64_b32 v[8:9], v13 offset0:2 offset1:3
	v_add_u32_e32 v24, 8, v24
	s_mov_b64 s[22:23], 0
	s_waitcnt lgkmcnt(0)
	; wave barrier
	s_branch .LBB197_3
.LBB197_16:
	s_add_u32 s0, s26, s28
	s_waitcnt lgkmcnt(1)
	v_add_u32_e32 v1, v3, v10
	s_addc_u32 s1, s27, s29
	v_lshlrev_b32_e32 v0, 2, v0
	v_add_u32_e32 v2, v4, v11
	s_waitcnt lgkmcnt(0)
	v_add_u32_e32 v3, v5, v8
	v_add_u32_e32 v4, v6, v9
	global_store_dword v0, v1, s[0:1]
	global_store_dword v0, v2, s[0:1] offset:256
	global_store_dword v0, v3, s[0:1] offset:512
	;; [unrolled: 1-line block ×3, first 2 shown]
	s_endpgm
	.section	.rodata,"a",@progbits
	.p2align	6, 0x0
	.amdhsa_kernel _Z17sort_pairs_kernelI22helper_blocked_stripediLj64ELj4ELj10EEvPKT0_PS1_
		.amdhsa_group_segment_fixed_size 1040
		.amdhsa_private_segment_fixed_size 0
		.amdhsa_kernarg_size 272
		.amdhsa_user_sgpr_count 6
		.amdhsa_user_sgpr_private_segment_buffer 1
		.amdhsa_user_sgpr_dispatch_ptr 0
		.amdhsa_user_sgpr_queue_ptr 0
		.amdhsa_user_sgpr_kernarg_segment_ptr 1
		.amdhsa_user_sgpr_dispatch_id 0
		.amdhsa_user_sgpr_flat_scratch_init 0
		.amdhsa_user_sgpr_private_segment_size 0
		.amdhsa_uses_dynamic_stack 0
		.amdhsa_system_sgpr_private_segment_wavefront_offset 0
		.amdhsa_system_sgpr_workgroup_id_x 1
		.amdhsa_system_sgpr_workgroup_id_y 0
		.amdhsa_system_sgpr_workgroup_id_z 0
		.amdhsa_system_sgpr_workgroup_info 0
		.amdhsa_system_vgpr_workitem_id 2
		.amdhsa_next_free_vgpr 36
		.amdhsa_next_free_sgpr 36
		.amdhsa_reserve_vcc 1
		.amdhsa_reserve_flat_scratch 0
		.amdhsa_float_round_mode_32 0
		.amdhsa_float_round_mode_16_64 0
		.amdhsa_float_denorm_mode_32 3
		.amdhsa_float_denorm_mode_16_64 3
		.amdhsa_dx10_clamp 1
		.amdhsa_ieee_mode 1
		.amdhsa_fp16_overflow 0
		.amdhsa_exception_fp_ieee_invalid_op 0
		.amdhsa_exception_fp_denorm_src 0
		.amdhsa_exception_fp_ieee_div_zero 0
		.amdhsa_exception_fp_ieee_overflow 0
		.amdhsa_exception_fp_ieee_underflow 0
		.amdhsa_exception_fp_ieee_inexact 0
		.amdhsa_exception_int_div_zero 0
	.end_amdhsa_kernel
	.section	.text._Z17sort_pairs_kernelI22helper_blocked_stripediLj64ELj4ELj10EEvPKT0_PS1_,"axG",@progbits,_Z17sort_pairs_kernelI22helper_blocked_stripediLj64ELj4ELj10EEvPKT0_PS1_,comdat
.Lfunc_end197:
	.size	_Z17sort_pairs_kernelI22helper_blocked_stripediLj64ELj4ELj10EEvPKT0_PS1_, .Lfunc_end197-_Z17sort_pairs_kernelI22helper_blocked_stripediLj64ELj4ELj10EEvPKT0_PS1_
                                        ; -- End function
	.set _Z17sort_pairs_kernelI22helper_blocked_stripediLj64ELj4ELj10EEvPKT0_PS1_.num_vgpr, 36
	.set _Z17sort_pairs_kernelI22helper_blocked_stripediLj64ELj4ELj10EEvPKT0_PS1_.num_agpr, 0
	.set _Z17sort_pairs_kernelI22helper_blocked_stripediLj64ELj4ELj10EEvPKT0_PS1_.numbered_sgpr, 36
	.set _Z17sort_pairs_kernelI22helper_blocked_stripediLj64ELj4ELj10EEvPKT0_PS1_.num_named_barrier, 0
	.set _Z17sort_pairs_kernelI22helper_blocked_stripediLj64ELj4ELj10EEvPKT0_PS1_.private_seg_size, 0
	.set _Z17sort_pairs_kernelI22helper_blocked_stripediLj64ELj4ELj10EEvPKT0_PS1_.uses_vcc, 1
	.set _Z17sort_pairs_kernelI22helper_blocked_stripediLj64ELj4ELj10EEvPKT0_PS1_.uses_flat_scratch, 0
	.set _Z17sort_pairs_kernelI22helper_blocked_stripediLj64ELj4ELj10EEvPKT0_PS1_.has_dyn_sized_stack, 0
	.set _Z17sort_pairs_kernelI22helper_blocked_stripediLj64ELj4ELj10EEvPKT0_PS1_.has_recursion, 0
	.set _Z17sort_pairs_kernelI22helper_blocked_stripediLj64ELj4ELj10EEvPKT0_PS1_.has_indirect_call, 0
	.section	.AMDGPU.csdata,"",@progbits
; Kernel info:
; codeLenInByte = 3220
; TotalNumSgprs: 40
; NumVgprs: 36
; ScratchSize: 0
; MemoryBound: 0
; FloatMode: 240
; IeeeMode: 1
; LDSByteSize: 1040 bytes/workgroup (compile time only)
; SGPRBlocks: 4
; VGPRBlocks: 8
; NumSGPRsForWavesPerEU: 40
; NumVGPRsForWavesPerEU: 36
; Occupancy: 7
; WaveLimiterHint : 1
; COMPUTE_PGM_RSRC2:SCRATCH_EN: 0
; COMPUTE_PGM_RSRC2:USER_SGPR: 6
; COMPUTE_PGM_RSRC2:TRAP_HANDLER: 0
; COMPUTE_PGM_RSRC2:TGID_X_EN: 1
; COMPUTE_PGM_RSRC2:TGID_Y_EN: 0
; COMPUTE_PGM_RSRC2:TGID_Z_EN: 0
; COMPUTE_PGM_RSRC2:TIDIG_COMP_CNT: 2
	.section	.text._Z16sort_keys_kernelI22helper_blocked_stripediLj64ELj8ELj10EEvPKT0_PS1_,"axG",@progbits,_Z16sort_keys_kernelI22helper_blocked_stripediLj64ELj8ELj10EEvPKT0_PS1_,comdat
	.protected	_Z16sort_keys_kernelI22helper_blocked_stripediLj64ELj8ELj10EEvPKT0_PS1_ ; -- Begin function _Z16sort_keys_kernelI22helper_blocked_stripediLj64ELj8ELj10EEvPKT0_PS1_
	.globl	_Z16sort_keys_kernelI22helper_blocked_stripediLj64ELj8ELj10EEvPKT0_PS1_
	.p2align	8
	.type	_Z16sort_keys_kernelI22helper_blocked_stripediLj64ELj8ELj10EEvPKT0_PS1_,@function
_Z16sort_keys_kernelI22helper_blocked_stripediLj64ELj8ELj10EEvPKT0_PS1_: ; @_Z16sort_keys_kernelI22helper_blocked_stripediLj64ELj8ELj10EEvPKT0_PS1_
; %bb.0:
	s_load_dwordx4 s[16:19], s[4:5], 0x0
	s_load_dword s2, s[4:5], 0x1c
	s_lshl_b32 s20, s6, 9
	s_mov_b32 s21, 0
	s_lshl_b64 s[22:23], s[20:21], 2
	s_waitcnt lgkmcnt(0)
	s_add_u32 s0, s16, s22
	s_addc_u32 s1, s17, s23
	v_lshlrev_b32_e32 v11, 5, v0
	global_load_dwordx4 v[3:6], v11, s[0:1]
	global_load_dwordx4 v[7:10], v11, s[0:1] offset:16
	v_mbcnt_lo_u32_b32 v11, -1, 0
	v_mbcnt_hi_u32_b32 v14, -1, v11
	s_lshr_b32 s0, s2, 16
	s_and_b32 s1, s2, 0xffff
	v_mad_u32_u24 v1, v2, s0, v1
	v_and_b32_e32 v2, 15, v14
	v_mad_u32_u24 v1, v1, s1, v0
	v_cmp_eq_u32_e64 s[0:1], 0, v2
	v_cmp_lt_u32_e64 s[2:3], 1, v2
	v_cmp_lt_u32_e64 s[4:5], 3, v2
	v_cmp_lt_u32_e64 s[6:7], 7, v2
	v_and_b32_e32 v2, 16, v14
	v_cmp_eq_u32_e64 s[8:9], 0, v2
	v_subrev_co_u32_e32 v2, vcc, 1, v14
	v_and_b32_e32 v15, 64, v14
	v_cmp_lt_i32_e64 s[14:15], v2, v15
	v_cndmask_b32_e64 v2, v2, v14, s[14:15]
	v_lshlrev_b32_e32 v11, 5, v14
	v_lshlrev_b32_e32 v12, 2, v14
	;; [unrolled: 1-line block ×3, first 2 shown]
	v_cmp_lt_u32_e64 s[10:11], 31, v14
	v_lshlrev_b32_e32 v14, 2, v2
	v_cmp_eq_u32_e64 s[14:15], 0, v0
	v_lshrrev_b32_e32 v1, 4, v1
	v_mul_i32_i24_e32 v2, -12, v0
	v_cmp_eq_u32_e64 s[12:13], 63, v0
	s_or_b64 s[16:17], s[14:15], vcc
	v_and_b32_e32 v15, 0xffffffc, v1
	v_mov_b32_e32 v1, 0
	v_add_u32_e32 v16, v13, v2
	s_branch .LBB198_2
.LBB198_1:                              ;   in Loop: Header=BB198_2 Depth=1
	v_lshlrev_b32_e32 v2, 2, v36
	; wave barrier
	ds_write_b32 v2, v24
	v_lshlrev_b32_e32 v2, 2, v33
	ds_write_b32 v2, v23
	v_lshlrev_b32_e32 v2, 2, v30
	;; [unrolled: 2-line block ×7, first 2 shown]
	ds_write_b32 v2, v10
	s_waitcnt lgkmcnt(0)
	; wave barrier
	ds_read2st64_b32 v[3:4], v16 offset1:1
	ds_read2st64_b32 v[5:6], v16 offset0:2 offset1:3
	ds_read2st64_b32 v[7:8], v16 offset0:4 offset1:5
	;; [unrolled: 1-line block ×3, first 2 shown]
	s_add_i32 s21, s21, 1
	s_waitcnt lgkmcnt(3)
	v_xor_b32_e32 v3, 0x80000000, v3
	v_xor_b32_e32 v4, 0x80000000, v4
	s_waitcnt lgkmcnt(2)
	v_xor_b32_e32 v5, 0x80000000, v5
	v_xor_b32_e32 v6, 0x80000000, v6
	;; [unrolled: 3-line block ×3, first 2 shown]
	s_waitcnt lgkmcnt(0)
	v_xor_b32_e32 v9, 0x80000000, v9
	s_cmp_eq_u32 s21, 10
	v_xor_b32_e32 v10, 0x80000000, v10
	s_cbranch_scc1 .LBB198_24
.LBB198_2:                              ; =>This Loop Header: Depth=1
                                        ;     Child Loop BB198_4 Depth 2
	s_waitcnt vmcnt(1)
	v_xor_b32_e32 v2, 0x80000000, v3
	v_xor_b32_e32 v3, 0x80000000, v4
	;; [unrolled: 1-line block ×4, first 2 shown]
	s_waitcnt vmcnt(0)
	v_xor_b32_e32 v6, 0x80000000, v7
	v_xor_b32_e32 v7, 0x80000000, v8
	;; [unrolled: 1-line block ×4, first 2 shown]
	ds_write2_b64 v11, v[2:3], v[4:5] offset1:1
	ds_write2_b64 v11, v[6:7], v[8:9] offset0:2 offset1:3
	; wave barrier
	ds_read2st64_b32 v[2:3], v12 offset1:1
	ds_read2st64_b32 v[4:5], v12 offset0:2 offset1:3
	ds_read2st64_b32 v[6:7], v12 offset0:4 offset1:5
	;; [unrolled: 1-line block ×3, first 2 shown]
	v_mov_b32_e32 v20, v1
	s_waitcnt lgkmcnt(0)
	; wave barrier
	; wave barrier
	;; [unrolled: 1-line block ×3, first 2 shown]
	s_branch .LBB198_4
.LBB198_3:                              ;   in Loop: Header=BB198_4 Depth=2
	s_andn2_b64 vcc, exec, s[14:15]
	s_cbranch_vccz .LBB198_1
.LBB198_4:                              ;   Parent Loop BB198_2 Depth=1
                                        ; =>  This Inner Loop Header: Depth=2
	v_mov_b32_e32 v24, v2
	v_mov_b32_e32 v23, v3
	v_lshrrev_b32_e32 v3, v20, v24
	v_and_b32_e32 v2, 0xff, v3
	v_mov_b32_e32 v19, v6
	v_lshl_add_u32 v6, v2, 2, v15
	v_and_b32_e32 v2, 1, v3
	v_mov_b32_e32 v22, v4
	v_add_co_u32_e32 v4, vcc, -1, v2
	v_mov_b32_e32 v21, v5
	v_addc_co_u32_e64 v5, s[14:15], 0, -1, vcc
	v_cmp_ne_u32_e32 vcc, 0, v2
	v_xor_b32_e32 v2, vcc_hi, v5
	v_and_b32_e32 v5, exec_hi, v2
	v_lshlrev_b32_e32 v2, 30, v3
	v_xor_b32_e32 v4, vcc_lo, v4
	v_cmp_gt_i64_e32 vcc, 0, v[1:2]
	v_not_b32_e32 v2, v2
	v_ashrrev_i32_e32 v2, 31, v2
	v_mov_b32_e32 v18, v7
	v_and_b32_e32 v4, exec_lo, v4
	v_xor_b32_e32 v7, vcc_hi, v2
	v_xor_b32_e32 v2, vcc_lo, v2
	v_and_b32_e32 v4, v4, v2
	v_lshlrev_b32_e32 v2, 29, v3
	v_cmp_gt_i64_e32 vcc, 0, v[1:2]
	v_not_b32_e32 v2, v2
	v_ashrrev_i32_e32 v2, 31, v2
	v_and_b32_e32 v5, v5, v7
	v_xor_b32_e32 v7, vcc_hi, v2
	v_xor_b32_e32 v2, vcc_lo, v2
	v_and_b32_e32 v4, v4, v2
	v_lshlrev_b32_e32 v2, 28, v3
	v_cmp_gt_i64_e32 vcc, 0, v[1:2]
	v_not_b32_e32 v2, v2
	v_ashrrev_i32_e32 v2, 31, v2
	v_and_b32_e32 v5, v5, v7
	;; [unrolled: 8-line block ×5, first 2 shown]
	v_xor_b32_e32 v7, vcc_hi, v2
	v_xor_b32_e32 v2, vcc_lo, v2
	v_and_b32_e32 v4, v4, v2
	v_lshlrev_b32_e32 v2, 24, v3
	v_cmp_gt_i64_e32 vcc, 0, v[1:2]
	v_not_b32_e32 v2, v2
	v_ashrrev_i32_e32 v2, 31, v2
	v_xor_b32_e32 v3, vcc_hi, v2
	v_xor_b32_e32 v2, vcc_lo, v2
	v_and_b32_e32 v5, v5, v7
	v_and_b32_e32 v2, v4, v2
	;; [unrolled: 1-line block ×3, first 2 shown]
	v_mbcnt_lo_u32_b32 v4, v2, 0
	v_mbcnt_hi_u32_b32 v7, v3, v4
	v_cmp_ne_u64_e32 vcc, 0, v[2:3]
	v_cmp_eq_u32_e64 s[14:15], 0, v7
	v_mov_b32_e32 v10, v9
	v_mov_b32_e32 v17, v8
	s_and_b64 s[24:25], vcc, s[14:15]
	ds_write2_b32 v13, v1, v1 offset0:1 offset1:2
	ds_write2_b32 v13, v1, v1 offset0:3 offset1:4
	s_waitcnt lgkmcnt(0)
	; wave barrier
	; wave barrier
	s_and_saveexec_b64 s[14:15], s[24:25]
; %bb.5:                                ;   in Loop: Header=BB198_4 Depth=2
	v_bcnt_u32_b32 v2, v2, 0
	v_bcnt_u32_b32 v2, v3, v2
	ds_write_b32 v6, v2 offset:4
; %bb.6:                                ;   in Loop: Header=BB198_4 Depth=2
	s_or_b64 exec, exec, s[14:15]
	v_lshrrev_b32_e32 v3, v20, v23
	v_and_b32_e32 v2, 0xff, v3
	v_lshl_add_u32 v9, v2, 2, v15
	v_and_b32_e32 v2, 1, v3
	v_add_co_u32_e32 v4, vcc, -1, v2
	v_addc_co_u32_e64 v5, s[14:15], 0, -1, vcc
	v_cmp_ne_u32_e32 vcc, 0, v2
	v_xor_b32_e32 v2, vcc_hi, v5
	v_and_b32_e32 v5, exec_hi, v2
	v_lshlrev_b32_e32 v2, 30, v3
	v_xor_b32_e32 v4, vcc_lo, v4
	v_cmp_gt_i64_e32 vcc, 0, v[1:2]
	v_not_b32_e32 v2, v2
	v_ashrrev_i32_e32 v2, 31, v2
	v_and_b32_e32 v4, exec_lo, v4
	v_xor_b32_e32 v25, vcc_hi, v2
	v_xor_b32_e32 v2, vcc_lo, v2
	v_and_b32_e32 v4, v4, v2
	v_lshlrev_b32_e32 v2, 29, v3
	v_cmp_gt_i64_e32 vcc, 0, v[1:2]
	v_not_b32_e32 v2, v2
	v_ashrrev_i32_e32 v2, 31, v2
	v_and_b32_e32 v5, v5, v25
	v_xor_b32_e32 v25, vcc_hi, v2
	v_xor_b32_e32 v2, vcc_lo, v2
	v_and_b32_e32 v4, v4, v2
	v_lshlrev_b32_e32 v2, 28, v3
	v_cmp_gt_i64_e32 vcc, 0, v[1:2]
	v_not_b32_e32 v2, v2
	v_ashrrev_i32_e32 v2, 31, v2
	v_and_b32_e32 v5, v5, v25
	;; [unrolled: 8-line block ×5, first 2 shown]
	v_xor_b32_e32 v25, vcc_hi, v2
	v_xor_b32_e32 v2, vcc_lo, v2
	v_and_b32_e32 v4, v4, v2
	v_lshlrev_b32_e32 v2, 24, v3
	v_cmp_gt_i64_e32 vcc, 0, v[1:2]
	v_not_b32_e32 v2, v2
	v_ashrrev_i32_e32 v2, 31, v2
	v_xor_b32_e32 v3, vcc_hi, v2
	v_xor_b32_e32 v2, vcc_lo, v2
	; wave barrier
	ds_read_b32 v8, v9 offset:4
	v_and_b32_e32 v5, v5, v25
	v_and_b32_e32 v2, v4, v2
	;; [unrolled: 1-line block ×3, first 2 shown]
	v_mbcnt_lo_u32_b32 v4, v2, 0
	v_mbcnt_hi_u32_b32 v25, v3, v4
	v_cmp_ne_u64_e32 vcc, 0, v[2:3]
	v_cmp_eq_u32_e64 s[14:15], 0, v25
	s_and_b64 s[24:25], vcc, s[14:15]
	; wave barrier
	s_and_saveexec_b64 s[14:15], s[24:25]
	s_cbranch_execz .LBB198_8
; %bb.7:                                ;   in Loop: Header=BB198_4 Depth=2
	v_bcnt_u32_b32 v2, v2, 0
	v_bcnt_u32_b32 v2, v3, v2
	s_waitcnt lgkmcnt(0)
	v_add_u32_e32 v2, v8, v2
	ds_write_b32 v9, v2 offset:4
.LBB198_8:                              ;   in Loop: Header=BB198_4 Depth=2
	s_or_b64 exec, exec, s[14:15]
	v_lshrrev_b32_e32 v3, v20, v22
	v_and_b32_e32 v2, 0xff, v3
	v_lshl_add_u32 v27, v2, 2, v15
	v_and_b32_e32 v2, 1, v3
	v_add_co_u32_e32 v4, vcc, -1, v2
	v_addc_co_u32_e64 v5, s[14:15], 0, -1, vcc
	v_cmp_ne_u32_e32 vcc, 0, v2
	v_xor_b32_e32 v2, vcc_hi, v5
	v_and_b32_e32 v5, exec_hi, v2
	v_lshlrev_b32_e32 v2, 30, v3
	v_xor_b32_e32 v4, vcc_lo, v4
	v_cmp_gt_i64_e32 vcc, 0, v[1:2]
	v_not_b32_e32 v2, v2
	v_ashrrev_i32_e32 v2, 31, v2
	v_and_b32_e32 v4, exec_lo, v4
	v_xor_b32_e32 v28, vcc_hi, v2
	v_xor_b32_e32 v2, vcc_lo, v2
	v_and_b32_e32 v4, v4, v2
	v_lshlrev_b32_e32 v2, 29, v3
	v_cmp_gt_i64_e32 vcc, 0, v[1:2]
	v_not_b32_e32 v2, v2
	v_ashrrev_i32_e32 v2, 31, v2
	v_and_b32_e32 v5, v5, v28
	v_xor_b32_e32 v28, vcc_hi, v2
	v_xor_b32_e32 v2, vcc_lo, v2
	v_and_b32_e32 v4, v4, v2
	v_lshlrev_b32_e32 v2, 28, v3
	v_cmp_gt_i64_e32 vcc, 0, v[1:2]
	v_not_b32_e32 v2, v2
	v_ashrrev_i32_e32 v2, 31, v2
	v_and_b32_e32 v5, v5, v28
	;; [unrolled: 8-line block ×5, first 2 shown]
	v_xor_b32_e32 v28, vcc_hi, v2
	v_xor_b32_e32 v2, vcc_lo, v2
	v_and_b32_e32 v4, v4, v2
	v_lshlrev_b32_e32 v2, 24, v3
	v_cmp_gt_i64_e32 vcc, 0, v[1:2]
	v_not_b32_e32 v2, v2
	v_ashrrev_i32_e32 v2, 31, v2
	v_xor_b32_e32 v3, vcc_hi, v2
	v_xor_b32_e32 v2, vcc_lo, v2
	; wave barrier
	ds_read_b32 v26, v27 offset:4
	v_and_b32_e32 v5, v5, v28
	v_and_b32_e32 v2, v4, v2
	v_and_b32_e32 v3, v5, v3
	v_mbcnt_lo_u32_b32 v4, v2, 0
	v_mbcnt_hi_u32_b32 v28, v3, v4
	v_cmp_ne_u64_e32 vcc, 0, v[2:3]
	v_cmp_eq_u32_e64 s[14:15], 0, v28
	s_and_b64 s[24:25], vcc, s[14:15]
	; wave barrier
	s_and_saveexec_b64 s[14:15], s[24:25]
	s_cbranch_execz .LBB198_10
; %bb.9:                                ;   in Loop: Header=BB198_4 Depth=2
	v_bcnt_u32_b32 v2, v2, 0
	v_bcnt_u32_b32 v2, v3, v2
	s_waitcnt lgkmcnt(0)
	v_add_u32_e32 v2, v26, v2
	ds_write_b32 v27, v2 offset:4
.LBB198_10:                             ;   in Loop: Header=BB198_4 Depth=2
	s_or_b64 exec, exec, s[14:15]
	v_lshrrev_b32_e32 v3, v20, v21
	v_and_b32_e32 v2, 0xff, v3
	v_lshl_add_u32 v30, v2, 2, v15
	v_and_b32_e32 v2, 1, v3
	v_add_co_u32_e32 v4, vcc, -1, v2
	v_addc_co_u32_e64 v5, s[14:15], 0, -1, vcc
	v_cmp_ne_u32_e32 vcc, 0, v2
	v_xor_b32_e32 v2, vcc_hi, v5
	v_and_b32_e32 v5, exec_hi, v2
	v_lshlrev_b32_e32 v2, 30, v3
	v_xor_b32_e32 v4, vcc_lo, v4
	v_cmp_gt_i64_e32 vcc, 0, v[1:2]
	v_not_b32_e32 v2, v2
	v_ashrrev_i32_e32 v2, 31, v2
	v_and_b32_e32 v4, exec_lo, v4
	v_xor_b32_e32 v31, vcc_hi, v2
	v_xor_b32_e32 v2, vcc_lo, v2
	v_and_b32_e32 v4, v4, v2
	v_lshlrev_b32_e32 v2, 29, v3
	v_cmp_gt_i64_e32 vcc, 0, v[1:2]
	v_not_b32_e32 v2, v2
	v_ashrrev_i32_e32 v2, 31, v2
	v_and_b32_e32 v5, v5, v31
	v_xor_b32_e32 v31, vcc_hi, v2
	v_xor_b32_e32 v2, vcc_lo, v2
	v_and_b32_e32 v4, v4, v2
	v_lshlrev_b32_e32 v2, 28, v3
	v_cmp_gt_i64_e32 vcc, 0, v[1:2]
	v_not_b32_e32 v2, v2
	v_ashrrev_i32_e32 v2, 31, v2
	v_and_b32_e32 v5, v5, v31
	;; [unrolled: 8-line block ×5, first 2 shown]
	v_xor_b32_e32 v31, vcc_hi, v2
	v_xor_b32_e32 v2, vcc_lo, v2
	v_and_b32_e32 v4, v4, v2
	v_lshlrev_b32_e32 v2, 24, v3
	v_cmp_gt_i64_e32 vcc, 0, v[1:2]
	v_not_b32_e32 v2, v2
	v_ashrrev_i32_e32 v2, 31, v2
	v_xor_b32_e32 v3, vcc_hi, v2
	v_xor_b32_e32 v2, vcc_lo, v2
	; wave barrier
	ds_read_b32 v29, v30 offset:4
	v_and_b32_e32 v5, v5, v31
	v_and_b32_e32 v2, v4, v2
	;; [unrolled: 1-line block ×3, first 2 shown]
	v_mbcnt_lo_u32_b32 v4, v2, 0
	v_mbcnt_hi_u32_b32 v31, v3, v4
	v_cmp_ne_u64_e32 vcc, 0, v[2:3]
	v_cmp_eq_u32_e64 s[14:15], 0, v31
	s_and_b64 s[24:25], vcc, s[14:15]
	; wave barrier
	s_and_saveexec_b64 s[14:15], s[24:25]
	s_cbranch_execz .LBB198_12
; %bb.11:                               ;   in Loop: Header=BB198_4 Depth=2
	v_bcnt_u32_b32 v2, v2, 0
	v_bcnt_u32_b32 v2, v3, v2
	s_waitcnt lgkmcnt(0)
	v_add_u32_e32 v2, v29, v2
	ds_write_b32 v30, v2 offset:4
.LBB198_12:                             ;   in Loop: Header=BB198_4 Depth=2
	s_or_b64 exec, exec, s[14:15]
	v_lshrrev_b32_e32 v3, v20, v19
	v_and_b32_e32 v2, 0xff, v3
	v_lshl_add_u32 v33, v2, 2, v15
	v_and_b32_e32 v2, 1, v3
	v_add_co_u32_e32 v4, vcc, -1, v2
	v_addc_co_u32_e64 v5, s[14:15], 0, -1, vcc
	v_cmp_ne_u32_e32 vcc, 0, v2
	v_xor_b32_e32 v2, vcc_hi, v5
	v_and_b32_e32 v5, exec_hi, v2
	v_lshlrev_b32_e32 v2, 30, v3
	v_xor_b32_e32 v4, vcc_lo, v4
	v_cmp_gt_i64_e32 vcc, 0, v[1:2]
	v_not_b32_e32 v2, v2
	v_ashrrev_i32_e32 v2, 31, v2
	v_and_b32_e32 v4, exec_lo, v4
	v_xor_b32_e32 v34, vcc_hi, v2
	v_xor_b32_e32 v2, vcc_lo, v2
	v_and_b32_e32 v4, v4, v2
	v_lshlrev_b32_e32 v2, 29, v3
	v_cmp_gt_i64_e32 vcc, 0, v[1:2]
	v_not_b32_e32 v2, v2
	v_ashrrev_i32_e32 v2, 31, v2
	v_and_b32_e32 v5, v5, v34
	v_xor_b32_e32 v34, vcc_hi, v2
	v_xor_b32_e32 v2, vcc_lo, v2
	v_and_b32_e32 v4, v4, v2
	v_lshlrev_b32_e32 v2, 28, v3
	v_cmp_gt_i64_e32 vcc, 0, v[1:2]
	v_not_b32_e32 v2, v2
	v_ashrrev_i32_e32 v2, 31, v2
	v_and_b32_e32 v5, v5, v34
	;; [unrolled: 8-line block ×5, first 2 shown]
	v_xor_b32_e32 v34, vcc_hi, v2
	v_xor_b32_e32 v2, vcc_lo, v2
	v_and_b32_e32 v4, v4, v2
	v_lshlrev_b32_e32 v2, 24, v3
	v_cmp_gt_i64_e32 vcc, 0, v[1:2]
	v_not_b32_e32 v2, v2
	v_ashrrev_i32_e32 v2, 31, v2
	v_xor_b32_e32 v3, vcc_hi, v2
	v_xor_b32_e32 v2, vcc_lo, v2
	; wave barrier
	ds_read_b32 v32, v33 offset:4
	v_and_b32_e32 v5, v5, v34
	v_and_b32_e32 v2, v4, v2
	;; [unrolled: 1-line block ×3, first 2 shown]
	v_mbcnt_lo_u32_b32 v4, v2, 0
	v_mbcnt_hi_u32_b32 v34, v3, v4
	v_cmp_ne_u64_e32 vcc, 0, v[2:3]
	v_cmp_eq_u32_e64 s[14:15], 0, v34
	s_and_b64 s[24:25], vcc, s[14:15]
	; wave barrier
	s_and_saveexec_b64 s[14:15], s[24:25]
	s_cbranch_execz .LBB198_14
; %bb.13:                               ;   in Loop: Header=BB198_4 Depth=2
	v_bcnt_u32_b32 v2, v2, 0
	v_bcnt_u32_b32 v2, v3, v2
	s_waitcnt lgkmcnt(0)
	v_add_u32_e32 v2, v32, v2
	ds_write_b32 v33, v2 offset:4
.LBB198_14:                             ;   in Loop: Header=BB198_4 Depth=2
	s_or_b64 exec, exec, s[14:15]
	v_lshrrev_b32_e32 v3, v20, v18
	v_and_b32_e32 v2, 0xff, v3
	v_lshl_add_u32 v36, v2, 2, v15
	v_and_b32_e32 v2, 1, v3
	v_add_co_u32_e32 v4, vcc, -1, v2
	v_addc_co_u32_e64 v5, s[14:15], 0, -1, vcc
	v_cmp_ne_u32_e32 vcc, 0, v2
	v_xor_b32_e32 v2, vcc_hi, v5
	v_and_b32_e32 v5, exec_hi, v2
	v_lshlrev_b32_e32 v2, 30, v3
	v_xor_b32_e32 v4, vcc_lo, v4
	v_cmp_gt_i64_e32 vcc, 0, v[1:2]
	v_not_b32_e32 v2, v2
	v_ashrrev_i32_e32 v2, 31, v2
	v_and_b32_e32 v4, exec_lo, v4
	v_xor_b32_e32 v37, vcc_hi, v2
	v_xor_b32_e32 v2, vcc_lo, v2
	v_and_b32_e32 v4, v4, v2
	v_lshlrev_b32_e32 v2, 29, v3
	v_cmp_gt_i64_e32 vcc, 0, v[1:2]
	v_not_b32_e32 v2, v2
	v_ashrrev_i32_e32 v2, 31, v2
	v_and_b32_e32 v5, v5, v37
	v_xor_b32_e32 v37, vcc_hi, v2
	v_xor_b32_e32 v2, vcc_lo, v2
	v_and_b32_e32 v4, v4, v2
	v_lshlrev_b32_e32 v2, 28, v3
	v_cmp_gt_i64_e32 vcc, 0, v[1:2]
	v_not_b32_e32 v2, v2
	v_ashrrev_i32_e32 v2, 31, v2
	v_and_b32_e32 v5, v5, v37
	;; [unrolled: 8-line block ×5, first 2 shown]
	v_xor_b32_e32 v37, vcc_hi, v2
	v_xor_b32_e32 v2, vcc_lo, v2
	v_and_b32_e32 v4, v4, v2
	v_lshlrev_b32_e32 v2, 24, v3
	v_cmp_gt_i64_e32 vcc, 0, v[1:2]
	v_not_b32_e32 v2, v2
	v_ashrrev_i32_e32 v2, 31, v2
	v_xor_b32_e32 v3, vcc_hi, v2
	v_xor_b32_e32 v2, vcc_lo, v2
	; wave barrier
	ds_read_b32 v35, v36 offset:4
	v_and_b32_e32 v5, v5, v37
	v_and_b32_e32 v2, v4, v2
	;; [unrolled: 1-line block ×3, first 2 shown]
	v_mbcnt_lo_u32_b32 v4, v2, 0
	v_mbcnt_hi_u32_b32 v37, v3, v4
	v_cmp_ne_u64_e32 vcc, 0, v[2:3]
	v_cmp_eq_u32_e64 s[14:15], 0, v37
	s_and_b64 s[24:25], vcc, s[14:15]
	; wave barrier
	s_and_saveexec_b64 s[14:15], s[24:25]
	s_cbranch_execz .LBB198_16
; %bb.15:                               ;   in Loop: Header=BB198_4 Depth=2
	v_bcnt_u32_b32 v2, v2, 0
	v_bcnt_u32_b32 v2, v3, v2
	s_waitcnt lgkmcnt(0)
	v_add_u32_e32 v2, v35, v2
	ds_write_b32 v36, v2 offset:4
.LBB198_16:                             ;   in Loop: Header=BB198_4 Depth=2
	s_or_b64 exec, exec, s[14:15]
	v_lshrrev_b32_e32 v3, v20, v17
	v_and_b32_e32 v2, 0xff, v3
	v_lshl_add_u32 v39, v2, 2, v15
	v_and_b32_e32 v2, 1, v3
	v_add_co_u32_e32 v4, vcc, -1, v2
	v_addc_co_u32_e64 v5, s[14:15], 0, -1, vcc
	v_cmp_ne_u32_e32 vcc, 0, v2
	v_xor_b32_e32 v2, vcc_hi, v5
	v_and_b32_e32 v5, exec_hi, v2
	v_lshlrev_b32_e32 v2, 30, v3
	v_xor_b32_e32 v4, vcc_lo, v4
	v_cmp_gt_i64_e32 vcc, 0, v[1:2]
	v_not_b32_e32 v2, v2
	v_ashrrev_i32_e32 v2, 31, v2
	v_and_b32_e32 v4, exec_lo, v4
	v_xor_b32_e32 v40, vcc_hi, v2
	v_xor_b32_e32 v2, vcc_lo, v2
	v_and_b32_e32 v4, v4, v2
	v_lshlrev_b32_e32 v2, 29, v3
	v_cmp_gt_i64_e32 vcc, 0, v[1:2]
	v_not_b32_e32 v2, v2
	v_ashrrev_i32_e32 v2, 31, v2
	v_and_b32_e32 v5, v5, v40
	v_xor_b32_e32 v40, vcc_hi, v2
	v_xor_b32_e32 v2, vcc_lo, v2
	v_and_b32_e32 v4, v4, v2
	v_lshlrev_b32_e32 v2, 28, v3
	v_cmp_gt_i64_e32 vcc, 0, v[1:2]
	v_not_b32_e32 v2, v2
	v_ashrrev_i32_e32 v2, 31, v2
	v_and_b32_e32 v5, v5, v40
	;; [unrolled: 8-line block ×5, first 2 shown]
	v_xor_b32_e32 v40, vcc_hi, v2
	v_xor_b32_e32 v2, vcc_lo, v2
	v_and_b32_e32 v4, v4, v2
	v_lshlrev_b32_e32 v2, 24, v3
	v_cmp_gt_i64_e32 vcc, 0, v[1:2]
	v_not_b32_e32 v2, v2
	v_ashrrev_i32_e32 v2, 31, v2
	v_xor_b32_e32 v3, vcc_hi, v2
	v_xor_b32_e32 v2, vcc_lo, v2
	; wave barrier
	ds_read_b32 v38, v39 offset:4
	v_and_b32_e32 v5, v5, v40
	v_and_b32_e32 v2, v4, v2
	;; [unrolled: 1-line block ×3, first 2 shown]
	v_mbcnt_lo_u32_b32 v4, v2, 0
	v_mbcnt_hi_u32_b32 v40, v3, v4
	v_cmp_ne_u64_e32 vcc, 0, v[2:3]
	v_cmp_eq_u32_e64 s[14:15], 0, v40
	s_and_b64 s[24:25], vcc, s[14:15]
	; wave barrier
	s_and_saveexec_b64 s[14:15], s[24:25]
	s_cbranch_execz .LBB198_18
; %bb.17:                               ;   in Loop: Header=BB198_4 Depth=2
	v_bcnt_u32_b32 v2, v2, 0
	v_bcnt_u32_b32 v2, v3, v2
	s_waitcnt lgkmcnt(0)
	v_add_u32_e32 v2, v38, v2
	ds_write_b32 v39, v2 offset:4
.LBB198_18:                             ;   in Loop: Header=BB198_4 Depth=2
	s_or_b64 exec, exec, s[14:15]
	v_lshrrev_b32_e32 v3, v20, v10
	v_and_b32_e32 v2, 0xff, v3
	v_lshl_add_u32 v42, v2, 2, v15
	v_and_b32_e32 v2, 1, v3
	v_add_co_u32_e32 v4, vcc, -1, v2
	v_addc_co_u32_e64 v5, s[14:15], 0, -1, vcc
	v_cmp_ne_u32_e32 vcc, 0, v2
	v_xor_b32_e32 v2, vcc_hi, v5
	v_and_b32_e32 v5, exec_hi, v2
	v_lshlrev_b32_e32 v2, 30, v3
	v_xor_b32_e32 v4, vcc_lo, v4
	v_cmp_gt_i64_e32 vcc, 0, v[1:2]
	v_not_b32_e32 v2, v2
	v_ashrrev_i32_e32 v2, 31, v2
	v_and_b32_e32 v4, exec_lo, v4
	v_xor_b32_e32 v43, vcc_hi, v2
	v_xor_b32_e32 v2, vcc_lo, v2
	v_and_b32_e32 v4, v4, v2
	v_lshlrev_b32_e32 v2, 29, v3
	v_cmp_gt_i64_e32 vcc, 0, v[1:2]
	v_not_b32_e32 v2, v2
	v_ashrrev_i32_e32 v2, 31, v2
	v_and_b32_e32 v5, v5, v43
	v_xor_b32_e32 v43, vcc_hi, v2
	v_xor_b32_e32 v2, vcc_lo, v2
	v_and_b32_e32 v4, v4, v2
	v_lshlrev_b32_e32 v2, 28, v3
	v_cmp_gt_i64_e32 vcc, 0, v[1:2]
	v_not_b32_e32 v2, v2
	v_ashrrev_i32_e32 v2, 31, v2
	v_and_b32_e32 v5, v5, v43
	;; [unrolled: 8-line block ×5, first 2 shown]
	v_xor_b32_e32 v43, vcc_hi, v2
	v_xor_b32_e32 v2, vcc_lo, v2
	v_and_b32_e32 v4, v4, v2
	v_lshlrev_b32_e32 v2, 24, v3
	v_cmp_gt_i64_e32 vcc, 0, v[1:2]
	v_not_b32_e32 v2, v2
	v_ashrrev_i32_e32 v2, 31, v2
	v_xor_b32_e32 v3, vcc_hi, v2
	v_xor_b32_e32 v2, vcc_lo, v2
	; wave barrier
	ds_read_b32 v41, v42 offset:4
	v_and_b32_e32 v5, v5, v43
	v_and_b32_e32 v2, v4, v2
	;; [unrolled: 1-line block ×3, first 2 shown]
	v_mbcnt_lo_u32_b32 v4, v2, 0
	v_mbcnt_hi_u32_b32 v43, v3, v4
	v_cmp_ne_u64_e32 vcc, 0, v[2:3]
	v_cmp_eq_u32_e64 s[14:15], 0, v43
	s_and_b64 s[24:25], vcc, s[14:15]
	; wave barrier
	s_and_saveexec_b64 s[14:15], s[24:25]
	s_cbranch_execz .LBB198_20
; %bb.19:                               ;   in Loop: Header=BB198_4 Depth=2
	v_bcnt_u32_b32 v2, v2, 0
	v_bcnt_u32_b32 v2, v3, v2
	s_waitcnt lgkmcnt(0)
	v_add_u32_e32 v2, v41, v2
	ds_write_b32 v42, v2 offset:4
.LBB198_20:                             ;   in Loop: Header=BB198_4 Depth=2
	s_or_b64 exec, exec, s[14:15]
	; wave barrier
	s_waitcnt lgkmcnt(0)
	; wave barrier
	ds_read2_b32 v[4:5], v13 offset0:1 offset1:2
	ds_read2_b32 v[2:3], v13 offset0:3 offset1:4
	s_waitcnt lgkmcnt(1)
	v_add_u32_e32 v44, v5, v4
	s_waitcnt lgkmcnt(0)
	v_add3_u32 v3, v44, v2, v3
	s_nop 1
	v_mov_b32_dpp v44, v3 row_shr:1 row_mask:0xf bank_mask:0xf
	v_cndmask_b32_e64 v44, v44, 0, s[0:1]
	v_add_u32_e32 v3, v44, v3
	s_nop 1
	v_mov_b32_dpp v44, v3 row_shr:2 row_mask:0xf bank_mask:0xf
	v_cndmask_b32_e64 v44, 0, v44, s[2:3]
	v_add_u32_e32 v3, v3, v44
	;; [unrolled: 4-line block ×4, first 2 shown]
	s_nop 1
	v_mov_b32_dpp v44, v3 row_bcast:15 row_mask:0xf bank_mask:0xf
	v_cndmask_b32_e64 v44, v44, 0, s[8:9]
	v_add_u32_e32 v3, v3, v44
	s_nop 1
	v_mov_b32_dpp v44, v3 row_bcast:31 row_mask:0xf bank_mask:0xf
	v_cndmask_b32_e64 v44, 0, v44, s[10:11]
	v_add_u32_e32 v3, v3, v44
	s_and_saveexec_b64 s[14:15], s[12:13]
; %bb.21:                               ;   in Loop: Header=BB198_4 Depth=2
	ds_write_b32 v1, v3
; %bb.22:                               ;   in Loop: Header=BB198_4 Depth=2
	s_or_b64 exec, exec, s[14:15]
	ds_bpermute_b32 v3, v14, v3
	s_waitcnt lgkmcnt(0)
	; wave barrier
	v_cmp_lt_u32_e32 vcc, 23, v20
	s_and_b64 vcc, exec, vcc
	v_cndmask_b32_e64 v3, v3, 0, s[16:17]
	v_add_u32_e32 v4, v3, v4
	v_add_u32_e32 v5, v4, v5
	;; [unrolled: 1-line block ×3, first 2 shown]
	ds_write2_b32 v13, v3, v4 offset0:1 offset1:2
	ds_write2_b32 v13, v5, v2 offset0:3 offset1:4
	s_waitcnt lgkmcnt(0)
	; wave barrier
	ds_read_b32 v2, v6 offset:4
	ds_read_b32 v3, v9 offset:4
	;; [unrolled: 1-line block ×8, first 2 shown]
	s_waitcnt lgkmcnt(7)
	v_add_u32_e32 v36, v2, v7
	s_waitcnt lgkmcnt(6)
	v_add3_u32 v33, v25, v8, v3
	s_waitcnt lgkmcnt(5)
	v_add3_u32 v30, v28, v26, v4
	;; [unrolled: 2-line block ×7, first 2 shown]
	s_mov_b64 s[14:15], -1
                                        ; implicit-def: $vgpr9
                                        ; implicit-def: $vgpr7
                                        ; implicit-def: $vgpr5
                                        ; implicit-def: $vgpr3
	s_cbranch_vccnz .LBB198_3
; %bb.23:                               ;   in Loop: Header=BB198_4 Depth=2
	v_lshlrev_b32_e32 v2, 2, v36
	; wave barrier
	ds_write_b32 v2, v24
	v_lshlrev_b32_e32 v2, 2, v33
	ds_write_b32 v2, v23
	v_lshlrev_b32_e32 v2, 2, v30
	ds_write_b32 v2, v22
	v_lshlrev_b32_e32 v2, 2, v29
	ds_write_b32 v2, v21
	v_lshlrev_b32_e32 v2, 2, v28
	ds_write_b32 v2, v19
	v_lshlrev_b32_e32 v2, 2, v27
	ds_write_b32 v2, v18
	v_lshlrev_b32_e32 v2, 2, v26
	ds_write_b32 v2, v17
	v_lshlrev_b32_e32 v2, 2, v25
	ds_write_b32 v2, v10
	s_waitcnt lgkmcnt(0)
	; wave barrier
	ds_read2st64_b32 v[2:3], v12 offset1:1
	ds_read2st64_b32 v[4:5], v12 offset0:2 offset1:3
	ds_read2st64_b32 v[6:7], v12 offset0:4 offset1:5
	;; [unrolled: 1-line block ×3, first 2 shown]
	v_add_u32_e32 v20, 8, v20
	s_mov_b64 s[14:15], 0
	s_waitcnt lgkmcnt(0)
	; wave barrier
	s_branch .LBB198_3
.LBB198_24:
	s_add_u32 s0, s18, s22
	s_addc_u32 s1, s19, s23
	v_lshlrev_b32_e32 v0, 2, v0
	global_store_dword v0, v3, s[0:1]
	global_store_dword v0, v4, s[0:1] offset:256
	global_store_dword v0, v5, s[0:1] offset:512
	;; [unrolled: 1-line block ×7, first 2 shown]
	s_endpgm
	.section	.rodata,"a",@progbits
	.p2align	6, 0x0
	.amdhsa_kernel _Z16sort_keys_kernelI22helper_blocked_stripediLj64ELj8ELj10EEvPKT0_PS1_
		.amdhsa_group_segment_fixed_size 2048
		.amdhsa_private_segment_fixed_size 0
		.amdhsa_kernarg_size 272
		.amdhsa_user_sgpr_count 6
		.amdhsa_user_sgpr_private_segment_buffer 1
		.amdhsa_user_sgpr_dispatch_ptr 0
		.amdhsa_user_sgpr_queue_ptr 0
		.amdhsa_user_sgpr_kernarg_segment_ptr 1
		.amdhsa_user_sgpr_dispatch_id 0
		.amdhsa_user_sgpr_flat_scratch_init 0
		.amdhsa_user_sgpr_private_segment_size 0
		.amdhsa_uses_dynamic_stack 0
		.amdhsa_system_sgpr_private_segment_wavefront_offset 0
		.amdhsa_system_sgpr_workgroup_id_x 1
		.amdhsa_system_sgpr_workgroup_id_y 0
		.amdhsa_system_sgpr_workgroup_id_z 0
		.amdhsa_system_sgpr_workgroup_info 0
		.amdhsa_system_vgpr_workitem_id 2
		.amdhsa_next_free_vgpr 45
		.amdhsa_next_free_sgpr 61
		.amdhsa_reserve_vcc 1
		.amdhsa_reserve_flat_scratch 0
		.amdhsa_float_round_mode_32 0
		.amdhsa_float_round_mode_16_64 0
		.amdhsa_float_denorm_mode_32 3
		.amdhsa_float_denorm_mode_16_64 3
		.amdhsa_dx10_clamp 1
		.amdhsa_ieee_mode 1
		.amdhsa_fp16_overflow 0
		.amdhsa_exception_fp_ieee_invalid_op 0
		.amdhsa_exception_fp_denorm_src 0
		.amdhsa_exception_fp_ieee_div_zero 0
		.amdhsa_exception_fp_ieee_overflow 0
		.amdhsa_exception_fp_ieee_underflow 0
		.amdhsa_exception_fp_ieee_inexact 0
		.amdhsa_exception_int_div_zero 0
	.end_amdhsa_kernel
	.section	.text._Z16sort_keys_kernelI22helper_blocked_stripediLj64ELj8ELj10EEvPKT0_PS1_,"axG",@progbits,_Z16sort_keys_kernelI22helper_blocked_stripediLj64ELj8ELj10EEvPKT0_PS1_,comdat
.Lfunc_end198:
	.size	_Z16sort_keys_kernelI22helper_blocked_stripediLj64ELj8ELj10EEvPKT0_PS1_, .Lfunc_end198-_Z16sort_keys_kernelI22helper_blocked_stripediLj64ELj8ELj10EEvPKT0_PS1_
                                        ; -- End function
	.set _Z16sort_keys_kernelI22helper_blocked_stripediLj64ELj8ELj10EEvPKT0_PS1_.num_vgpr, 45
	.set _Z16sort_keys_kernelI22helper_blocked_stripediLj64ELj8ELj10EEvPKT0_PS1_.num_agpr, 0
	.set _Z16sort_keys_kernelI22helper_blocked_stripediLj64ELj8ELj10EEvPKT0_PS1_.numbered_sgpr, 26
	.set _Z16sort_keys_kernelI22helper_blocked_stripediLj64ELj8ELj10EEvPKT0_PS1_.num_named_barrier, 0
	.set _Z16sort_keys_kernelI22helper_blocked_stripediLj64ELj8ELj10EEvPKT0_PS1_.private_seg_size, 0
	.set _Z16sort_keys_kernelI22helper_blocked_stripediLj64ELj8ELj10EEvPKT0_PS1_.uses_vcc, 1
	.set _Z16sort_keys_kernelI22helper_blocked_stripediLj64ELj8ELj10EEvPKT0_PS1_.uses_flat_scratch, 0
	.set _Z16sort_keys_kernelI22helper_blocked_stripediLj64ELj8ELj10EEvPKT0_PS1_.has_dyn_sized_stack, 0
	.set _Z16sort_keys_kernelI22helper_blocked_stripediLj64ELj8ELj10EEvPKT0_PS1_.has_recursion, 0
	.set _Z16sort_keys_kernelI22helper_blocked_stripediLj64ELj8ELj10EEvPKT0_PS1_.has_indirect_call, 0
	.section	.AMDGPU.csdata,"",@progbits
; Kernel info:
; codeLenInByte = 4208
; TotalNumSgprs: 30
; NumVgprs: 45
; ScratchSize: 0
; MemoryBound: 0
; FloatMode: 240
; IeeeMode: 1
; LDSByteSize: 2048 bytes/workgroup (compile time only)
; SGPRBlocks: 8
; VGPRBlocks: 11
; NumSGPRsForWavesPerEU: 65
; NumVGPRsForWavesPerEU: 45
; Occupancy: 5
; WaveLimiterHint : 1
; COMPUTE_PGM_RSRC2:SCRATCH_EN: 0
; COMPUTE_PGM_RSRC2:USER_SGPR: 6
; COMPUTE_PGM_RSRC2:TRAP_HANDLER: 0
; COMPUTE_PGM_RSRC2:TGID_X_EN: 1
; COMPUTE_PGM_RSRC2:TGID_Y_EN: 0
; COMPUTE_PGM_RSRC2:TGID_Z_EN: 0
; COMPUTE_PGM_RSRC2:TIDIG_COMP_CNT: 2
	.section	.text._Z17sort_pairs_kernelI22helper_blocked_stripediLj64ELj8ELj10EEvPKT0_PS1_,"axG",@progbits,_Z17sort_pairs_kernelI22helper_blocked_stripediLj64ELj8ELj10EEvPKT0_PS1_,comdat
	.protected	_Z17sort_pairs_kernelI22helper_blocked_stripediLj64ELj8ELj10EEvPKT0_PS1_ ; -- Begin function _Z17sort_pairs_kernelI22helper_blocked_stripediLj64ELj8ELj10EEvPKT0_PS1_
	.globl	_Z17sort_pairs_kernelI22helper_blocked_stripediLj64ELj8ELj10EEvPKT0_PS1_
	.p2align	8
	.type	_Z17sort_pairs_kernelI22helper_blocked_stripediLj64ELj8ELj10EEvPKT0_PS1_,@function
_Z17sort_pairs_kernelI22helper_blocked_stripediLj64ELj8ELj10EEvPKT0_PS1_: ; @_Z17sort_pairs_kernelI22helper_blocked_stripediLj64ELj8ELj10EEvPKT0_PS1_
; %bb.0:
	s_load_dwordx4 s[16:19], s[4:5], 0x0
	s_load_dword s24, s[4:5], 0x1c
	s_lshl_b32 s22, s6, 9
	s_mov_b32 s23, 0
	s_lshl_b64 s[20:21], s[22:23], 2
	s_waitcnt lgkmcnt(0)
	s_add_u32 s0, s16, s20
	s_addc_u32 s1, s17, s21
	v_lshlrev_b32_e32 v11, 5, v0
	global_load_dwordx4 v[7:10], v11, s[0:1]
	global_load_dwordx4 v[3:6], v11, s[0:1] offset:16
	v_mbcnt_lo_u32_b32 v12, -1, 0
	v_mbcnt_hi_u32_b32 v12, -1, v12
	s_lshr_b32 s22, s24, 16
	v_subrev_co_u32_e64 v15, s[14:15], 1, v12
	v_and_b32_e32 v16, 64, v12
	s_and_b32 s24, s24, 0xffff
	v_mad_u32_u24 v1, v2, s22, v1
	v_cmp_lt_i32_e64 s[16:17], v15, v16
	v_mad_u32_u24 v1, v1, s24, v0
	v_lshlrev_b32_e32 v20, 4, v0
	v_cmp_eq_u32_e32 vcc, 0, v0
	v_mul_i32_i24_e32 v25, -12, v0
	v_lshlrev_b32_e32 v21, 5, v12
	v_lshlrev_b32_e32 v22, 2, v12
	v_and_b32_e32 v13, 15, v12
	v_and_b32_e32 v14, 16, v12
	v_cmp_lt_u32_e64 s[2:3], 31, v12
	v_cndmask_b32_e64 v12, v15, v12, s[16:17]
	v_lshrrev_b32_e32 v1, 4, v1
	v_mov_b32_e32 v11, 0
	v_cmp_eq_u32_e64 s[0:1], 63, v0
	v_cmp_eq_u32_e64 s[4:5], 0, v13
	v_cmp_lt_u32_e64 s[6:7], 1, v13
	v_cmp_lt_u32_e64 s[8:9], 3, v13
	;; [unrolled: 1-line block ×3, first 2 shown]
	v_cmp_eq_u32_e64 s[12:13], 0, v14
	v_lshlrev_b32_e32 v23, 2, v12
	s_or_b64 s[16:17], vcc, s[14:15]
	v_and_b32_e32 v24, 0xffffffc, v1
	v_add_u32_e32 v25, v20, v25
	s_waitcnt vmcnt(1)
	v_add_u32_e32 v14, 1, v7
	v_add_u32_e32 v15, 1, v8
	;; [unrolled: 1-line block ×4, first 2 shown]
	s_waitcnt vmcnt(0)
	v_add_u32_e32 v12, 1, v3
	v_add_u32_e32 v13, 1, v4
	;; [unrolled: 1-line block ×4, first 2 shown]
	s_branch .LBB199_2
.LBB199_1:                              ;   in Loop: Header=BB199_2 Depth=1
	v_lshlrev_b32_e32 v7, 2, v53
	v_lshlrev_b32_e32 v8, 2, v52
	;; [unrolled: 1-line block ×8, first 2 shown]
	; wave barrier
	ds_write_b32 v7, v40
	ds_write_b32 v8, v39
	;; [unrolled: 1-line block ×8, first 2 shown]
	s_waitcnt lgkmcnt(0)
	; wave barrier
	ds_read2st64_b32 v[1:2], v25 offset1:1
	ds_read2st64_b32 v[3:4], v25 offset0:2 offset1:3
	ds_read2st64_b32 v[5:6], v25 offset0:4 offset1:5
	;; [unrolled: 1-line block ×3, first 2 shown]
	s_waitcnt lgkmcnt(0)
	; wave barrier
	ds_write_b32 v7, v34
	ds_write_b32 v8, v32
	ds_write_b32 v9, v29
	ds_write_b32 v10, v28
	ds_write_b32 v12, v27
	ds_write_b32 v13, v26
	ds_write_b32 v14, v19
	ds_write_b32 v15, v18
	s_waitcnt lgkmcnt(0)
	; wave barrier
	ds_read2st64_b32 v[14:15], v25 offset1:1
	ds_read2st64_b32 v[18:19], v25 offset0:2 offset1:3
	ds_read2st64_b32 v[12:13], v25 offset0:4 offset1:5
	;; [unrolled: 1-line block ×3, first 2 shown]
	s_add_i32 s23, s23, 1
	v_xor_b32_e32 v7, 0x80000000, v1
	v_xor_b32_e32 v8, 0x80000000, v2
	;; [unrolled: 1-line block ×7, first 2 shown]
	s_cmp_eq_u32 s23, 10
	v_xor_b32_e32 v6, 0x80000000, v31
	s_cbranch_scc1 .LBB199_24
.LBB199_2:                              ; =>This Loop Header: Depth=1
                                        ;     Child Loop BB199_4 Depth 2
	v_xor_b32_e32 v1, 0x80000000, v7
	v_xor_b32_e32 v2, 0x80000000, v8
	;; [unrolled: 1-line block ×8, first 2 shown]
	ds_write2_b64 v21, v[1:2], v[7:8] offset1:1
	ds_write2_b64 v21, v[3:4], v[5:6] offset0:2 offset1:3
	; wave barrier
	ds_read2st64_b32 v[1:2], v22 offset1:1
	ds_read2st64_b32 v[3:4], v22 offset0:2 offset1:3
	ds_read2st64_b32 v[5:6], v22 offset0:4 offset1:5
	;; [unrolled: 1-line block ×3, first 2 shown]
	; wave barrier
	s_waitcnt lgkmcnt(8)
	ds_write2_b64 v21, v[14:15], v[18:19] offset1:1
	s_waitcnt lgkmcnt(7)
	ds_write2_b64 v21, v[12:13], v[16:17] offset0:2 offset1:3
	; wave barrier
	ds_read2st64_b32 v[9:10], v22 offset1:1
	ds_read2st64_b32 v[12:13], v22 offset0:2 offset1:3
	ds_read2st64_b32 v[14:15], v22 offset0:4 offset1:5
	;; [unrolled: 1-line block ×3, first 2 shown]
	v_mov_b32_e32 v31, v11
	s_waitcnt lgkmcnt(0)
	; wave barrier
	s_branch .LBB199_4
.LBB199_3:                              ;   in Loop: Header=BB199_4 Depth=2
	s_andn2_b64 vcc, exec, s[14:15]
	s_cbranch_vccz .LBB199_1
.LBB199_4:                              ;   Parent Loop BB199_2 Depth=1
                                        ; =>  This Inner Loop Header: Depth=2
	v_mov_b32_e32 v40, v1
	v_lshrrev_b32_e32 v1, v31, v40
	v_mov_b32_e32 v39, v2
	v_and_b32_e32 v2, 0xff, v1
	v_mov_b32_e32 v36, v5
	v_lshl_add_u32 v5, v2, 2, v24
	v_and_b32_e32 v2, 1, v1
	v_mov_b32_e32 v38, v3
	v_add_co_u32_e32 v3, vcc, -1, v2
	v_mov_b32_e32 v37, v4
	v_mov_b32_e32 v29, v12
	v_addc_co_u32_e64 v4, s[14:15], 0, -1, vcc
	v_cmp_ne_u32_e32 vcc, 0, v2
	v_lshlrev_b32_e32 v12, 30, v1
	v_xor_b32_e32 v2, vcc_hi, v4
	v_xor_b32_e32 v3, vcc_lo, v3
	v_cmp_gt_i64_e32 vcc, 0, v[11:12]
	v_not_b32_e32 v4, v12
	v_ashrrev_i32_e32 v4, 31, v4
	v_mov_b32_e32 v35, v6
	v_and_b32_e32 v3, exec_lo, v3
	v_xor_b32_e32 v6, vcc_hi, v4
	v_xor_b32_e32 v4, vcc_lo, v4
	v_lshlrev_b32_e32 v12, 29, v1
	v_and_b32_e32 v3, v3, v4
	v_cmp_gt_i64_e32 vcc, 0, v[11:12]
	v_not_b32_e32 v4, v12
	v_and_b32_e32 v2, exec_hi, v2
	v_ashrrev_i32_e32 v4, 31, v4
	v_and_b32_e32 v2, v2, v6
	v_xor_b32_e32 v6, vcc_hi, v4
	v_xor_b32_e32 v4, vcc_lo, v4
	v_lshlrev_b32_e32 v12, 28, v1
	v_and_b32_e32 v3, v3, v4
	v_cmp_gt_i64_e32 vcc, 0, v[11:12]
	v_not_b32_e32 v4, v12
	v_ashrrev_i32_e32 v4, 31, v4
	v_and_b32_e32 v2, v2, v6
	v_xor_b32_e32 v6, vcc_hi, v4
	v_xor_b32_e32 v4, vcc_lo, v4
	v_lshlrev_b32_e32 v12, 27, v1
	v_and_b32_e32 v3, v3, v4
	v_cmp_gt_i64_e32 vcc, 0, v[11:12]
	v_not_b32_e32 v4, v12
	;; [unrolled: 8-line block ×4, first 2 shown]
	v_ashrrev_i32_e32 v4, 31, v4
	v_lshlrev_b32_e32 v12, 24, v1
	v_and_b32_e32 v2, v2, v6
	v_xor_b32_e32 v6, vcc_hi, v4
	v_xor_b32_e32 v4, vcc_lo, v4
	v_cmp_gt_i64_e32 vcc, 0, v[11:12]
	v_not_b32_e32 v1, v12
	v_ashrrev_i32_e32 v1, 31, v1
	v_and_b32_e32 v3, v3, v4
	v_xor_b32_e32 v4, vcc_hi, v1
	v_xor_b32_e32 v1, vcc_lo, v1
	v_and_b32_e32 v2, v2, v6
	v_and_b32_e32 v1, v3, v1
	;; [unrolled: 1-line block ×3, first 2 shown]
	v_mbcnt_lo_u32_b32 v3, v1, 0
	v_mbcnt_hi_u32_b32 v6, v2, v3
	v_cmp_ne_u64_e32 vcc, 0, v[1:2]
	v_cmp_eq_u32_e64 s[14:15], 0, v6
	v_mov_b32_e32 v30, v8
	v_mov_b32_e32 v33, v7
	;; [unrolled: 1-line block ×9, first 2 shown]
	s_and_b64 s[24:25], vcc, s[14:15]
	ds_write2_b32 v20, v11, v11 offset0:1 offset1:2
	ds_write2_b32 v20, v11, v11 offset0:3 offset1:4
	s_waitcnt lgkmcnt(0)
	; wave barrier
	; wave barrier
	s_and_saveexec_b64 s[14:15], s[24:25]
; %bb.5:                                ;   in Loop: Header=BB199_4 Depth=2
	v_bcnt_u32_b32 v1, v1, 0
	v_bcnt_u32_b32 v1, v2, v1
	ds_write_b32 v5, v1 offset:4
; %bb.6:                                ;   in Loop: Header=BB199_4 Depth=2
	s_or_b64 exec, exec, s[14:15]
	v_lshrrev_b32_e32 v1, v31, v39
	v_and_b32_e32 v2, 0xff, v1
	v_lshl_add_u32 v8, v2, 2, v24
	v_and_b32_e32 v2, 1, v1
	v_add_co_u32_e32 v3, vcc, -1, v2
	v_addc_co_u32_e64 v4, s[14:15], 0, -1, vcc
	v_cmp_ne_u32_e32 vcc, 0, v2
	v_lshlrev_b32_e32 v12, 30, v1
	v_xor_b32_e32 v2, vcc_hi, v4
	v_xor_b32_e32 v3, vcc_lo, v3
	v_cmp_gt_i64_e32 vcc, 0, v[11:12]
	v_not_b32_e32 v4, v12
	v_ashrrev_i32_e32 v4, 31, v4
	v_and_b32_e32 v3, exec_lo, v3
	v_xor_b32_e32 v9, vcc_hi, v4
	v_xor_b32_e32 v4, vcc_lo, v4
	v_lshlrev_b32_e32 v12, 29, v1
	v_and_b32_e32 v3, v3, v4
	v_cmp_gt_i64_e32 vcc, 0, v[11:12]
	v_not_b32_e32 v4, v12
	v_and_b32_e32 v2, exec_hi, v2
	v_ashrrev_i32_e32 v4, 31, v4
	v_and_b32_e32 v2, v2, v9
	v_xor_b32_e32 v9, vcc_hi, v4
	v_xor_b32_e32 v4, vcc_lo, v4
	v_lshlrev_b32_e32 v12, 28, v1
	v_and_b32_e32 v3, v3, v4
	v_cmp_gt_i64_e32 vcc, 0, v[11:12]
	v_not_b32_e32 v4, v12
	v_ashrrev_i32_e32 v4, 31, v4
	v_and_b32_e32 v2, v2, v9
	v_xor_b32_e32 v9, vcc_hi, v4
	v_xor_b32_e32 v4, vcc_lo, v4
	v_lshlrev_b32_e32 v12, 27, v1
	v_and_b32_e32 v3, v3, v4
	v_cmp_gt_i64_e32 vcc, 0, v[11:12]
	v_not_b32_e32 v4, v12
	;; [unrolled: 8-line block ×4, first 2 shown]
	v_ashrrev_i32_e32 v4, 31, v4
	v_lshlrev_b32_e32 v12, 24, v1
	v_and_b32_e32 v2, v2, v9
	v_xor_b32_e32 v9, vcc_hi, v4
	v_xor_b32_e32 v4, vcc_lo, v4
	v_cmp_gt_i64_e32 vcc, 0, v[11:12]
	v_not_b32_e32 v1, v12
	v_ashrrev_i32_e32 v1, 31, v1
	v_and_b32_e32 v3, v3, v4
	v_xor_b32_e32 v4, vcc_hi, v1
	v_xor_b32_e32 v1, vcc_lo, v1
	; wave barrier
	ds_read_b32 v7, v8 offset:4
	v_and_b32_e32 v2, v2, v9
	v_and_b32_e32 v1, v3, v1
	;; [unrolled: 1-line block ×3, first 2 shown]
	v_mbcnt_lo_u32_b32 v3, v1, 0
	v_mbcnt_hi_u32_b32 v9, v2, v3
	v_cmp_ne_u64_e32 vcc, 0, v[1:2]
	v_cmp_eq_u32_e64 s[14:15], 0, v9
	s_and_b64 s[24:25], vcc, s[14:15]
	; wave barrier
	s_and_saveexec_b64 s[14:15], s[24:25]
	s_cbranch_execz .LBB199_8
; %bb.7:                                ;   in Loop: Header=BB199_4 Depth=2
	v_bcnt_u32_b32 v1, v1, 0
	v_bcnt_u32_b32 v1, v2, v1
	s_waitcnt lgkmcnt(0)
	v_add_u32_e32 v1, v7, v1
	ds_write_b32 v8, v1 offset:4
.LBB199_8:                              ;   in Loop: Header=BB199_4 Depth=2
	s_or_b64 exec, exec, s[14:15]
	v_lshrrev_b32_e32 v1, v31, v38
	v_and_b32_e32 v2, 0xff, v1
	v_lshl_add_u32 v13, v2, 2, v24
	v_and_b32_e32 v2, 1, v1
	v_add_co_u32_e32 v3, vcc, -1, v2
	v_addc_co_u32_e64 v4, s[14:15], 0, -1, vcc
	v_cmp_ne_u32_e32 vcc, 0, v2
	v_lshlrev_b32_e32 v12, 30, v1
	v_xor_b32_e32 v2, vcc_hi, v4
	v_xor_b32_e32 v3, vcc_lo, v3
	v_cmp_gt_i64_e32 vcc, 0, v[11:12]
	v_not_b32_e32 v4, v12
	v_ashrrev_i32_e32 v4, 31, v4
	v_and_b32_e32 v2, exec_hi, v2
	v_xor_b32_e32 v12, vcc_hi, v4
	v_and_b32_e32 v3, exec_lo, v3
	v_xor_b32_e32 v4, vcc_lo, v4
	v_and_b32_e32 v2, v2, v12
	v_lshlrev_b32_e32 v12, 29, v1
	v_and_b32_e32 v3, v3, v4
	v_cmp_gt_i64_e32 vcc, 0, v[11:12]
	v_not_b32_e32 v4, v12
	v_ashrrev_i32_e32 v4, 31, v4
	v_xor_b32_e32 v12, vcc_hi, v4
	v_xor_b32_e32 v4, vcc_lo, v4
	v_and_b32_e32 v2, v2, v12
	v_lshlrev_b32_e32 v12, 28, v1
	v_and_b32_e32 v3, v3, v4
	v_cmp_gt_i64_e32 vcc, 0, v[11:12]
	v_not_b32_e32 v4, v12
	v_ashrrev_i32_e32 v4, 31, v4
	v_xor_b32_e32 v12, vcc_hi, v4
	;; [unrolled: 8-line block ×5, first 2 shown]
	v_and_b32_e32 v2, v2, v12
	v_lshlrev_b32_e32 v12, 24, v1
	v_xor_b32_e32 v4, vcc_lo, v4
	v_cmp_gt_i64_e32 vcc, 0, v[11:12]
	v_not_b32_e32 v1, v12
	v_ashrrev_i32_e32 v1, 31, v1
	v_and_b32_e32 v3, v3, v4
	v_xor_b32_e32 v4, vcc_hi, v1
	v_xor_b32_e32 v1, vcc_lo, v1
	; wave barrier
	ds_read_b32 v10, v13 offset:4
	v_and_b32_e32 v1, v3, v1
	v_and_b32_e32 v2, v2, v4
	v_mbcnt_lo_u32_b32 v3, v1, 0
	v_mbcnt_hi_u32_b32 v14, v2, v3
	v_cmp_ne_u64_e32 vcc, 0, v[1:2]
	v_cmp_eq_u32_e64 s[14:15], 0, v14
	s_and_b64 s[24:25], vcc, s[14:15]
	; wave barrier
	s_and_saveexec_b64 s[14:15], s[24:25]
	s_cbranch_execz .LBB199_10
; %bb.9:                                ;   in Loop: Header=BB199_4 Depth=2
	v_bcnt_u32_b32 v1, v1, 0
	v_bcnt_u32_b32 v1, v2, v1
	s_waitcnt lgkmcnt(0)
	v_add_u32_e32 v1, v10, v1
	ds_write_b32 v13, v1 offset:4
.LBB199_10:                             ;   in Loop: Header=BB199_4 Depth=2
	s_or_b64 exec, exec, s[14:15]
	v_lshrrev_b32_e32 v1, v31, v37
	v_and_b32_e32 v2, 0xff, v1
	v_lshl_add_u32 v16, v2, 2, v24
	v_and_b32_e32 v2, 1, v1
	v_add_co_u32_e32 v3, vcc, -1, v2
	v_addc_co_u32_e64 v4, s[14:15], 0, -1, vcc
	v_cmp_ne_u32_e32 vcc, 0, v2
	v_lshlrev_b32_e32 v12, 30, v1
	v_xor_b32_e32 v2, vcc_hi, v4
	v_xor_b32_e32 v3, vcc_lo, v3
	v_cmp_gt_i64_e32 vcc, 0, v[11:12]
	v_not_b32_e32 v4, v12
	v_ashrrev_i32_e32 v4, 31, v4
	v_and_b32_e32 v2, exec_hi, v2
	v_xor_b32_e32 v12, vcc_hi, v4
	v_and_b32_e32 v3, exec_lo, v3
	v_xor_b32_e32 v4, vcc_lo, v4
	v_and_b32_e32 v2, v2, v12
	v_lshlrev_b32_e32 v12, 29, v1
	v_and_b32_e32 v3, v3, v4
	v_cmp_gt_i64_e32 vcc, 0, v[11:12]
	v_not_b32_e32 v4, v12
	v_ashrrev_i32_e32 v4, 31, v4
	v_xor_b32_e32 v12, vcc_hi, v4
	v_xor_b32_e32 v4, vcc_lo, v4
	v_and_b32_e32 v2, v2, v12
	v_lshlrev_b32_e32 v12, 28, v1
	v_and_b32_e32 v3, v3, v4
	v_cmp_gt_i64_e32 vcc, 0, v[11:12]
	v_not_b32_e32 v4, v12
	v_ashrrev_i32_e32 v4, 31, v4
	v_xor_b32_e32 v12, vcc_hi, v4
	v_xor_b32_e32 v4, vcc_lo, v4
	v_and_b32_e32 v2, v2, v12
	v_lshlrev_b32_e32 v12, 27, v1
	v_and_b32_e32 v3, v3, v4
	v_cmp_gt_i64_e32 vcc, 0, v[11:12]
	v_not_b32_e32 v4, v12
	v_ashrrev_i32_e32 v4, 31, v4
	v_xor_b32_e32 v12, vcc_hi, v4
	v_xor_b32_e32 v4, vcc_lo, v4
	v_and_b32_e32 v2, v2, v12
	v_lshlrev_b32_e32 v12, 26, v1
	v_and_b32_e32 v3, v3, v4
	v_cmp_gt_i64_e32 vcc, 0, v[11:12]
	v_not_b32_e32 v4, v12
	v_ashrrev_i32_e32 v4, 31, v4
	v_xor_b32_e32 v12, vcc_hi, v4
	v_xor_b32_e32 v4, vcc_lo, v4
	v_and_b32_e32 v2, v2, v12
	v_lshlrev_b32_e32 v12, 25, v1
	v_and_b32_e32 v3, v3, v4
	v_cmp_gt_i64_e32 vcc, 0, v[11:12]
	v_not_b32_e32 v4, v12
	v_ashrrev_i32_e32 v4, 31, v4
	v_xor_b32_e32 v12, vcc_hi, v4
	v_and_b32_e32 v2, v2, v12
	v_lshlrev_b32_e32 v12, 24, v1
	v_xor_b32_e32 v4, vcc_lo, v4
	v_cmp_gt_i64_e32 vcc, 0, v[11:12]
	v_not_b32_e32 v1, v12
	v_ashrrev_i32_e32 v1, 31, v1
	v_and_b32_e32 v3, v3, v4
	v_xor_b32_e32 v4, vcc_hi, v1
	v_xor_b32_e32 v1, vcc_lo, v1
	; wave barrier
	ds_read_b32 v15, v16 offset:4
	v_and_b32_e32 v1, v3, v1
	v_and_b32_e32 v2, v2, v4
	v_mbcnt_lo_u32_b32 v3, v1, 0
	v_mbcnt_hi_u32_b32 v17, v2, v3
	v_cmp_ne_u64_e32 vcc, 0, v[1:2]
	v_cmp_eq_u32_e64 s[14:15], 0, v17
	s_and_b64 s[24:25], vcc, s[14:15]
	; wave barrier
	s_and_saveexec_b64 s[14:15], s[24:25]
	s_cbranch_execz .LBB199_12
; %bb.11:                               ;   in Loop: Header=BB199_4 Depth=2
	v_bcnt_u32_b32 v1, v1, 0
	v_bcnt_u32_b32 v1, v2, v1
	s_waitcnt lgkmcnt(0)
	v_add_u32_e32 v1, v15, v1
	ds_write_b32 v16, v1 offset:4
.LBB199_12:                             ;   in Loop: Header=BB199_4 Depth=2
	s_or_b64 exec, exec, s[14:15]
	v_lshrrev_b32_e32 v1, v31, v36
	v_and_b32_e32 v2, 0xff, v1
	v_lshl_add_u32 v42, v2, 2, v24
	v_and_b32_e32 v2, 1, v1
	v_add_co_u32_e32 v3, vcc, -1, v2
	v_addc_co_u32_e64 v4, s[14:15], 0, -1, vcc
	v_cmp_ne_u32_e32 vcc, 0, v2
	v_lshlrev_b32_e32 v12, 30, v1
	v_xor_b32_e32 v2, vcc_hi, v4
	v_xor_b32_e32 v3, vcc_lo, v3
	v_cmp_gt_i64_e32 vcc, 0, v[11:12]
	v_not_b32_e32 v4, v12
	v_ashrrev_i32_e32 v4, 31, v4
	v_and_b32_e32 v2, exec_hi, v2
	v_xor_b32_e32 v12, vcc_hi, v4
	v_and_b32_e32 v3, exec_lo, v3
	v_xor_b32_e32 v4, vcc_lo, v4
	v_and_b32_e32 v2, v2, v12
	v_lshlrev_b32_e32 v12, 29, v1
	v_and_b32_e32 v3, v3, v4
	v_cmp_gt_i64_e32 vcc, 0, v[11:12]
	v_not_b32_e32 v4, v12
	v_ashrrev_i32_e32 v4, 31, v4
	v_xor_b32_e32 v12, vcc_hi, v4
	v_xor_b32_e32 v4, vcc_lo, v4
	v_and_b32_e32 v2, v2, v12
	v_lshlrev_b32_e32 v12, 28, v1
	v_and_b32_e32 v3, v3, v4
	v_cmp_gt_i64_e32 vcc, 0, v[11:12]
	v_not_b32_e32 v4, v12
	v_ashrrev_i32_e32 v4, 31, v4
	v_xor_b32_e32 v12, vcc_hi, v4
	v_xor_b32_e32 v4, vcc_lo, v4
	v_and_b32_e32 v2, v2, v12
	v_lshlrev_b32_e32 v12, 27, v1
	v_and_b32_e32 v3, v3, v4
	v_cmp_gt_i64_e32 vcc, 0, v[11:12]
	v_not_b32_e32 v4, v12
	v_ashrrev_i32_e32 v4, 31, v4
	v_xor_b32_e32 v12, vcc_hi, v4
	v_xor_b32_e32 v4, vcc_lo, v4
	v_and_b32_e32 v2, v2, v12
	v_lshlrev_b32_e32 v12, 26, v1
	v_and_b32_e32 v3, v3, v4
	v_cmp_gt_i64_e32 vcc, 0, v[11:12]
	v_not_b32_e32 v4, v12
	v_ashrrev_i32_e32 v4, 31, v4
	v_xor_b32_e32 v12, vcc_hi, v4
	v_xor_b32_e32 v4, vcc_lo, v4
	v_and_b32_e32 v2, v2, v12
	v_lshlrev_b32_e32 v12, 25, v1
	v_and_b32_e32 v3, v3, v4
	v_cmp_gt_i64_e32 vcc, 0, v[11:12]
	v_not_b32_e32 v4, v12
	v_ashrrev_i32_e32 v4, 31, v4
	v_xor_b32_e32 v12, vcc_hi, v4
	v_and_b32_e32 v2, v2, v12
	v_lshlrev_b32_e32 v12, 24, v1
	v_xor_b32_e32 v4, vcc_lo, v4
	v_cmp_gt_i64_e32 vcc, 0, v[11:12]
	v_not_b32_e32 v1, v12
	v_ashrrev_i32_e32 v1, 31, v1
	v_and_b32_e32 v3, v3, v4
	v_xor_b32_e32 v4, vcc_hi, v1
	v_xor_b32_e32 v1, vcc_lo, v1
	; wave barrier
	ds_read_b32 v41, v42 offset:4
	v_and_b32_e32 v1, v3, v1
	v_and_b32_e32 v2, v2, v4
	v_mbcnt_lo_u32_b32 v3, v1, 0
	v_mbcnt_hi_u32_b32 v43, v2, v3
	v_cmp_ne_u64_e32 vcc, 0, v[1:2]
	v_cmp_eq_u32_e64 s[14:15], 0, v43
	s_and_b64 s[24:25], vcc, s[14:15]
	; wave barrier
	s_and_saveexec_b64 s[14:15], s[24:25]
	s_cbranch_execz .LBB199_14
; %bb.13:                               ;   in Loop: Header=BB199_4 Depth=2
	v_bcnt_u32_b32 v1, v1, 0
	v_bcnt_u32_b32 v1, v2, v1
	s_waitcnt lgkmcnt(0)
	v_add_u32_e32 v1, v41, v1
	ds_write_b32 v42, v1 offset:4
.LBB199_14:                             ;   in Loop: Header=BB199_4 Depth=2
	s_or_b64 exec, exec, s[14:15]
	v_lshrrev_b32_e32 v1, v31, v35
	v_and_b32_e32 v2, 0xff, v1
	v_lshl_add_u32 v45, v2, 2, v24
	v_and_b32_e32 v2, 1, v1
	v_add_co_u32_e32 v3, vcc, -1, v2
	v_addc_co_u32_e64 v4, s[14:15], 0, -1, vcc
	v_cmp_ne_u32_e32 vcc, 0, v2
	v_lshlrev_b32_e32 v12, 30, v1
	v_xor_b32_e32 v2, vcc_hi, v4
	v_xor_b32_e32 v3, vcc_lo, v3
	v_cmp_gt_i64_e32 vcc, 0, v[11:12]
	v_not_b32_e32 v4, v12
	v_ashrrev_i32_e32 v4, 31, v4
	v_and_b32_e32 v2, exec_hi, v2
	v_xor_b32_e32 v12, vcc_hi, v4
	v_and_b32_e32 v3, exec_lo, v3
	v_xor_b32_e32 v4, vcc_lo, v4
	v_and_b32_e32 v2, v2, v12
	v_lshlrev_b32_e32 v12, 29, v1
	v_and_b32_e32 v3, v3, v4
	v_cmp_gt_i64_e32 vcc, 0, v[11:12]
	v_not_b32_e32 v4, v12
	v_ashrrev_i32_e32 v4, 31, v4
	v_xor_b32_e32 v12, vcc_hi, v4
	v_xor_b32_e32 v4, vcc_lo, v4
	v_and_b32_e32 v2, v2, v12
	v_lshlrev_b32_e32 v12, 28, v1
	v_and_b32_e32 v3, v3, v4
	v_cmp_gt_i64_e32 vcc, 0, v[11:12]
	v_not_b32_e32 v4, v12
	v_ashrrev_i32_e32 v4, 31, v4
	v_xor_b32_e32 v12, vcc_hi, v4
	;; [unrolled: 8-line block ×5, first 2 shown]
	v_and_b32_e32 v2, v2, v12
	v_lshlrev_b32_e32 v12, 24, v1
	v_xor_b32_e32 v4, vcc_lo, v4
	v_cmp_gt_i64_e32 vcc, 0, v[11:12]
	v_not_b32_e32 v1, v12
	v_ashrrev_i32_e32 v1, 31, v1
	v_and_b32_e32 v3, v3, v4
	v_xor_b32_e32 v4, vcc_hi, v1
	v_xor_b32_e32 v1, vcc_lo, v1
	; wave barrier
	ds_read_b32 v44, v45 offset:4
	v_and_b32_e32 v1, v3, v1
	v_and_b32_e32 v2, v2, v4
	v_mbcnt_lo_u32_b32 v3, v1, 0
	v_mbcnt_hi_u32_b32 v46, v2, v3
	v_cmp_ne_u64_e32 vcc, 0, v[1:2]
	v_cmp_eq_u32_e64 s[14:15], 0, v46
	s_and_b64 s[24:25], vcc, s[14:15]
	; wave barrier
	s_and_saveexec_b64 s[14:15], s[24:25]
	s_cbranch_execz .LBB199_16
; %bb.15:                               ;   in Loop: Header=BB199_4 Depth=2
	v_bcnt_u32_b32 v1, v1, 0
	v_bcnt_u32_b32 v1, v2, v1
	s_waitcnt lgkmcnt(0)
	v_add_u32_e32 v1, v44, v1
	ds_write_b32 v45, v1 offset:4
.LBB199_16:                             ;   in Loop: Header=BB199_4 Depth=2
	s_or_b64 exec, exec, s[14:15]
	v_lshrrev_b32_e32 v1, v31, v33
	v_and_b32_e32 v2, 0xff, v1
	v_lshl_add_u32 v48, v2, 2, v24
	v_and_b32_e32 v2, 1, v1
	v_add_co_u32_e32 v3, vcc, -1, v2
	v_addc_co_u32_e64 v4, s[14:15], 0, -1, vcc
	v_cmp_ne_u32_e32 vcc, 0, v2
	v_lshlrev_b32_e32 v12, 30, v1
	v_xor_b32_e32 v2, vcc_hi, v4
	v_xor_b32_e32 v3, vcc_lo, v3
	v_cmp_gt_i64_e32 vcc, 0, v[11:12]
	v_not_b32_e32 v4, v12
	v_ashrrev_i32_e32 v4, 31, v4
	v_and_b32_e32 v2, exec_hi, v2
	v_xor_b32_e32 v12, vcc_hi, v4
	v_and_b32_e32 v3, exec_lo, v3
	v_xor_b32_e32 v4, vcc_lo, v4
	v_and_b32_e32 v2, v2, v12
	v_lshlrev_b32_e32 v12, 29, v1
	v_and_b32_e32 v3, v3, v4
	v_cmp_gt_i64_e32 vcc, 0, v[11:12]
	v_not_b32_e32 v4, v12
	v_ashrrev_i32_e32 v4, 31, v4
	v_xor_b32_e32 v12, vcc_hi, v4
	v_xor_b32_e32 v4, vcc_lo, v4
	v_and_b32_e32 v2, v2, v12
	v_lshlrev_b32_e32 v12, 28, v1
	v_and_b32_e32 v3, v3, v4
	v_cmp_gt_i64_e32 vcc, 0, v[11:12]
	v_not_b32_e32 v4, v12
	v_ashrrev_i32_e32 v4, 31, v4
	v_xor_b32_e32 v12, vcc_hi, v4
	;; [unrolled: 8-line block ×5, first 2 shown]
	v_and_b32_e32 v2, v2, v12
	v_lshlrev_b32_e32 v12, 24, v1
	v_xor_b32_e32 v4, vcc_lo, v4
	v_cmp_gt_i64_e32 vcc, 0, v[11:12]
	v_not_b32_e32 v1, v12
	v_ashrrev_i32_e32 v1, 31, v1
	v_and_b32_e32 v3, v3, v4
	v_xor_b32_e32 v4, vcc_hi, v1
	v_xor_b32_e32 v1, vcc_lo, v1
	; wave barrier
	ds_read_b32 v47, v48 offset:4
	v_and_b32_e32 v1, v3, v1
	v_and_b32_e32 v2, v2, v4
	v_mbcnt_lo_u32_b32 v3, v1, 0
	v_mbcnt_hi_u32_b32 v49, v2, v3
	v_cmp_ne_u64_e32 vcc, 0, v[1:2]
	v_cmp_eq_u32_e64 s[14:15], 0, v49
	s_and_b64 s[24:25], vcc, s[14:15]
	; wave barrier
	s_and_saveexec_b64 s[14:15], s[24:25]
	s_cbranch_execz .LBB199_18
; %bb.17:                               ;   in Loop: Header=BB199_4 Depth=2
	v_bcnt_u32_b32 v1, v1, 0
	v_bcnt_u32_b32 v1, v2, v1
	s_waitcnt lgkmcnt(0)
	v_add_u32_e32 v1, v47, v1
	ds_write_b32 v48, v1 offset:4
.LBB199_18:                             ;   in Loop: Header=BB199_4 Depth=2
	s_or_b64 exec, exec, s[14:15]
	v_lshrrev_b32_e32 v1, v31, v30
	v_and_b32_e32 v2, 0xff, v1
	v_lshl_add_u32 v51, v2, 2, v24
	v_and_b32_e32 v2, 1, v1
	v_add_co_u32_e32 v3, vcc, -1, v2
	v_addc_co_u32_e64 v4, s[14:15], 0, -1, vcc
	v_cmp_ne_u32_e32 vcc, 0, v2
	v_lshlrev_b32_e32 v12, 30, v1
	v_xor_b32_e32 v2, vcc_hi, v4
	v_xor_b32_e32 v3, vcc_lo, v3
	v_cmp_gt_i64_e32 vcc, 0, v[11:12]
	v_not_b32_e32 v4, v12
	v_ashrrev_i32_e32 v4, 31, v4
	v_and_b32_e32 v2, exec_hi, v2
	v_xor_b32_e32 v12, vcc_hi, v4
	v_and_b32_e32 v3, exec_lo, v3
	v_xor_b32_e32 v4, vcc_lo, v4
	v_and_b32_e32 v2, v2, v12
	v_lshlrev_b32_e32 v12, 29, v1
	v_and_b32_e32 v3, v3, v4
	v_cmp_gt_i64_e32 vcc, 0, v[11:12]
	v_not_b32_e32 v4, v12
	v_ashrrev_i32_e32 v4, 31, v4
	v_xor_b32_e32 v12, vcc_hi, v4
	v_xor_b32_e32 v4, vcc_lo, v4
	v_and_b32_e32 v2, v2, v12
	v_lshlrev_b32_e32 v12, 28, v1
	v_and_b32_e32 v3, v3, v4
	v_cmp_gt_i64_e32 vcc, 0, v[11:12]
	v_not_b32_e32 v4, v12
	v_ashrrev_i32_e32 v4, 31, v4
	v_xor_b32_e32 v12, vcc_hi, v4
	;; [unrolled: 8-line block ×5, first 2 shown]
	v_and_b32_e32 v2, v2, v12
	v_lshlrev_b32_e32 v12, 24, v1
	v_xor_b32_e32 v4, vcc_lo, v4
	v_cmp_gt_i64_e32 vcc, 0, v[11:12]
	v_not_b32_e32 v1, v12
	v_ashrrev_i32_e32 v1, 31, v1
	v_and_b32_e32 v3, v3, v4
	v_xor_b32_e32 v4, vcc_hi, v1
	v_xor_b32_e32 v1, vcc_lo, v1
	; wave barrier
	ds_read_b32 v50, v51 offset:4
	v_and_b32_e32 v1, v3, v1
	v_and_b32_e32 v2, v2, v4
	v_mbcnt_lo_u32_b32 v3, v1, 0
	v_mbcnt_hi_u32_b32 v12, v2, v3
	v_cmp_ne_u64_e32 vcc, 0, v[1:2]
	v_cmp_eq_u32_e64 s[14:15], 0, v12
	s_and_b64 s[24:25], vcc, s[14:15]
	; wave barrier
	s_and_saveexec_b64 s[14:15], s[24:25]
	s_cbranch_execz .LBB199_20
; %bb.19:                               ;   in Loop: Header=BB199_4 Depth=2
	v_bcnt_u32_b32 v1, v1, 0
	v_bcnt_u32_b32 v1, v2, v1
	s_waitcnt lgkmcnt(0)
	v_add_u32_e32 v1, v50, v1
	ds_write_b32 v51, v1 offset:4
.LBB199_20:                             ;   in Loop: Header=BB199_4 Depth=2
	s_or_b64 exec, exec, s[14:15]
	; wave barrier
	s_waitcnt lgkmcnt(0)
	; wave barrier
	ds_read2_b32 v[3:4], v20 offset0:1 offset1:2
	ds_read2_b32 v[1:2], v20 offset0:3 offset1:4
	s_waitcnt lgkmcnt(1)
	v_add_u32_e32 v52, v4, v3
	s_waitcnt lgkmcnt(0)
	v_add3_u32 v2, v52, v1, v2
	s_nop 1
	v_mov_b32_dpp v52, v2 row_shr:1 row_mask:0xf bank_mask:0xf
	v_cndmask_b32_e64 v52, v52, 0, s[4:5]
	v_add_u32_e32 v2, v52, v2
	s_nop 1
	v_mov_b32_dpp v52, v2 row_shr:2 row_mask:0xf bank_mask:0xf
	v_cndmask_b32_e64 v52, 0, v52, s[6:7]
	v_add_u32_e32 v2, v2, v52
	s_nop 1
	v_mov_b32_dpp v52, v2 row_shr:4 row_mask:0xf bank_mask:0xf
	v_cndmask_b32_e64 v52, 0, v52, s[8:9]
	v_add_u32_e32 v2, v2, v52
	s_nop 1
	v_mov_b32_dpp v52, v2 row_shr:8 row_mask:0xf bank_mask:0xf
	v_cndmask_b32_e64 v52, 0, v52, s[10:11]
	v_add_u32_e32 v2, v2, v52
	s_nop 1
	v_mov_b32_dpp v52, v2 row_bcast:15 row_mask:0xf bank_mask:0xf
	v_cndmask_b32_e64 v52, v52, 0, s[12:13]
	v_add_u32_e32 v2, v2, v52
	s_nop 1
	v_mov_b32_dpp v52, v2 row_bcast:31 row_mask:0xf bank_mask:0xf
	v_cndmask_b32_e64 v52, 0, v52, s[2:3]
	v_add_u32_e32 v2, v2, v52
	s_and_saveexec_b64 s[14:15], s[0:1]
; %bb.21:                               ;   in Loop: Header=BB199_4 Depth=2
	ds_write_b32 v11, v2
; %bb.22:                               ;   in Loop: Header=BB199_4 Depth=2
	s_or_b64 exec, exec, s[14:15]
	ds_bpermute_b32 v2, v23, v2
	s_waitcnt lgkmcnt(0)
	; wave barrier
	v_cmp_lt_u32_e32 vcc, 23, v31
	s_and_b64 vcc, exec, vcc
	v_cndmask_b32_e64 v2, v2, 0, s[16:17]
	v_add_u32_e32 v3, v2, v3
	v_add_u32_e32 v4, v3, v4
	;; [unrolled: 1-line block ×3, first 2 shown]
	ds_write2_b32 v20, v2, v3 offset0:1 offset1:2
	ds_write2_b32 v20, v4, v1 offset0:3 offset1:4
	s_waitcnt lgkmcnt(0)
	; wave barrier
	ds_read_b32 v1, v5 offset:4
	ds_read_b32 v2, v8 offset:4
	;; [unrolled: 1-line block ×8, first 2 shown]
	s_waitcnt lgkmcnt(7)
	v_add_u32_e32 v53, v1, v6
	s_waitcnt lgkmcnt(6)
	v_add3_u32 v52, v9, v7, v2
	s_waitcnt lgkmcnt(5)
	v_add3_u32 v51, v14, v10, v3
	;; [unrolled: 2-line block ×7, first 2 shown]
	s_mov_b64 s[14:15], -1
                                        ; implicit-def: $vgpr8
                                        ; implicit-def: $vgpr6
                                        ; implicit-def: $vgpr4
                                        ; implicit-def: $vgpr2
                                        ; implicit-def: $vgpr17
                                        ; implicit-def: $vgpr15
                                        ; implicit-def: $vgpr13
                                        ; implicit-def: $vgpr10
	s_cbranch_vccnz .LBB199_3
; %bb.23:                               ;   in Loop: Header=BB199_4 Depth=2
	v_lshlrev_b32_e32 v9, 2, v53
	v_lshlrev_b32_e32 v10, 2, v52
	;; [unrolled: 1-line block ×8, first 2 shown]
	; wave barrier
	ds_write_b32 v9, v40
	ds_write_b32 v10, v39
	;; [unrolled: 1-line block ×8, first 2 shown]
	s_waitcnt lgkmcnt(0)
	; wave barrier
	ds_read2st64_b32 v[1:2], v22 offset1:1
	ds_read2st64_b32 v[3:4], v22 offset0:2 offset1:3
	ds_read2st64_b32 v[5:6], v22 offset0:4 offset1:5
	;; [unrolled: 1-line block ×3, first 2 shown]
	s_waitcnt lgkmcnt(0)
	; wave barrier
	ds_write_b32 v9, v34
	ds_write_b32 v10, v32
	;; [unrolled: 1-line block ×8, first 2 shown]
	s_waitcnt lgkmcnt(0)
	; wave barrier
	ds_read2st64_b32 v[9:10], v22 offset1:1
	ds_read2st64_b32 v[12:13], v22 offset0:2 offset1:3
	ds_read2st64_b32 v[14:15], v22 offset0:4 offset1:5
	;; [unrolled: 1-line block ×3, first 2 shown]
	v_add_u32_e32 v31, 8, v31
	s_mov_b64 s[14:15], 0
	s_waitcnt lgkmcnt(0)
	; wave barrier
	s_branch .LBB199_3
.LBB199_24:
	s_add_u32 s0, s18, s20
	s_waitcnt lgkmcnt(3)
	v_add_u32_e32 v1, v7, v14
	s_addc_u32 s1, s19, s21
	v_lshlrev_b32_e32 v0, 2, v0
	v_add_u32_e32 v2, v8, v15
	s_waitcnt lgkmcnt(2)
	v_add_u32_e32 v7, v9, v18
	v_add_u32_e32 v8, v10, v19
	s_waitcnt lgkmcnt(1)
	v_add_u32_e32 v3, v3, v12
	;; [unrolled: 3-line block ×3, first 2 shown]
	v_add_u32_e32 v6, v6, v17
	global_store_dword v0, v1, s[0:1]
	global_store_dword v0, v2, s[0:1] offset:256
	global_store_dword v0, v7, s[0:1] offset:512
	;; [unrolled: 1-line block ×7, first 2 shown]
	s_endpgm
	.section	.rodata,"a",@progbits
	.p2align	6, 0x0
	.amdhsa_kernel _Z17sort_pairs_kernelI22helper_blocked_stripediLj64ELj8ELj10EEvPKT0_PS1_
		.amdhsa_group_segment_fixed_size 2048
		.amdhsa_private_segment_fixed_size 0
		.amdhsa_kernarg_size 272
		.amdhsa_user_sgpr_count 6
		.amdhsa_user_sgpr_private_segment_buffer 1
		.amdhsa_user_sgpr_dispatch_ptr 0
		.amdhsa_user_sgpr_queue_ptr 0
		.amdhsa_user_sgpr_kernarg_segment_ptr 1
		.amdhsa_user_sgpr_dispatch_id 0
		.amdhsa_user_sgpr_flat_scratch_init 0
		.amdhsa_user_sgpr_private_segment_size 0
		.amdhsa_uses_dynamic_stack 0
		.amdhsa_system_sgpr_private_segment_wavefront_offset 0
		.amdhsa_system_sgpr_workgroup_id_x 1
		.amdhsa_system_sgpr_workgroup_id_y 0
		.amdhsa_system_sgpr_workgroup_id_z 0
		.amdhsa_system_sgpr_workgroup_info 0
		.amdhsa_system_vgpr_workitem_id 2
		.amdhsa_next_free_vgpr 54
		.amdhsa_next_free_sgpr 61
		.amdhsa_reserve_vcc 1
		.amdhsa_reserve_flat_scratch 0
		.amdhsa_float_round_mode_32 0
		.amdhsa_float_round_mode_16_64 0
		.amdhsa_float_denorm_mode_32 3
		.amdhsa_float_denorm_mode_16_64 3
		.amdhsa_dx10_clamp 1
		.amdhsa_ieee_mode 1
		.amdhsa_fp16_overflow 0
		.amdhsa_exception_fp_ieee_invalid_op 0
		.amdhsa_exception_fp_denorm_src 0
		.amdhsa_exception_fp_ieee_div_zero 0
		.amdhsa_exception_fp_ieee_overflow 0
		.amdhsa_exception_fp_ieee_underflow 0
		.amdhsa_exception_fp_ieee_inexact 0
		.amdhsa_exception_int_div_zero 0
	.end_amdhsa_kernel
	.section	.text._Z17sort_pairs_kernelI22helper_blocked_stripediLj64ELj8ELj10EEvPKT0_PS1_,"axG",@progbits,_Z17sort_pairs_kernelI22helper_blocked_stripediLj64ELj8ELj10EEvPKT0_PS1_,comdat
.Lfunc_end199:
	.size	_Z17sort_pairs_kernelI22helper_blocked_stripediLj64ELj8ELj10EEvPKT0_PS1_, .Lfunc_end199-_Z17sort_pairs_kernelI22helper_blocked_stripediLj64ELj8ELj10EEvPKT0_PS1_
                                        ; -- End function
	.set _Z17sort_pairs_kernelI22helper_blocked_stripediLj64ELj8ELj10EEvPKT0_PS1_.num_vgpr, 54
	.set _Z17sort_pairs_kernelI22helper_blocked_stripediLj64ELj8ELj10EEvPKT0_PS1_.num_agpr, 0
	.set _Z17sort_pairs_kernelI22helper_blocked_stripediLj64ELj8ELj10EEvPKT0_PS1_.numbered_sgpr, 26
	.set _Z17sort_pairs_kernelI22helper_blocked_stripediLj64ELj8ELj10EEvPKT0_PS1_.num_named_barrier, 0
	.set _Z17sort_pairs_kernelI22helper_blocked_stripediLj64ELj8ELj10EEvPKT0_PS1_.private_seg_size, 0
	.set _Z17sort_pairs_kernelI22helper_blocked_stripediLj64ELj8ELj10EEvPKT0_PS1_.uses_vcc, 1
	.set _Z17sort_pairs_kernelI22helper_blocked_stripediLj64ELj8ELj10EEvPKT0_PS1_.uses_flat_scratch, 0
	.set _Z17sort_pairs_kernelI22helper_blocked_stripediLj64ELj8ELj10EEvPKT0_PS1_.has_dyn_sized_stack, 0
	.set _Z17sort_pairs_kernelI22helper_blocked_stripediLj64ELj8ELj10EEvPKT0_PS1_.has_recursion, 0
	.set _Z17sort_pairs_kernelI22helper_blocked_stripediLj64ELj8ELj10EEvPKT0_PS1_.has_indirect_call, 0
	.section	.AMDGPU.csdata,"",@progbits
; Kernel info:
; codeLenInByte = 4568
; TotalNumSgprs: 30
; NumVgprs: 54
; ScratchSize: 0
; MemoryBound: 0
; FloatMode: 240
; IeeeMode: 1
; LDSByteSize: 2048 bytes/workgroup (compile time only)
; SGPRBlocks: 8
; VGPRBlocks: 13
; NumSGPRsForWavesPerEU: 65
; NumVGPRsForWavesPerEU: 54
; Occupancy: 4
; WaveLimiterHint : 1
; COMPUTE_PGM_RSRC2:SCRATCH_EN: 0
; COMPUTE_PGM_RSRC2:USER_SGPR: 6
; COMPUTE_PGM_RSRC2:TRAP_HANDLER: 0
; COMPUTE_PGM_RSRC2:TGID_X_EN: 1
; COMPUTE_PGM_RSRC2:TGID_Y_EN: 0
; COMPUTE_PGM_RSRC2:TGID_Z_EN: 0
; COMPUTE_PGM_RSRC2:TIDIG_COMP_CNT: 2
	.section	.text._Z16sort_keys_kernelI22helper_blocked_stripediLj128ELj1ELj10EEvPKT0_PS1_,"axG",@progbits,_Z16sort_keys_kernelI22helper_blocked_stripediLj128ELj1ELj10EEvPKT0_PS1_,comdat
	.protected	_Z16sort_keys_kernelI22helper_blocked_stripediLj128ELj1ELj10EEvPKT0_PS1_ ; -- Begin function _Z16sort_keys_kernelI22helper_blocked_stripediLj128ELj1ELj10EEvPKT0_PS1_
	.globl	_Z16sort_keys_kernelI22helper_blocked_stripediLj128ELj1ELj10EEvPKT0_PS1_
	.p2align	8
	.type	_Z16sort_keys_kernelI22helper_blocked_stripediLj128ELj1ELj10EEvPKT0_PS1_,@function
_Z16sort_keys_kernelI22helper_blocked_stripediLj128ELj1ELj10EEvPKT0_PS1_: ; @_Z16sort_keys_kernelI22helper_blocked_stripediLj128ELj1ELj10EEvPKT0_PS1_
; %bb.0:
	s_load_dwordx4 s[24:27], s[4:5], 0x0
	s_load_dword s22, s[4:5], 0x1c
	s_lshl_b32 s28, s6, 7
	s_mov_b32 s29, 0
	s_lshl_b64 s[30:31], s[28:29], 2
	s_waitcnt lgkmcnt(0)
	s_add_u32 s0, s24, s30
	s_addc_u32 s1, s25, s31
	v_lshlrev_b32_e32 v3, 2, v0
	global_load_dword v3, v3, s[0:1]
	v_mbcnt_lo_u32_b32 v4, -1, 0
	v_mbcnt_hi_u32_b32 v4, -1, v4
	s_lshr_b32 s23, s22, 16
	v_subrev_co_u32_e64 v24, s[6:7], 1, v4
	v_and_b32_e32 v25, 64, v4
	s_and_b32 s22, s22, 0xffff
	v_mad_u32_u24 v1, v2, s23, v1
	v_lshlrev_b32_e32 v19, 4, v0
	v_and_b32_e32 v6, 64, v0
	v_lshrrev_b32_e32 v7, 4, v0
	v_mul_i32_i24_e32 v9, -12, v0
	s_mov_b32 s34, s29
	v_and_b32_e32 v10, 15, v4
	s_mov_b32 s28, s29
	v_cmp_lt_i32_e64 s[20:21], v24, v25
	v_mad_u32_u24 v1, v1, s22, v0
	s_mov_b32 s35, s29
	v_and_b32_e32 v22, 16, v4
	v_or_b32_e32 v23, 63, v6
	v_and_b32_e32 v20, 4, v7
	v_and_b32_e32 v26, 1, v4
	v_lshlrev_b32_e32 v6, 2, v6
	v_mov_b32_e32 v7, s34
	v_add_u32_e32 v21, v19, v9
	v_cmp_eq_u32_e64 s[8:9], 0, v10
	v_cmp_lt_u32_e64 s[10:11], 1, v10
	v_cmp_lt_u32_e64 s[12:13], 3, v10
	;; [unrolled: 1-line block ×3, first 2 shown]
	v_cndmask_b32_e64 v24, v24, v4, s[20:21]
	v_mov_b32_e32 v9, s28
	v_lshrrev_b32_e32 v1, 4, v1
	v_mov_b32_e32 v5, 0
	s_mov_b32 s33, 10
	s_movk_i32 s36, 0xff
	v_mov_b32_e32 v11, 3
	v_mov_b32_e32 v12, 1
	;; [unrolled: 1-line block ×8, first 2 shown]
	v_cmp_gt_u32_e32 vcc, 2, v0
	v_cmp_lt_u32_e64 s[0:1], 63, v0
	v_cmp_eq_u32_e64 s[2:3], 0, v0
	v_cmp_lt_u32_e64 s[4:5], 31, v4
	v_mov_b32_e32 v8, s35
	v_cmp_eq_u32_e64 s[16:17], 0, v22
	v_cmp_eq_u32_e64 s[18:19], v0, v23
	v_cmp_eq_u32_e64 s[20:21], 0, v26
	v_add_u32_e32 v22, -4, v20
	v_lshl_add_u32 v23, v4, 2, v6
	v_mov_b32_e32 v10, s29
	v_lshlrev_b32_e32 v24, 2, v24
	v_and_b32_e32 v25, 0xffffffc, v1
	v_mov_b32_e32 v26, 24
	s_waitcnt vmcnt(0)
	v_xor_b32_e32 v27, 0x80000000, v3
	s_branch .LBB200_2
.LBB200_1:                              ;   in Loop: Header=BB200_2 Depth=1
	s_or_b64 exec, exec, s[22:23]
	s_waitcnt lgkmcnt(0)
	v_add_u32_e32 v4, v29, v4
	ds_bpermute_b32 v4, v24, v4
	s_add_i32 s33, s33, -1
	s_cmp_eq_u32 s33, 0
	s_waitcnt lgkmcnt(0)
	v_cndmask_b32_e64 v4, v4, v29, s[6:7]
	v_cndmask_b32_e64 v29, v4, 0, s[2:3]
	v_add_u32_e32 v30, v29, v1
	v_add_u32_e32 v1, v30, v2
	;; [unrolled: 1-line block ×3, first 2 shown]
	ds_write2_b64 v19, v[29:30], v[1:2] offset0:1 offset1:2
	s_waitcnt lgkmcnt(0)
	s_barrier
	ds_read_b32 v1, v28 offset:8
	v_lshlrev_b32_e32 v2, 2, v6
	s_waitcnt lgkmcnt(0)
	s_barrier
	v_lshl_add_u32 v1, v1, 2, v2
	ds_write_b32 v1, v27
	s_waitcnt lgkmcnt(0)
	s_barrier
	ds_read_b32 v27, v21
	s_cbranch_scc1 .LBB200_34
.LBB200_2:                              ; =>This Inner Loop Header: Depth=1
	s_waitcnt lgkmcnt(0)
	v_and_b32_e32 v1, 1, v27
	v_add_co_u32_e64 v2, s[22:23], -1, v1
	v_addc_co_u32_e64 v4, s[22:23], 0, -1, s[22:23]
	v_cmp_ne_u32_e64 s[22:23], 0, v1
	v_lshlrev_b32_e32 v6, 30, v27
	v_xor_b32_e32 v1, s23, v4
	v_xor_b32_e32 v2, s22, v2
	v_cmp_gt_i64_e64 s[22:23], 0, v[5:6]
	v_not_b32_e32 v4, v6
	v_ashrrev_i32_e32 v4, 31, v4
	v_and_b32_e32 v1, exec_hi, v1
	v_xor_b32_e32 v6, s23, v4
	v_and_b32_e32 v2, exec_lo, v2
	v_xor_b32_e32 v4, s22, v4
	v_and_b32_e32 v1, v1, v6
	v_lshlrev_b32_e32 v6, 29, v27
	v_and_b32_e32 v2, v2, v4
	v_cmp_gt_i64_e64 s[22:23], 0, v[5:6]
	v_not_b32_e32 v4, v6
	v_ashrrev_i32_e32 v4, 31, v4
	v_xor_b32_e32 v6, s23, v4
	v_xor_b32_e32 v4, s22, v4
	v_and_b32_e32 v1, v1, v6
	v_lshlrev_b32_e32 v6, 28, v27
	v_and_b32_e32 v2, v2, v4
	v_cmp_gt_i64_e64 s[22:23], 0, v[5:6]
	v_not_b32_e32 v4, v6
	v_ashrrev_i32_e32 v4, 31, v4
	v_xor_b32_e32 v6, s23, v4
	;; [unrolled: 8-line block ×6, first 2 shown]
	v_xor_b32_e32 v28, s22, v2
	v_and_b32_e32 v2, v1, v6
	v_and_b32_e32 v1, v4, v28
	v_mbcnt_lo_u32_b32 v4, v1, 0
	v_mbcnt_hi_u32_b32 v6, v2, v4
	v_cmp_ne_u64_e64 s[22:23], 0, v[1:2]
	v_lshlrev_b32_sdwa v3, v11, v27 dst_sel:DWORD dst_unused:UNUSED_PAD src0_sel:DWORD src1_sel:BYTE_0
	v_cmp_eq_u32_e64 s[24:25], 0, v6
	s_and_b64 s[24:25], s[22:23], s[24:25]
	v_add_u32_e32 v28, v25, v3
	ds_write2_b64 v19, v[9:10], v[7:8] offset0:1 offset1:2
	s_waitcnt lgkmcnt(0)
	s_barrier
	; wave barrier
	s_and_saveexec_b64 s[22:23], s[24:25]
; %bb.3:                                ;   in Loop: Header=BB200_2 Depth=1
	v_bcnt_u32_b32 v1, v1, 0
	v_bcnt_u32_b32 v1, v2, v1
	ds_write_b32 v28, v1 offset:8
; %bb.4:                                ;   in Loop: Header=BB200_2 Depth=1
	s_or_b64 exec, exec, s[22:23]
	; wave barrier
	s_waitcnt lgkmcnt(0)
	s_barrier
	ds_read2_b64 v[1:4], v19 offset0:1 offset1:2
	s_waitcnt lgkmcnt(0)
	v_add_u32_e32 v29, v2, v1
	v_add3_u32 v4, v29, v3, v4
	s_nop 1
	v_mov_b32_dpp v29, v4 row_shr:1 row_mask:0xf bank_mask:0xf
	v_cndmask_b32_e64 v29, v29, 0, s[8:9]
	v_add_u32_e32 v4, v29, v4
	s_nop 1
	v_mov_b32_dpp v29, v4 row_shr:2 row_mask:0xf bank_mask:0xf
	v_cndmask_b32_e64 v29, 0, v29, s[10:11]
	v_add_u32_e32 v4, v4, v29
	;; [unrolled: 4-line block ×4, first 2 shown]
	s_nop 1
	v_mov_b32_dpp v29, v4 row_bcast:15 row_mask:0xf bank_mask:0xf
	v_cndmask_b32_e64 v29, v29, 0, s[16:17]
	v_add_u32_e32 v4, v4, v29
	s_nop 1
	v_mov_b32_dpp v29, v4 row_bcast:31 row_mask:0xf bank_mask:0xf
	v_cndmask_b32_e64 v29, 0, v29, s[4:5]
	v_add_u32_e32 v4, v4, v29
	s_and_saveexec_b64 s[22:23], s[18:19]
; %bb.5:                                ;   in Loop: Header=BB200_2 Depth=1
	ds_write_b32 v20, v4
; %bb.6:                                ;   in Loop: Header=BB200_2 Depth=1
	s_or_b64 exec, exec, s[22:23]
	s_waitcnt lgkmcnt(0)
	s_barrier
	s_and_saveexec_b64 s[22:23], vcc
	s_cbranch_execz .LBB200_8
; %bb.7:                                ;   in Loop: Header=BB200_2 Depth=1
	ds_read_b32 v29, v21
	s_waitcnt lgkmcnt(0)
	s_nop 0
	v_mov_b32_dpp v30, v29 row_shr:1 row_mask:0xf bank_mask:0xf
	v_cndmask_b32_e64 v30, v30, 0, s[20:21]
	v_add_u32_e32 v29, v30, v29
	ds_write_b32 v21, v29
.LBB200_8:                              ;   in Loop: Header=BB200_2 Depth=1
	s_or_b64 exec, exec, s[22:23]
	v_mov_b32_e32 v29, 0
	s_waitcnt lgkmcnt(0)
	s_barrier
	s_and_saveexec_b64 s[22:23], s[0:1]
; %bb.9:                                ;   in Loop: Header=BB200_2 Depth=1
	ds_read_b32 v29, v22
; %bb.10:                               ;   in Loop: Header=BB200_2 Depth=1
	s_or_b64 exec, exec, s[22:23]
	s_waitcnt lgkmcnt(0)
	v_add_u32_e32 v4, v29, v4
	ds_bpermute_b32 v4, v24, v4
	s_waitcnt lgkmcnt(0)
	v_cndmask_b32_e64 v4, v4, v29, s[6:7]
	v_cndmask_b32_e64 v29, v4, 0, s[2:3]
	v_add_u32_e32 v30, v29, v1
	v_add_u32_e32 v1, v30, v2
	;; [unrolled: 1-line block ×3, first 2 shown]
	ds_write2_b64 v19, v[29:30], v[1:2] offset0:1 offset1:2
	s_waitcnt lgkmcnt(0)
	s_barrier
	ds_read_b32 v1, v28 offset:8
	v_lshlrev_b32_e32 v2, 2, v6
	s_waitcnt lgkmcnt(0)
	s_barrier
	v_lshl_add_u32 v1, v1, 2, v2
	ds_write_b32 v1, v27
	s_waitcnt lgkmcnt(0)
	s_barrier
	ds_read_b32 v27, v23
	v_mov_b32_e32 v1, s28
	v_mov_b32_e32 v3, s34
	;; [unrolled: 1-line block ×4, first 2 shown]
	s_waitcnt lgkmcnt(0)
	s_barrier
	ds_write2_b64 v19, v[1:2], v[3:4] offset0:1 offset1:2
	v_lshrrev_b32_e32 v1, 8, v27
	v_and_b32_e32 v2, 1, v1
	v_add_co_u32_e64 v4, s[22:23], -1, v2
	v_addc_co_u32_e64 v6, s[22:23], 0, -1, s[22:23]
	v_cmp_ne_u32_e64 s[22:23], 0, v2
	v_xor_b32_e32 v2, s23, v6
	v_lshlrev_b32_e32 v6, 30, v1
	v_xor_b32_e32 v4, s22, v4
	v_cmp_gt_i64_e64 s[22:23], 0, v[5:6]
	v_not_b32_e32 v6, v6
	v_ashrrev_i32_e32 v6, 31, v6
	v_and_b32_e32 v4, exec_lo, v4
	v_xor_b32_e32 v28, s23, v6
	v_xor_b32_e32 v6, s22, v6
	v_and_b32_e32 v4, v4, v6
	v_lshlrev_b32_e32 v6, 29, v1
	v_cmp_gt_i64_e64 s[22:23], 0, v[5:6]
	v_not_b32_e32 v6, v6
	v_and_b32_e32 v2, exec_hi, v2
	v_ashrrev_i32_e32 v6, 31, v6
	v_and_b32_e32 v2, v2, v28
	v_xor_b32_e32 v28, s23, v6
	v_xor_b32_e32 v6, s22, v6
	v_and_b32_e32 v4, v4, v6
	v_lshlrev_b32_e32 v6, 28, v1
	v_cmp_gt_i64_e64 s[22:23], 0, v[5:6]
	v_not_b32_e32 v6, v6
	v_ashrrev_i32_e32 v6, 31, v6
	v_and_b32_e32 v2, v2, v28
	v_xor_b32_e32 v28, s23, v6
	v_xor_b32_e32 v6, s22, v6
	v_and_b32_e32 v4, v4, v6
	v_lshlrev_b32_e32 v6, 27, v1
	v_cmp_gt_i64_e64 s[22:23], 0, v[5:6]
	v_not_b32_e32 v6, v6
	;; [unrolled: 8-line block ×4, first 2 shown]
	v_ashrrev_i32_e32 v6, 31, v6
	v_and_b32_e32 v2, v2, v28
	v_xor_b32_e32 v28, s23, v6
	v_xor_b32_e32 v6, s22, v6
	v_and_b32_e32 v4, v4, v6
	v_lshlrev_b32_e32 v6, 24, v1
	v_lshlrev_b32_sdwa v3, v11, v1 dst_sel:DWORD dst_unused:UNUSED_PAD src0_sel:DWORD src1_sel:BYTE_0
	v_cmp_gt_i64_e64 s[22:23], 0, v[5:6]
	v_not_b32_e32 v1, v6
	v_ashrrev_i32_e32 v1, 31, v1
	v_xor_b32_e32 v6, s23, v1
	v_xor_b32_e32 v1, s22, v1
	v_and_b32_e32 v2, v2, v28
	v_and_b32_e32 v1, v4, v1
	;; [unrolled: 1-line block ×3, first 2 shown]
	v_mbcnt_lo_u32_b32 v4, v1, 0
	v_mbcnt_hi_u32_b32 v6, v2, v4
	v_cmp_ne_u64_e64 s[22:23], 0, v[1:2]
	v_cmp_eq_u32_e64 s[24:25], 0, v6
	s_and_b64 s[24:25], s[22:23], s[24:25]
	v_add_u32_e32 v28, v25, v3
	s_waitcnt lgkmcnt(0)
	s_barrier
	; wave barrier
	s_and_saveexec_b64 s[22:23], s[24:25]
; %bb.11:                               ;   in Loop: Header=BB200_2 Depth=1
	v_bcnt_u32_b32 v1, v1, 0
	v_bcnt_u32_b32 v1, v2, v1
	ds_write_b32 v28, v1 offset:8
; %bb.12:                               ;   in Loop: Header=BB200_2 Depth=1
	s_or_b64 exec, exec, s[22:23]
	; wave barrier
	s_waitcnt lgkmcnt(0)
	s_barrier
	ds_read2_b64 v[1:4], v19 offset0:1 offset1:2
	s_waitcnt lgkmcnt(0)
	v_add_u32_e32 v29, v2, v1
	v_add3_u32 v4, v29, v3, v4
	s_nop 1
	v_mov_b32_dpp v29, v4 row_shr:1 row_mask:0xf bank_mask:0xf
	v_cndmask_b32_e64 v29, v29, 0, s[8:9]
	v_add_u32_e32 v4, v29, v4
	s_nop 1
	v_mov_b32_dpp v29, v4 row_shr:2 row_mask:0xf bank_mask:0xf
	v_cndmask_b32_e64 v29, 0, v29, s[10:11]
	v_add_u32_e32 v4, v4, v29
	;; [unrolled: 4-line block ×4, first 2 shown]
	s_nop 1
	v_mov_b32_dpp v29, v4 row_bcast:15 row_mask:0xf bank_mask:0xf
	v_cndmask_b32_e64 v29, v29, 0, s[16:17]
	v_add_u32_e32 v4, v4, v29
	s_nop 1
	v_mov_b32_dpp v29, v4 row_bcast:31 row_mask:0xf bank_mask:0xf
	v_cndmask_b32_e64 v29, 0, v29, s[4:5]
	v_add_u32_e32 v4, v4, v29
	s_and_saveexec_b64 s[22:23], s[18:19]
; %bb.13:                               ;   in Loop: Header=BB200_2 Depth=1
	ds_write_b32 v20, v4
; %bb.14:                               ;   in Loop: Header=BB200_2 Depth=1
	s_or_b64 exec, exec, s[22:23]
	s_waitcnt lgkmcnt(0)
	s_barrier
	s_and_saveexec_b64 s[22:23], vcc
	s_cbranch_execz .LBB200_16
; %bb.15:                               ;   in Loop: Header=BB200_2 Depth=1
	ds_read_b32 v29, v21
	s_waitcnt lgkmcnt(0)
	s_nop 0
	v_mov_b32_dpp v30, v29 row_shr:1 row_mask:0xf bank_mask:0xf
	v_cndmask_b32_e64 v30, v30, 0, s[20:21]
	v_add_u32_e32 v29, v30, v29
	ds_write_b32 v21, v29
.LBB200_16:                             ;   in Loop: Header=BB200_2 Depth=1
	s_or_b64 exec, exec, s[22:23]
	v_mov_b32_e32 v29, 0
	s_waitcnt lgkmcnt(0)
	s_barrier
	s_and_saveexec_b64 s[22:23], s[0:1]
; %bb.17:                               ;   in Loop: Header=BB200_2 Depth=1
	ds_read_b32 v29, v22
; %bb.18:                               ;   in Loop: Header=BB200_2 Depth=1
	s_or_b64 exec, exec, s[22:23]
	s_waitcnt lgkmcnt(0)
	v_add_u32_e32 v4, v29, v4
	ds_bpermute_b32 v4, v24, v4
	s_waitcnt lgkmcnt(0)
	v_cndmask_b32_e64 v4, v4, v29, s[6:7]
	v_cndmask_b32_e64 v29, v4, 0, s[2:3]
	v_add_u32_e32 v30, v29, v1
	v_add_u32_e32 v1, v30, v2
	;; [unrolled: 1-line block ×3, first 2 shown]
	ds_write2_b64 v19, v[29:30], v[1:2] offset0:1 offset1:2
	s_waitcnt lgkmcnt(0)
	s_barrier
	ds_read_b32 v1, v28 offset:8
	v_lshlrev_b32_e32 v2, 2, v6
	s_waitcnt lgkmcnt(0)
	s_barrier
	v_lshl_add_u32 v1, v1, 2, v2
	ds_write_b32 v1, v27
	s_waitcnt lgkmcnt(0)
	s_barrier
	ds_read_b32 v27, v23
	v_mov_b32_e32 v1, s28
	v_mov_b32_e32 v3, s34
	;; [unrolled: 1-line block ×4, first 2 shown]
	s_waitcnt lgkmcnt(0)
	s_barrier
	ds_write2_b64 v19, v[1:2], v[3:4] offset0:1 offset1:2
	v_and_b32_sdwa v1, v27, s36 dst_sel:DWORD dst_unused:UNUSED_PAD src0_sel:WORD_1 src1_sel:DWORD
	v_lshlrev_b32_e32 v3, 3, v1
	v_and_b32_sdwa v1, v27, v12 dst_sel:DWORD dst_unused:UNUSED_PAD src0_sel:WORD_1 src1_sel:DWORD
	v_add_co_u32_e64 v2, s[22:23], -1, v1
	v_addc_co_u32_e64 v4, s[22:23], 0, -1, s[22:23]
	v_cmp_ne_u32_e64 s[22:23], 0, v1
	v_lshlrev_b32_sdwa v6, v13, v27 dst_sel:DWORD dst_unused:UNUSED_PAD src0_sel:DWORD src1_sel:WORD_1
	v_xor_b32_e32 v1, s23, v4
	v_xor_b32_e32 v2, s22, v2
	v_cmp_gt_i64_e64 s[22:23], 0, v[5:6]
	v_not_b32_e32 v4, v6
	v_ashrrev_i32_e32 v4, 31, v4
	v_and_b32_e32 v1, exec_hi, v1
	v_xor_b32_e32 v6, s23, v4
	v_and_b32_e32 v2, exec_lo, v2
	v_xor_b32_e32 v4, s22, v4
	v_and_b32_e32 v1, v1, v6
	v_lshlrev_b32_sdwa v6, v14, v27 dst_sel:DWORD dst_unused:UNUSED_PAD src0_sel:DWORD src1_sel:WORD_1
	v_and_b32_e32 v2, v2, v4
	v_cmp_gt_i64_e64 s[22:23], 0, v[5:6]
	v_not_b32_e32 v4, v6
	v_ashrrev_i32_e32 v4, 31, v4
	v_xor_b32_e32 v6, s23, v4
	v_xor_b32_e32 v4, s22, v4
	v_and_b32_e32 v1, v1, v6
	v_lshlrev_b32_sdwa v6, v15, v27 dst_sel:DWORD dst_unused:UNUSED_PAD src0_sel:DWORD src1_sel:WORD_1
	v_and_b32_e32 v2, v2, v4
	v_cmp_gt_i64_e64 s[22:23], 0, v[5:6]
	v_not_b32_e32 v4, v6
	v_ashrrev_i32_e32 v4, 31, v4
	v_xor_b32_e32 v6, s23, v4
	;; [unrolled: 8-line block ×6, first 2 shown]
	v_xor_b32_e32 v28, s22, v2
	v_and_b32_e32 v2, v1, v6
	v_and_b32_e32 v1, v4, v28
	v_mbcnt_lo_u32_b32 v4, v1, 0
	v_mbcnt_hi_u32_b32 v6, v2, v4
	v_cmp_ne_u64_e64 s[22:23], 0, v[1:2]
	v_cmp_eq_u32_e64 s[24:25], 0, v6
	s_and_b64 s[24:25], s[22:23], s[24:25]
	v_add_u32_e32 v28, v25, v3
	s_waitcnt lgkmcnt(0)
	s_barrier
	; wave barrier
	s_and_saveexec_b64 s[22:23], s[24:25]
; %bb.19:                               ;   in Loop: Header=BB200_2 Depth=1
	v_bcnt_u32_b32 v1, v1, 0
	v_bcnt_u32_b32 v1, v2, v1
	ds_write_b32 v28, v1 offset:8
; %bb.20:                               ;   in Loop: Header=BB200_2 Depth=1
	s_or_b64 exec, exec, s[22:23]
	; wave barrier
	s_waitcnt lgkmcnt(0)
	s_barrier
	ds_read2_b64 v[1:4], v19 offset0:1 offset1:2
	s_waitcnt lgkmcnt(0)
	v_add_u32_e32 v29, v2, v1
	v_add3_u32 v4, v29, v3, v4
	s_nop 1
	v_mov_b32_dpp v29, v4 row_shr:1 row_mask:0xf bank_mask:0xf
	v_cndmask_b32_e64 v29, v29, 0, s[8:9]
	v_add_u32_e32 v4, v29, v4
	s_nop 1
	v_mov_b32_dpp v29, v4 row_shr:2 row_mask:0xf bank_mask:0xf
	v_cndmask_b32_e64 v29, 0, v29, s[10:11]
	v_add_u32_e32 v4, v4, v29
	;; [unrolled: 4-line block ×4, first 2 shown]
	s_nop 1
	v_mov_b32_dpp v29, v4 row_bcast:15 row_mask:0xf bank_mask:0xf
	v_cndmask_b32_e64 v29, v29, 0, s[16:17]
	v_add_u32_e32 v4, v4, v29
	s_nop 1
	v_mov_b32_dpp v29, v4 row_bcast:31 row_mask:0xf bank_mask:0xf
	v_cndmask_b32_e64 v29, 0, v29, s[4:5]
	v_add_u32_e32 v4, v4, v29
	s_and_saveexec_b64 s[22:23], s[18:19]
; %bb.21:                               ;   in Loop: Header=BB200_2 Depth=1
	ds_write_b32 v20, v4
; %bb.22:                               ;   in Loop: Header=BB200_2 Depth=1
	s_or_b64 exec, exec, s[22:23]
	s_waitcnt lgkmcnt(0)
	s_barrier
	s_and_saveexec_b64 s[22:23], vcc
	s_cbranch_execz .LBB200_24
; %bb.23:                               ;   in Loop: Header=BB200_2 Depth=1
	ds_read_b32 v29, v21
	s_waitcnt lgkmcnt(0)
	s_nop 0
	v_mov_b32_dpp v30, v29 row_shr:1 row_mask:0xf bank_mask:0xf
	v_cndmask_b32_e64 v30, v30, 0, s[20:21]
	v_add_u32_e32 v29, v30, v29
	ds_write_b32 v21, v29
.LBB200_24:                             ;   in Loop: Header=BB200_2 Depth=1
	s_or_b64 exec, exec, s[22:23]
	v_mov_b32_e32 v29, 0
	s_waitcnt lgkmcnt(0)
	s_barrier
	s_and_saveexec_b64 s[22:23], s[0:1]
; %bb.25:                               ;   in Loop: Header=BB200_2 Depth=1
	ds_read_b32 v29, v22
; %bb.26:                               ;   in Loop: Header=BB200_2 Depth=1
	s_or_b64 exec, exec, s[22:23]
	s_waitcnt lgkmcnt(0)
	v_add_u32_e32 v4, v29, v4
	ds_bpermute_b32 v4, v24, v4
	s_waitcnt lgkmcnt(0)
	v_cndmask_b32_e64 v4, v4, v29, s[6:7]
	v_cndmask_b32_e64 v29, v4, 0, s[2:3]
	v_add_u32_e32 v30, v29, v1
	v_add_u32_e32 v1, v30, v2
	;; [unrolled: 1-line block ×3, first 2 shown]
	ds_write2_b64 v19, v[29:30], v[1:2] offset0:1 offset1:2
	s_waitcnt lgkmcnt(0)
	s_barrier
	ds_read_b32 v1, v28 offset:8
	v_lshlrev_b32_e32 v2, 2, v6
	s_waitcnt lgkmcnt(0)
	s_barrier
	v_lshl_add_u32 v1, v1, 2, v2
	ds_write_b32 v1, v27
	s_waitcnt lgkmcnt(0)
	s_barrier
	ds_read_b32 v27, v23
	v_mov_b32_e32 v1, s28
	v_mov_b32_e32 v3, s34
	v_mov_b32_e32 v2, s29
	v_mov_b32_e32 v4, s35
	s_waitcnt lgkmcnt(0)
	s_barrier
	ds_write2_b64 v19, v[1:2], v[3:4] offset0:1 offset1:2
	v_and_b32_sdwa v1, v27, v12 dst_sel:DWORD dst_unused:UNUSED_PAD src0_sel:BYTE_3 src1_sel:DWORD
	v_add_co_u32_e64 v2, s[22:23], -1, v1
	v_addc_co_u32_e64 v4, s[22:23], 0, -1, s[22:23]
	v_cmp_ne_u32_e64 s[22:23], 0, v1
	v_lshlrev_b32_sdwa v6, v13, v27 dst_sel:DWORD dst_unused:UNUSED_PAD src0_sel:DWORD src1_sel:BYTE_3
	v_xor_b32_e32 v1, s23, v4
	v_xor_b32_e32 v2, s22, v2
	v_cmp_gt_i64_e64 s[22:23], 0, v[5:6]
	v_not_b32_e32 v4, v6
	v_ashrrev_i32_e32 v4, 31, v4
	v_and_b32_e32 v1, exec_hi, v1
	v_xor_b32_e32 v6, s23, v4
	v_and_b32_e32 v2, exec_lo, v2
	v_xor_b32_e32 v4, s22, v4
	v_and_b32_e32 v1, v1, v6
	v_lshlrev_b32_sdwa v6, v14, v27 dst_sel:DWORD dst_unused:UNUSED_PAD src0_sel:DWORD src1_sel:BYTE_3
	v_and_b32_e32 v2, v2, v4
	v_cmp_gt_i64_e64 s[22:23], 0, v[5:6]
	v_not_b32_e32 v4, v6
	v_ashrrev_i32_e32 v4, 31, v4
	v_xor_b32_e32 v6, s23, v4
	v_xor_b32_e32 v4, s22, v4
	v_and_b32_e32 v1, v1, v6
	v_lshlrev_b32_sdwa v6, v15, v27 dst_sel:DWORD dst_unused:UNUSED_PAD src0_sel:DWORD src1_sel:BYTE_3
	v_and_b32_e32 v2, v2, v4
	v_cmp_gt_i64_e64 s[22:23], 0, v[5:6]
	v_not_b32_e32 v4, v6
	v_ashrrev_i32_e32 v4, 31, v4
	v_xor_b32_e32 v6, s23, v4
	;; [unrolled: 8-line block ×6, first 2 shown]
	v_xor_b32_e32 v28, s22, v2
	v_and_b32_e32 v2, v1, v6
	v_and_b32_e32 v1, v4, v28
	v_mbcnt_lo_u32_b32 v4, v1, 0
	v_mbcnt_hi_u32_b32 v6, v2, v4
	v_cmp_ne_u64_e64 s[22:23], 0, v[1:2]
	v_lshlrev_b32_sdwa v3, v11, v27 dst_sel:DWORD dst_unused:UNUSED_PAD src0_sel:DWORD src1_sel:BYTE_3
	v_cmp_eq_u32_e64 s[24:25], 0, v6
	s_and_b64 s[24:25], s[22:23], s[24:25]
	v_add_u32_e32 v28, v25, v3
	s_waitcnt lgkmcnt(0)
	s_barrier
	; wave barrier
	s_and_saveexec_b64 s[22:23], s[24:25]
; %bb.27:                               ;   in Loop: Header=BB200_2 Depth=1
	v_bcnt_u32_b32 v1, v1, 0
	v_bcnt_u32_b32 v1, v2, v1
	ds_write_b32 v28, v1 offset:8
; %bb.28:                               ;   in Loop: Header=BB200_2 Depth=1
	s_or_b64 exec, exec, s[22:23]
	; wave barrier
	s_waitcnt lgkmcnt(0)
	s_barrier
	ds_read2_b64 v[1:4], v19 offset0:1 offset1:2
	s_waitcnt lgkmcnt(0)
	v_add_u32_e32 v29, v2, v1
	v_add3_u32 v4, v29, v3, v4
	s_nop 1
	v_mov_b32_dpp v29, v4 row_shr:1 row_mask:0xf bank_mask:0xf
	v_cndmask_b32_e64 v29, v29, 0, s[8:9]
	v_add_u32_e32 v4, v29, v4
	s_nop 1
	v_mov_b32_dpp v29, v4 row_shr:2 row_mask:0xf bank_mask:0xf
	v_cndmask_b32_e64 v29, 0, v29, s[10:11]
	v_add_u32_e32 v4, v4, v29
	;; [unrolled: 4-line block ×4, first 2 shown]
	s_nop 1
	v_mov_b32_dpp v29, v4 row_bcast:15 row_mask:0xf bank_mask:0xf
	v_cndmask_b32_e64 v29, v29, 0, s[16:17]
	v_add_u32_e32 v4, v4, v29
	s_nop 1
	v_mov_b32_dpp v29, v4 row_bcast:31 row_mask:0xf bank_mask:0xf
	v_cndmask_b32_e64 v29, 0, v29, s[4:5]
	v_add_u32_e32 v4, v4, v29
	s_and_saveexec_b64 s[22:23], s[18:19]
; %bb.29:                               ;   in Loop: Header=BB200_2 Depth=1
	ds_write_b32 v20, v4
; %bb.30:                               ;   in Loop: Header=BB200_2 Depth=1
	s_or_b64 exec, exec, s[22:23]
	s_waitcnt lgkmcnt(0)
	s_barrier
	s_and_saveexec_b64 s[22:23], vcc
	s_cbranch_execz .LBB200_32
; %bb.31:                               ;   in Loop: Header=BB200_2 Depth=1
	ds_read_b32 v29, v21
	s_waitcnt lgkmcnt(0)
	s_nop 0
	v_mov_b32_dpp v30, v29 row_shr:1 row_mask:0xf bank_mask:0xf
	v_cndmask_b32_e64 v30, v30, 0, s[20:21]
	v_add_u32_e32 v29, v30, v29
	ds_write_b32 v21, v29
.LBB200_32:                             ;   in Loop: Header=BB200_2 Depth=1
	s_or_b64 exec, exec, s[22:23]
	v_mov_b32_e32 v29, 0
	s_waitcnt lgkmcnt(0)
	s_barrier
	s_and_saveexec_b64 s[22:23], s[0:1]
	s_cbranch_execz .LBB200_1
; %bb.33:                               ;   in Loop: Header=BB200_2 Depth=1
	ds_read_b32 v29, v22
	s_branch .LBB200_1
.LBB200_34:
	s_add_u32 s0, s26, s30
	s_waitcnt lgkmcnt(0)
	v_xor_b32_e32 v1, 0x80000000, v27
	s_addc_u32 s1, s27, s31
	v_lshlrev_b32_e32 v0, 2, v0
	global_store_dword v0, v1, s[0:1]
	s_endpgm
	.section	.rodata,"a",@progbits
	.p2align	6, 0x0
	.amdhsa_kernel _Z16sort_keys_kernelI22helper_blocked_stripediLj128ELj1ELj10EEvPKT0_PS1_
		.amdhsa_group_segment_fixed_size 2064
		.amdhsa_private_segment_fixed_size 0
		.amdhsa_kernarg_size 272
		.amdhsa_user_sgpr_count 6
		.amdhsa_user_sgpr_private_segment_buffer 1
		.amdhsa_user_sgpr_dispatch_ptr 0
		.amdhsa_user_sgpr_queue_ptr 0
		.amdhsa_user_sgpr_kernarg_segment_ptr 1
		.amdhsa_user_sgpr_dispatch_id 0
		.amdhsa_user_sgpr_flat_scratch_init 0
		.amdhsa_user_sgpr_private_segment_size 0
		.amdhsa_uses_dynamic_stack 0
		.amdhsa_system_sgpr_private_segment_wavefront_offset 0
		.amdhsa_system_sgpr_workgroup_id_x 1
		.amdhsa_system_sgpr_workgroup_id_y 0
		.amdhsa_system_sgpr_workgroup_id_z 0
		.amdhsa_system_sgpr_workgroup_info 0
		.amdhsa_system_vgpr_workitem_id 2
		.amdhsa_next_free_vgpr 31
		.amdhsa_next_free_sgpr 61
		.amdhsa_reserve_vcc 1
		.amdhsa_reserve_flat_scratch 0
		.amdhsa_float_round_mode_32 0
		.amdhsa_float_round_mode_16_64 0
		.amdhsa_float_denorm_mode_32 3
		.amdhsa_float_denorm_mode_16_64 3
		.amdhsa_dx10_clamp 1
		.amdhsa_ieee_mode 1
		.amdhsa_fp16_overflow 0
		.amdhsa_exception_fp_ieee_invalid_op 0
		.amdhsa_exception_fp_denorm_src 0
		.amdhsa_exception_fp_ieee_div_zero 0
		.amdhsa_exception_fp_ieee_overflow 0
		.amdhsa_exception_fp_ieee_underflow 0
		.amdhsa_exception_fp_ieee_inexact 0
		.amdhsa_exception_int_div_zero 0
	.end_amdhsa_kernel
	.section	.text._Z16sort_keys_kernelI22helper_blocked_stripediLj128ELj1ELj10EEvPKT0_PS1_,"axG",@progbits,_Z16sort_keys_kernelI22helper_blocked_stripediLj128ELj1ELj10EEvPKT0_PS1_,comdat
.Lfunc_end200:
	.size	_Z16sort_keys_kernelI22helper_blocked_stripediLj128ELj1ELj10EEvPKT0_PS1_, .Lfunc_end200-_Z16sort_keys_kernelI22helper_blocked_stripediLj128ELj1ELj10EEvPKT0_PS1_
                                        ; -- End function
	.set _Z16sort_keys_kernelI22helper_blocked_stripediLj128ELj1ELj10EEvPKT0_PS1_.num_vgpr, 31
	.set _Z16sort_keys_kernelI22helper_blocked_stripediLj128ELj1ELj10EEvPKT0_PS1_.num_agpr, 0
	.set _Z16sort_keys_kernelI22helper_blocked_stripediLj128ELj1ELj10EEvPKT0_PS1_.numbered_sgpr, 37
	.set _Z16sort_keys_kernelI22helper_blocked_stripediLj128ELj1ELj10EEvPKT0_PS1_.num_named_barrier, 0
	.set _Z16sort_keys_kernelI22helper_blocked_stripediLj128ELj1ELj10EEvPKT0_PS1_.private_seg_size, 0
	.set _Z16sort_keys_kernelI22helper_blocked_stripediLj128ELj1ELj10EEvPKT0_PS1_.uses_vcc, 1
	.set _Z16sort_keys_kernelI22helper_blocked_stripediLj128ELj1ELj10EEvPKT0_PS1_.uses_flat_scratch, 0
	.set _Z16sort_keys_kernelI22helper_blocked_stripediLj128ELj1ELj10EEvPKT0_PS1_.has_dyn_sized_stack, 0
	.set _Z16sort_keys_kernelI22helper_blocked_stripediLj128ELj1ELj10EEvPKT0_PS1_.has_recursion, 0
	.set _Z16sort_keys_kernelI22helper_blocked_stripediLj128ELj1ELj10EEvPKT0_PS1_.has_indirect_call, 0
	.section	.AMDGPU.csdata,"",@progbits
; Kernel info:
; codeLenInByte = 3744
; TotalNumSgprs: 41
; NumVgprs: 31
; ScratchSize: 0
; MemoryBound: 0
; FloatMode: 240
; IeeeMode: 1
; LDSByteSize: 2064 bytes/workgroup (compile time only)
; SGPRBlocks: 8
; VGPRBlocks: 7
; NumSGPRsForWavesPerEU: 65
; NumVGPRsForWavesPerEU: 31
; Occupancy: 8
; WaveLimiterHint : 0
; COMPUTE_PGM_RSRC2:SCRATCH_EN: 0
; COMPUTE_PGM_RSRC2:USER_SGPR: 6
; COMPUTE_PGM_RSRC2:TRAP_HANDLER: 0
; COMPUTE_PGM_RSRC2:TGID_X_EN: 1
; COMPUTE_PGM_RSRC2:TGID_Y_EN: 0
; COMPUTE_PGM_RSRC2:TGID_Z_EN: 0
; COMPUTE_PGM_RSRC2:TIDIG_COMP_CNT: 2
	.section	.text._Z17sort_pairs_kernelI22helper_blocked_stripediLj128ELj1ELj10EEvPKT0_PS1_,"axG",@progbits,_Z17sort_pairs_kernelI22helper_blocked_stripediLj128ELj1ELj10EEvPKT0_PS1_,comdat
	.protected	_Z17sort_pairs_kernelI22helper_blocked_stripediLj128ELj1ELj10EEvPKT0_PS1_ ; -- Begin function _Z17sort_pairs_kernelI22helper_blocked_stripediLj128ELj1ELj10EEvPKT0_PS1_
	.globl	_Z17sort_pairs_kernelI22helper_blocked_stripediLj128ELj1ELj10EEvPKT0_PS1_
	.p2align	8
	.type	_Z17sort_pairs_kernelI22helper_blocked_stripediLj128ELj1ELj10EEvPKT0_PS1_,@function
_Z17sort_pairs_kernelI22helper_blocked_stripediLj128ELj1ELj10EEvPKT0_PS1_: ; @_Z17sort_pairs_kernelI22helper_blocked_stripediLj128ELj1ELj10EEvPKT0_PS1_
; %bb.0:
	s_load_dwordx4 s[24:27], s[4:5], 0x0
	s_load_dword s22, s[4:5], 0x1c
	s_lshl_b32 s30, s6, 7
	s_mov_b32 s31, 0
	s_lshl_b64 s[28:29], s[30:31], 2
	s_waitcnt lgkmcnt(0)
	s_add_u32 s0, s24, s28
	s_addc_u32 s1, s25, s29
	v_lshlrev_b32_e32 v3, 2, v0
	global_load_dword v3, v3, s[0:1]
	v_mbcnt_lo_u32_b32 v4, -1, 0
	v_mbcnt_hi_u32_b32 v4, -1, v4
	s_lshr_b32 s23, s22, 16
	v_subrev_co_u32_e64 v24, s[6:7], 1, v4
	v_and_b32_e32 v25, 64, v4
	s_and_b32 s22, s22, 0xffff
	v_mad_u32_u24 v1, v2, s23, v1
	v_lshlrev_b32_e32 v19, 4, v0
	v_and_b32_e32 v6, 64, v0
	v_lshrrev_b32_e32 v7, 4, v0
	v_mul_i32_i24_e32 v9, -12, v0
	s_mov_b32 s34, s31
	v_and_b32_e32 v10, 15, v4
	s_mov_b32 s30, s31
	v_cmp_lt_i32_e64 s[20:21], v24, v25
	v_mad_u32_u24 v1, v1, s22, v0
	s_mov_b32 s35, s31
	v_and_b32_e32 v22, 16, v4
	v_or_b32_e32 v23, 63, v6
	v_and_b32_e32 v20, 4, v7
	v_and_b32_e32 v26, 1, v4
	v_lshlrev_b32_e32 v6, 2, v6
	v_mov_b32_e32 v7, s34
	v_add_u32_e32 v21, v19, v9
	v_cmp_eq_u32_e64 s[8:9], 0, v10
	v_cmp_lt_u32_e64 s[10:11], 1, v10
	v_cmp_lt_u32_e64 s[12:13], 3, v10
	;; [unrolled: 1-line block ×3, first 2 shown]
	v_cndmask_b32_e64 v24, v24, v4, s[20:21]
	v_mov_b32_e32 v9, s30
	v_lshrrev_b32_e32 v1, 4, v1
	v_mov_b32_e32 v5, 0
	s_mov_b32 s33, 10
	s_movk_i32 s36, 0xff
	v_mov_b32_e32 v11, 3
	v_mov_b32_e32 v12, 1
	;; [unrolled: 1-line block ×8, first 2 shown]
	v_cmp_gt_u32_e32 vcc, 2, v0
	v_cmp_lt_u32_e64 s[0:1], 63, v0
	v_cmp_eq_u32_e64 s[2:3], 0, v0
	v_cmp_lt_u32_e64 s[4:5], 31, v4
	v_mov_b32_e32 v8, s35
	v_cmp_eq_u32_e64 s[16:17], 0, v22
	v_cmp_eq_u32_e64 s[18:19], v0, v23
	;; [unrolled: 1-line block ×3, first 2 shown]
	v_add_u32_e32 v22, -4, v20
	v_lshl_add_u32 v23, v4, 2, v6
	v_mov_b32_e32 v10, s31
	v_lshlrev_b32_e32 v24, 2, v24
	v_and_b32_e32 v25, 0xffffffc, v1
	v_mov_b32_e32 v26, 24
	s_waitcnt vmcnt(0)
	v_add_u32_e32 v27, 1, v3
	v_xor_b32_e32 v28, 0x80000000, v3
	s_branch .LBB201_2
.LBB201_1:                              ;   in Loop: Header=BB201_2 Depth=1
	s_or_b64 exec, exec, s[22:23]
	s_waitcnt lgkmcnt(0)
	v_add_u32_e32 v4, v30, v4
	ds_bpermute_b32 v4, v24, v4
	s_add_i32 s33, s33, -1
	s_cmp_eq_u32 s33, 0
	s_waitcnt lgkmcnt(0)
	v_cndmask_b32_e64 v4, v4, v30, s[6:7]
	v_cndmask_b32_e64 v30, v4, 0, s[2:3]
	v_add_u32_e32 v31, v30, v1
	v_add_u32_e32 v1, v31, v2
	;; [unrolled: 1-line block ×3, first 2 shown]
	ds_write2_b64 v19, v[30:31], v[1:2] offset0:1 offset1:2
	s_waitcnt lgkmcnt(0)
	s_barrier
	ds_read_b32 v1, v29 offset:8
	v_lshlrev_b32_e32 v2, 2, v6
	s_waitcnt lgkmcnt(0)
	s_barrier
	v_lshl_add_u32 v1, v1, 2, v2
	ds_write_b32 v1, v28
	s_waitcnt lgkmcnt(0)
	s_barrier
	ds_read_b32 v28, v21
	s_waitcnt lgkmcnt(0)
	s_barrier
	ds_write_b32 v1, v27
	s_waitcnt lgkmcnt(0)
	s_barrier
	ds_read_b32 v27, v21
	s_cbranch_scc1 .LBB201_34
.LBB201_2:                              ; =>This Inner Loop Header: Depth=1
	v_and_b32_e32 v1, 1, v28
	v_add_co_u32_e64 v2, s[22:23], -1, v1
	v_addc_co_u32_e64 v4, s[22:23], 0, -1, s[22:23]
	v_cmp_ne_u32_e64 s[22:23], 0, v1
	v_lshlrev_b32_e32 v6, 30, v28
	v_xor_b32_e32 v1, s23, v4
	v_xor_b32_e32 v2, s22, v2
	v_cmp_gt_i64_e64 s[22:23], 0, v[5:6]
	v_not_b32_e32 v4, v6
	v_ashrrev_i32_e32 v4, 31, v4
	v_and_b32_e32 v1, exec_hi, v1
	v_xor_b32_e32 v6, s23, v4
	v_and_b32_e32 v2, exec_lo, v2
	v_xor_b32_e32 v4, s22, v4
	v_and_b32_e32 v1, v1, v6
	v_lshlrev_b32_e32 v6, 29, v28
	v_and_b32_e32 v2, v2, v4
	v_cmp_gt_i64_e64 s[22:23], 0, v[5:6]
	v_not_b32_e32 v4, v6
	v_ashrrev_i32_e32 v4, 31, v4
	v_xor_b32_e32 v6, s23, v4
	v_xor_b32_e32 v4, s22, v4
	v_and_b32_e32 v1, v1, v6
	v_lshlrev_b32_e32 v6, 28, v28
	v_and_b32_e32 v2, v2, v4
	v_cmp_gt_i64_e64 s[22:23], 0, v[5:6]
	v_not_b32_e32 v4, v6
	v_ashrrev_i32_e32 v4, 31, v4
	v_xor_b32_e32 v6, s23, v4
	;; [unrolled: 8-line block ×6, first 2 shown]
	v_xor_b32_e32 v29, s22, v2
	v_and_b32_e32 v2, v1, v6
	v_and_b32_e32 v1, v4, v29
	v_mbcnt_lo_u32_b32 v4, v1, 0
	v_mbcnt_hi_u32_b32 v6, v2, v4
	v_cmp_ne_u64_e64 s[22:23], 0, v[1:2]
	v_lshlrev_b32_sdwa v3, v11, v28 dst_sel:DWORD dst_unused:UNUSED_PAD src0_sel:DWORD src1_sel:BYTE_0
	v_cmp_eq_u32_e64 s[24:25], 0, v6
	s_and_b64 s[24:25], s[22:23], s[24:25]
	v_add_u32_e32 v29, v25, v3
	ds_write2_b64 v19, v[9:10], v[7:8] offset0:1 offset1:2
	s_waitcnt lgkmcnt(0)
	s_barrier
	; wave barrier
	s_and_saveexec_b64 s[22:23], s[24:25]
; %bb.3:                                ;   in Loop: Header=BB201_2 Depth=1
	v_bcnt_u32_b32 v1, v1, 0
	v_bcnt_u32_b32 v1, v2, v1
	ds_write_b32 v29, v1 offset:8
; %bb.4:                                ;   in Loop: Header=BB201_2 Depth=1
	s_or_b64 exec, exec, s[22:23]
	; wave barrier
	s_waitcnt lgkmcnt(0)
	s_barrier
	ds_read2_b64 v[1:4], v19 offset0:1 offset1:2
	s_waitcnt lgkmcnt(0)
	v_add_u32_e32 v30, v2, v1
	v_add3_u32 v4, v30, v3, v4
	s_nop 1
	v_mov_b32_dpp v30, v4 row_shr:1 row_mask:0xf bank_mask:0xf
	v_cndmask_b32_e64 v30, v30, 0, s[8:9]
	v_add_u32_e32 v4, v30, v4
	s_nop 1
	v_mov_b32_dpp v30, v4 row_shr:2 row_mask:0xf bank_mask:0xf
	v_cndmask_b32_e64 v30, 0, v30, s[10:11]
	v_add_u32_e32 v4, v4, v30
	;; [unrolled: 4-line block ×4, first 2 shown]
	s_nop 1
	v_mov_b32_dpp v30, v4 row_bcast:15 row_mask:0xf bank_mask:0xf
	v_cndmask_b32_e64 v30, v30, 0, s[16:17]
	v_add_u32_e32 v4, v4, v30
	s_nop 1
	v_mov_b32_dpp v30, v4 row_bcast:31 row_mask:0xf bank_mask:0xf
	v_cndmask_b32_e64 v30, 0, v30, s[4:5]
	v_add_u32_e32 v4, v4, v30
	s_and_saveexec_b64 s[22:23], s[18:19]
; %bb.5:                                ;   in Loop: Header=BB201_2 Depth=1
	ds_write_b32 v20, v4
; %bb.6:                                ;   in Loop: Header=BB201_2 Depth=1
	s_or_b64 exec, exec, s[22:23]
	s_waitcnt lgkmcnt(0)
	s_barrier
	s_and_saveexec_b64 s[22:23], vcc
	s_cbranch_execz .LBB201_8
; %bb.7:                                ;   in Loop: Header=BB201_2 Depth=1
	ds_read_b32 v30, v21
	s_waitcnt lgkmcnt(0)
	s_nop 0
	v_mov_b32_dpp v31, v30 row_shr:1 row_mask:0xf bank_mask:0xf
	v_cndmask_b32_e64 v31, v31, 0, s[20:21]
	v_add_u32_e32 v30, v31, v30
	ds_write_b32 v21, v30
.LBB201_8:                              ;   in Loop: Header=BB201_2 Depth=1
	s_or_b64 exec, exec, s[22:23]
	v_mov_b32_e32 v30, 0
	s_waitcnt lgkmcnt(0)
	s_barrier
	s_and_saveexec_b64 s[22:23], s[0:1]
; %bb.9:                                ;   in Loop: Header=BB201_2 Depth=1
	ds_read_b32 v30, v22
; %bb.10:                               ;   in Loop: Header=BB201_2 Depth=1
	s_or_b64 exec, exec, s[22:23]
	s_waitcnt lgkmcnt(0)
	v_add_u32_e32 v4, v30, v4
	ds_bpermute_b32 v4, v24, v4
	s_waitcnt lgkmcnt(0)
	v_cndmask_b32_e64 v4, v4, v30, s[6:7]
	v_cndmask_b32_e64 v30, v4, 0, s[2:3]
	v_add_u32_e32 v31, v30, v1
	v_add_u32_e32 v1, v31, v2
	v_add_u32_e32 v2, v1, v3
	ds_write2_b64 v19, v[30:31], v[1:2] offset0:1 offset1:2
	s_waitcnt lgkmcnt(0)
	s_barrier
	ds_read_b32 v1, v29 offset:8
	v_lshlrev_b32_e32 v2, 2, v6
	s_waitcnt lgkmcnt(0)
	s_barrier
	v_lshl_add_u32 v1, v1, 2, v2
	ds_write_b32 v1, v28
	s_waitcnt lgkmcnt(0)
	s_barrier
	ds_read_b32 v28, v23
	s_waitcnt lgkmcnt(0)
	s_barrier
	ds_write_b32 v1, v27
	v_mov_b32_e32 v1, s30
	v_mov_b32_e32 v3, s34
	v_mov_b32_e32 v2, s31
	v_mov_b32_e32 v4, s35
	s_waitcnt lgkmcnt(0)
	s_barrier
	ds_read_b32 v27, v23
	s_waitcnt lgkmcnt(0)
	s_barrier
	ds_write2_b64 v19, v[1:2], v[3:4] offset0:1 offset1:2
	v_lshrrev_b32_e32 v1, 8, v28
	v_and_b32_e32 v2, 1, v1
	v_add_co_u32_e64 v4, s[22:23], -1, v2
	v_addc_co_u32_e64 v6, s[22:23], 0, -1, s[22:23]
	v_cmp_ne_u32_e64 s[22:23], 0, v2
	v_xor_b32_e32 v2, s23, v6
	v_lshlrev_b32_e32 v6, 30, v1
	v_xor_b32_e32 v4, s22, v4
	v_cmp_gt_i64_e64 s[22:23], 0, v[5:6]
	v_not_b32_e32 v6, v6
	v_ashrrev_i32_e32 v6, 31, v6
	v_and_b32_e32 v4, exec_lo, v4
	v_xor_b32_e32 v29, s23, v6
	v_xor_b32_e32 v6, s22, v6
	v_and_b32_e32 v4, v4, v6
	v_lshlrev_b32_e32 v6, 29, v1
	v_cmp_gt_i64_e64 s[22:23], 0, v[5:6]
	v_not_b32_e32 v6, v6
	v_and_b32_e32 v2, exec_hi, v2
	v_ashrrev_i32_e32 v6, 31, v6
	v_and_b32_e32 v2, v2, v29
	v_xor_b32_e32 v29, s23, v6
	v_xor_b32_e32 v6, s22, v6
	v_and_b32_e32 v4, v4, v6
	v_lshlrev_b32_e32 v6, 28, v1
	v_cmp_gt_i64_e64 s[22:23], 0, v[5:6]
	v_not_b32_e32 v6, v6
	v_ashrrev_i32_e32 v6, 31, v6
	v_and_b32_e32 v2, v2, v29
	v_xor_b32_e32 v29, s23, v6
	v_xor_b32_e32 v6, s22, v6
	v_and_b32_e32 v4, v4, v6
	v_lshlrev_b32_e32 v6, 27, v1
	v_cmp_gt_i64_e64 s[22:23], 0, v[5:6]
	v_not_b32_e32 v6, v6
	;; [unrolled: 8-line block ×4, first 2 shown]
	v_ashrrev_i32_e32 v6, 31, v6
	v_and_b32_e32 v2, v2, v29
	v_xor_b32_e32 v29, s23, v6
	v_xor_b32_e32 v6, s22, v6
	v_and_b32_e32 v4, v4, v6
	v_lshlrev_b32_e32 v6, 24, v1
	v_lshlrev_b32_sdwa v3, v11, v1 dst_sel:DWORD dst_unused:UNUSED_PAD src0_sel:DWORD src1_sel:BYTE_0
	v_cmp_gt_i64_e64 s[22:23], 0, v[5:6]
	v_not_b32_e32 v1, v6
	v_ashrrev_i32_e32 v1, 31, v1
	v_xor_b32_e32 v6, s23, v1
	v_xor_b32_e32 v1, s22, v1
	v_and_b32_e32 v2, v2, v29
	v_and_b32_e32 v1, v4, v1
	;; [unrolled: 1-line block ×3, first 2 shown]
	v_mbcnt_lo_u32_b32 v4, v1, 0
	v_mbcnt_hi_u32_b32 v6, v2, v4
	v_cmp_ne_u64_e64 s[22:23], 0, v[1:2]
	v_cmp_eq_u32_e64 s[24:25], 0, v6
	s_and_b64 s[24:25], s[22:23], s[24:25]
	v_add_u32_e32 v29, v25, v3
	s_waitcnt lgkmcnt(0)
	s_barrier
	; wave barrier
	s_and_saveexec_b64 s[22:23], s[24:25]
; %bb.11:                               ;   in Loop: Header=BB201_2 Depth=1
	v_bcnt_u32_b32 v1, v1, 0
	v_bcnt_u32_b32 v1, v2, v1
	ds_write_b32 v29, v1 offset:8
; %bb.12:                               ;   in Loop: Header=BB201_2 Depth=1
	s_or_b64 exec, exec, s[22:23]
	; wave barrier
	s_waitcnt lgkmcnt(0)
	s_barrier
	ds_read2_b64 v[1:4], v19 offset0:1 offset1:2
	s_waitcnt lgkmcnt(0)
	v_add_u32_e32 v30, v2, v1
	v_add3_u32 v4, v30, v3, v4
	s_nop 1
	v_mov_b32_dpp v30, v4 row_shr:1 row_mask:0xf bank_mask:0xf
	v_cndmask_b32_e64 v30, v30, 0, s[8:9]
	v_add_u32_e32 v4, v30, v4
	s_nop 1
	v_mov_b32_dpp v30, v4 row_shr:2 row_mask:0xf bank_mask:0xf
	v_cndmask_b32_e64 v30, 0, v30, s[10:11]
	v_add_u32_e32 v4, v4, v30
	;; [unrolled: 4-line block ×4, first 2 shown]
	s_nop 1
	v_mov_b32_dpp v30, v4 row_bcast:15 row_mask:0xf bank_mask:0xf
	v_cndmask_b32_e64 v30, v30, 0, s[16:17]
	v_add_u32_e32 v4, v4, v30
	s_nop 1
	v_mov_b32_dpp v30, v4 row_bcast:31 row_mask:0xf bank_mask:0xf
	v_cndmask_b32_e64 v30, 0, v30, s[4:5]
	v_add_u32_e32 v4, v4, v30
	s_and_saveexec_b64 s[22:23], s[18:19]
; %bb.13:                               ;   in Loop: Header=BB201_2 Depth=1
	ds_write_b32 v20, v4
; %bb.14:                               ;   in Loop: Header=BB201_2 Depth=1
	s_or_b64 exec, exec, s[22:23]
	s_waitcnt lgkmcnt(0)
	s_barrier
	s_and_saveexec_b64 s[22:23], vcc
	s_cbranch_execz .LBB201_16
; %bb.15:                               ;   in Loop: Header=BB201_2 Depth=1
	ds_read_b32 v30, v21
	s_waitcnt lgkmcnt(0)
	s_nop 0
	v_mov_b32_dpp v31, v30 row_shr:1 row_mask:0xf bank_mask:0xf
	v_cndmask_b32_e64 v31, v31, 0, s[20:21]
	v_add_u32_e32 v30, v31, v30
	ds_write_b32 v21, v30
.LBB201_16:                             ;   in Loop: Header=BB201_2 Depth=1
	s_or_b64 exec, exec, s[22:23]
	v_mov_b32_e32 v30, 0
	s_waitcnt lgkmcnt(0)
	s_barrier
	s_and_saveexec_b64 s[22:23], s[0:1]
; %bb.17:                               ;   in Loop: Header=BB201_2 Depth=1
	ds_read_b32 v30, v22
; %bb.18:                               ;   in Loop: Header=BB201_2 Depth=1
	s_or_b64 exec, exec, s[22:23]
	s_waitcnt lgkmcnt(0)
	v_add_u32_e32 v4, v30, v4
	ds_bpermute_b32 v4, v24, v4
	s_waitcnt lgkmcnt(0)
	v_cndmask_b32_e64 v4, v4, v30, s[6:7]
	v_cndmask_b32_e64 v30, v4, 0, s[2:3]
	v_add_u32_e32 v31, v30, v1
	v_add_u32_e32 v1, v31, v2
	;; [unrolled: 1-line block ×3, first 2 shown]
	ds_write2_b64 v19, v[30:31], v[1:2] offset0:1 offset1:2
	s_waitcnt lgkmcnt(0)
	s_barrier
	ds_read_b32 v1, v29 offset:8
	v_lshlrev_b32_e32 v2, 2, v6
	s_waitcnt lgkmcnt(0)
	s_barrier
	v_lshl_add_u32 v1, v1, 2, v2
	ds_write_b32 v1, v28
	s_waitcnt lgkmcnt(0)
	s_barrier
	ds_read_b32 v28, v23
	s_waitcnt lgkmcnt(0)
	s_barrier
	ds_write_b32 v1, v27
	v_mov_b32_e32 v1, s30
	v_mov_b32_e32 v3, s34
	;; [unrolled: 1-line block ×4, first 2 shown]
	s_waitcnt lgkmcnt(0)
	s_barrier
	ds_read_b32 v27, v23
	s_waitcnt lgkmcnt(0)
	s_barrier
	ds_write2_b64 v19, v[1:2], v[3:4] offset0:1 offset1:2
	v_and_b32_sdwa v1, v28, s36 dst_sel:DWORD dst_unused:UNUSED_PAD src0_sel:WORD_1 src1_sel:DWORD
	v_lshlrev_b32_e32 v3, 3, v1
	v_and_b32_sdwa v1, v28, v12 dst_sel:DWORD dst_unused:UNUSED_PAD src0_sel:WORD_1 src1_sel:DWORD
	v_add_co_u32_e64 v2, s[22:23], -1, v1
	v_addc_co_u32_e64 v4, s[22:23], 0, -1, s[22:23]
	v_cmp_ne_u32_e64 s[22:23], 0, v1
	v_lshlrev_b32_sdwa v6, v13, v28 dst_sel:DWORD dst_unused:UNUSED_PAD src0_sel:DWORD src1_sel:WORD_1
	v_xor_b32_e32 v1, s23, v4
	v_xor_b32_e32 v2, s22, v2
	v_cmp_gt_i64_e64 s[22:23], 0, v[5:6]
	v_not_b32_e32 v4, v6
	v_ashrrev_i32_e32 v4, 31, v4
	v_and_b32_e32 v1, exec_hi, v1
	v_xor_b32_e32 v6, s23, v4
	v_and_b32_e32 v2, exec_lo, v2
	v_xor_b32_e32 v4, s22, v4
	v_and_b32_e32 v1, v1, v6
	v_lshlrev_b32_sdwa v6, v14, v28 dst_sel:DWORD dst_unused:UNUSED_PAD src0_sel:DWORD src1_sel:WORD_1
	v_and_b32_e32 v2, v2, v4
	v_cmp_gt_i64_e64 s[22:23], 0, v[5:6]
	v_not_b32_e32 v4, v6
	v_ashrrev_i32_e32 v4, 31, v4
	v_xor_b32_e32 v6, s23, v4
	v_xor_b32_e32 v4, s22, v4
	v_and_b32_e32 v1, v1, v6
	v_lshlrev_b32_sdwa v6, v15, v28 dst_sel:DWORD dst_unused:UNUSED_PAD src0_sel:DWORD src1_sel:WORD_1
	v_and_b32_e32 v2, v2, v4
	v_cmp_gt_i64_e64 s[22:23], 0, v[5:6]
	v_not_b32_e32 v4, v6
	v_ashrrev_i32_e32 v4, 31, v4
	v_xor_b32_e32 v6, s23, v4
	;; [unrolled: 8-line block ×6, first 2 shown]
	v_xor_b32_e32 v29, s22, v2
	v_and_b32_e32 v2, v1, v6
	v_and_b32_e32 v1, v4, v29
	v_mbcnt_lo_u32_b32 v4, v1, 0
	v_mbcnt_hi_u32_b32 v6, v2, v4
	v_cmp_ne_u64_e64 s[22:23], 0, v[1:2]
	v_cmp_eq_u32_e64 s[24:25], 0, v6
	s_and_b64 s[24:25], s[22:23], s[24:25]
	v_add_u32_e32 v29, v25, v3
	s_waitcnt lgkmcnt(0)
	s_barrier
	; wave barrier
	s_and_saveexec_b64 s[22:23], s[24:25]
; %bb.19:                               ;   in Loop: Header=BB201_2 Depth=1
	v_bcnt_u32_b32 v1, v1, 0
	v_bcnt_u32_b32 v1, v2, v1
	ds_write_b32 v29, v1 offset:8
; %bb.20:                               ;   in Loop: Header=BB201_2 Depth=1
	s_or_b64 exec, exec, s[22:23]
	; wave barrier
	s_waitcnt lgkmcnt(0)
	s_barrier
	ds_read2_b64 v[1:4], v19 offset0:1 offset1:2
	s_waitcnt lgkmcnt(0)
	v_add_u32_e32 v30, v2, v1
	v_add3_u32 v4, v30, v3, v4
	s_nop 1
	v_mov_b32_dpp v30, v4 row_shr:1 row_mask:0xf bank_mask:0xf
	v_cndmask_b32_e64 v30, v30, 0, s[8:9]
	v_add_u32_e32 v4, v30, v4
	s_nop 1
	v_mov_b32_dpp v30, v4 row_shr:2 row_mask:0xf bank_mask:0xf
	v_cndmask_b32_e64 v30, 0, v30, s[10:11]
	v_add_u32_e32 v4, v4, v30
	;; [unrolled: 4-line block ×4, first 2 shown]
	s_nop 1
	v_mov_b32_dpp v30, v4 row_bcast:15 row_mask:0xf bank_mask:0xf
	v_cndmask_b32_e64 v30, v30, 0, s[16:17]
	v_add_u32_e32 v4, v4, v30
	s_nop 1
	v_mov_b32_dpp v30, v4 row_bcast:31 row_mask:0xf bank_mask:0xf
	v_cndmask_b32_e64 v30, 0, v30, s[4:5]
	v_add_u32_e32 v4, v4, v30
	s_and_saveexec_b64 s[22:23], s[18:19]
; %bb.21:                               ;   in Loop: Header=BB201_2 Depth=1
	ds_write_b32 v20, v4
; %bb.22:                               ;   in Loop: Header=BB201_2 Depth=1
	s_or_b64 exec, exec, s[22:23]
	s_waitcnt lgkmcnt(0)
	s_barrier
	s_and_saveexec_b64 s[22:23], vcc
	s_cbranch_execz .LBB201_24
; %bb.23:                               ;   in Loop: Header=BB201_2 Depth=1
	ds_read_b32 v30, v21
	s_waitcnt lgkmcnt(0)
	s_nop 0
	v_mov_b32_dpp v31, v30 row_shr:1 row_mask:0xf bank_mask:0xf
	v_cndmask_b32_e64 v31, v31, 0, s[20:21]
	v_add_u32_e32 v30, v31, v30
	ds_write_b32 v21, v30
.LBB201_24:                             ;   in Loop: Header=BB201_2 Depth=1
	s_or_b64 exec, exec, s[22:23]
	v_mov_b32_e32 v30, 0
	s_waitcnt lgkmcnt(0)
	s_barrier
	s_and_saveexec_b64 s[22:23], s[0:1]
; %bb.25:                               ;   in Loop: Header=BB201_2 Depth=1
	ds_read_b32 v30, v22
; %bb.26:                               ;   in Loop: Header=BB201_2 Depth=1
	s_or_b64 exec, exec, s[22:23]
	s_waitcnt lgkmcnt(0)
	v_add_u32_e32 v4, v30, v4
	ds_bpermute_b32 v4, v24, v4
	s_waitcnt lgkmcnt(0)
	v_cndmask_b32_e64 v4, v4, v30, s[6:7]
	v_cndmask_b32_e64 v30, v4, 0, s[2:3]
	v_add_u32_e32 v31, v30, v1
	v_add_u32_e32 v1, v31, v2
	v_add_u32_e32 v2, v1, v3
	ds_write2_b64 v19, v[30:31], v[1:2] offset0:1 offset1:2
	s_waitcnt lgkmcnt(0)
	s_barrier
	ds_read_b32 v1, v29 offset:8
	v_lshlrev_b32_e32 v2, 2, v6
	s_waitcnt lgkmcnt(0)
	s_barrier
	v_lshl_add_u32 v1, v1, 2, v2
	ds_write_b32 v1, v28
	s_waitcnt lgkmcnt(0)
	s_barrier
	ds_read_b32 v28, v23
	s_waitcnt lgkmcnt(0)
	s_barrier
	ds_write_b32 v1, v27
	v_mov_b32_e32 v1, s30
	v_mov_b32_e32 v3, s34
	;; [unrolled: 1-line block ×4, first 2 shown]
	s_waitcnt lgkmcnt(0)
	s_barrier
	ds_read_b32 v27, v23
	s_waitcnt lgkmcnt(0)
	s_barrier
	ds_write2_b64 v19, v[1:2], v[3:4] offset0:1 offset1:2
	v_and_b32_sdwa v1, v28, v12 dst_sel:DWORD dst_unused:UNUSED_PAD src0_sel:BYTE_3 src1_sel:DWORD
	v_add_co_u32_e64 v2, s[22:23], -1, v1
	v_addc_co_u32_e64 v4, s[22:23], 0, -1, s[22:23]
	v_cmp_ne_u32_e64 s[22:23], 0, v1
	v_lshlrev_b32_sdwa v6, v13, v28 dst_sel:DWORD dst_unused:UNUSED_PAD src0_sel:DWORD src1_sel:BYTE_3
	v_xor_b32_e32 v1, s23, v4
	v_xor_b32_e32 v2, s22, v2
	v_cmp_gt_i64_e64 s[22:23], 0, v[5:6]
	v_not_b32_e32 v4, v6
	v_ashrrev_i32_e32 v4, 31, v4
	v_and_b32_e32 v1, exec_hi, v1
	v_xor_b32_e32 v6, s23, v4
	v_and_b32_e32 v2, exec_lo, v2
	v_xor_b32_e32 v4, s22, v4
	v_and_b32_e32 v1, v1, v6
	v_lshlrev_b32_sdwa v6, v14, v28 dst_sel:DWORD dst_unused:UNUSED_PAD src0_sel:DWORD src1_sel:BYTE_3
	v_and_b32_e32 v2, v2, v4
	v_cmp_gt_i64_e64 s[22:23], 0, v[5:6]
	v_not_b32_e32 v4, v6
	v_ashrrev_i32_e32 v4, 31, v4
	v_xor_b32_e32 v6, s23, v4
	v_xor_b32_e32 v4, s22, v4
	v_and_b32_e32 v1, v1, v6
	v_lshlrev_b32_sdwa v6, v15, v28 dst_sel:DWORD dst_unused:UNUSED_PAD src0_sel:DWORD src1_sel:BYTE_3
	v_and_b32_e32 v2, v2, v4
	v_cmp_gt_i64_e64 s[22:23], 0, v[5:6]
	v_not_b32_e32 v4, v6
	v_ashrrev_i32_e32 v4, 31, v4
	v_xor_b32_e32 v6, s23, v4
	;; [unrolled: 8-line block ×6, first 2 shown]
	v_xor_b32_e32 v29, s22, v2
	v_and_b32_e32 v2, v1, v6
	v_and_b32_e32 v1, v4, v29
	v_mbcnt_lo_u32_b32 v4, v1, 0
	v_mbcnt_hi_u32_b32 v6, v2, v4
	v_cmp_ne_u64_e64 s[22:23], 0, v[1:2]
	v_lshlrev_b32_sdwa v3, v11, v28 dst_sel:DWORD dst_unused:UNUSED_PAD src0_sel:DWORD src1_sel:BYTE_3
	v_cmp_eq_u32_e64 s[24:25], 0, v6
	s_and_b64 s[24:25], s[22:23], s[24:25]
	v_add_u32_e32 v29, v25, v3
	s_waitcnt lgkmcnt(0)
	s_barrier
	; wave barrier
	s_and_saveexec_b64 s[22:23], s[24:25]
; %bb.27:                               ;   in Loop: Header=BB201_2 Depth=1
	v_bcnt_u32_b32 v1, v1, 0
	v_bcnt_u32_b32 v1, v2, v1
	ds_write_b32 v29, v1 offset:8
; %bb.28:                               ;   in Loop: Header=BB201_2 Depth=1
	s_or_b64 exec, exec, s[22:23]
	; wave barrier
	s_waitcnt lgkmcnt(0)
	s_barrier
	ds_read2_b64 v[1:4], v19 offset0:1 offset1:2
	s_waitcnt lgkmcnt(0)
	v_add_u32_e32 v30, v2, v1
	v_add3_u32 v4, v30, v3, v4
	s_nop 1
	v_mov_b32_dpp v30, v4 row_shr:1 row_mask:0xf bank_mask:0xf
	v_cndmask_b32_e64 v30, v30, 0, s[8:9]
	v_add_u32_e32 v4, v30, v4
	s_nop 1
	v_mov_b32_dpp v30, v4 row_shr:2 row_mask:0xf bank_mask:0xf
	v_cndmask_b32_e64 v30, 0, v30, s[10:11]
	v_add_u32_e32 v4, v4, v30
	;; [unrolled: 4-line block ×4, first 2 shown]
	s_nop 1
	v_mov_b32_dpp v30, v4 row_bcast:15 row_mask:0xf bank_mask:0xf
	v_cndmask_b32_e64 v30, v30, 0, s[16:17]
	v_add_u32_e32 v4, v4, v30
	s_nop 1
	v_mov_b32_dpp v30, v4 row_bcast:31 row_mask:0xf bank_mask:0xf
	v_cndmask_b32_e64 v30, 0, v30, s[4:5]
	v_add_u32_e32 v4, v4, v30
	s_and_saveexec_b64 s[22:23], s[18:19]
; %bb.29:                               ;   in Loop: Header=BB201_2 Depth=1
	ds_write_b32 v20, v4
; %bb.30:                               ;   in Loop: Header=BB201_2 Depth=1
	s_or_b64 exec, exec, s[22:23]
	s_waitcnt lgkmcnt(0)
	s_barrier
	s_and_saveexec_b64 s[22:23], vcc
	s_cbranch_execz .LBB201_32
; %bb.31:                               ;   in Loop: Header=BB201_2 Depth=1
	ds_read_b32 v30, v21
	s_waitcnt lgkmcnt(0)
	s_nop 0
	v_mov_b32_dpp v31, v30 row_shr:1 row_mask:0xf bank_mask:0xf
	v_cndmask_b32_e64 v31, v31, 0, s[20:21]
	v_add_u32_e32 v30, v31, v30
	ds_write_b32 v21, v30
.LBB201_32:                             ;   in Loop: Header=BB201_2 Depth=1
	s_or_b64 exec, exec, s[22:23]
	v_mov_b32_e32 v30, 0
	s_waitcnt lgkmcnt(0)
	s_barrier
	s_and_saveexec_b64 s[22:23], s[0:1]
	s_cbranch_execz .LBB201_1
; %bb.33:                               ;   in Loop: Header=BB201_2 Depth=1
	ds_read_b32 v30, v22
	s_branch .LBB201_1
.LBB201_34:
	s_brev_b32 s0, 1
	s_waitcnt lgkmcnt(0)
	v_add3_u32 v1, v27, v28, s0
	s_add_u32 s0, s26, s28
	s_addc_u32 s1, s27, s29
	v_lshlrev_b32_e32 v0, 2, v0
	global_store_dword v0, v1, s[0:1]
	s_endpgm
	.section	.rodata,"a",@progbits
	.p2align	6, 0x0
	.amdhsa_kernel _Z17sort_pairs_kernelI22helper_blocked_stripediLj128ELj1ELj10EEvPKT0_PS1_
		.amdhsa_group_segment_fixed_size 2064
		.amdhsa_private_segment_fixed_size 0
		.amdhsa_kernarg_size 272
		.amdhsa_user_sgpr_count 6
		.amdhsa_user_sgpr_private_segment_buffer 1
		.amdhsa_user_sgpr_dispatch_ptr 0
		.amdhsa_user_sgpr_queue_ptr 0
		.amdhsa_user_sgpr_kernarg_segment_ptr 1
		.amdhsa_user_sgpr_dispatch_id 0
		.amdhsa_user_sgpr_flat_scratch_init 0
		.amdhsa_user_sgpr_private_segment_size 0
		.amdhsa_uses_dynamic_stack 0
		.amdhsa_system_sgpr_private_segment_wavefront_offset 0
		.amdhsa_system_sgpr_workgroup_id_x 1
		.amdhsa_system_sgpr_workgroup_id_y 0
		.amdhsa_system_sgpr_workgroup_id_z 0
		.amdhsa_system_sgpr_workgroup_info 0
		.amdhsa_system_vgpr_workitem_id 2
		.amdhsa_next_free_vgpr 32
		.amdhsa_next_free_sgpr 61
		.amdhsa_reserve_vcc 1
		.amdhsa_reserve_flat_scratch 0
		.amdhsa_float_round_mode_32 0
		.amdhsa_float_round_mode_16_64 0
		.amdhsa_float_denorm_mode_32 3
		.amdhsa_float_denorm_mode_16_64 3
		.amdhsa_dx10_clamp 1
		.amdhsa_ieee_mode 1
		.amdhsa_fp16_overflow 0
		.amdhsa_exception_fp_ieee_invalid_op 0
		.amdhsa_exception_fp_denorm_src 0
		.amdhsa_exception_fp_ieee_div_zero 0
		.amdhsa_exception_fp_ieee_overflow 0
		.amdhsa_exception_fp_ieee_underflow 0
		.amdhsa_exception_fp_ieee_inexact 0
		.amdhsa_exception_int_div_zero 0
	.end_amdhsa_kernel
	.section	.text._Z17sort_pairs_kernelI22helper_blocked_stripediLj128ELj1ELj10EEvPKT0_PS1_,"axG",@progbits,_Z17sort_pairs_kernelI22helper_blocked_stripediLj128ELj1ELj10EEvPKT0_PS1_,comdat
.Lfunc_end201:
	.size	_Z17sort_pairs_kernelI22helper_blocked_stripediLj128ELj1ELj10EEvPKT0_PS1_, .Lfunc_end201-_Z17sort_pairs_kernelI22helper_blocked_stripediLj128ELj1ELj10EEvPKT0_PS1_
                                        ; -- End function
	.set _Z17sort_pairs_kernelI22helper_blocked_stripediLj128ELj1ELj10EEvPKT0_PS1_.num_vgpr, 32
	.set _Z17sort_pairs_kernelI22helper_blocked_stripediLj128ELj1ELj10EEvPKT0_PS1_.num_agpr, 0
	.set _Z17sort_pairs_kernelI22helper_blocked_stripediLj128ELj1ELj10EEvPKT0_PS1_.numbered_sgpr, 37
	.set _Z17sort_pairs_kernelI22helper_blocked_stripediLj128ELj1ELj10EEvPKT0_PS1_.num_named_barrier, 0
	.set _Z17sort_pairs_kernelI22helper_blocked_stripediLj128ELj1ELj10EEvPKT0_PS1_.private_seg_size, 0
	.set _Z17sort_pairs_kernelI22helper_blocked_stripediLj128ELj1ELj10EEvPKT0_PS1_.uses_vcc, 1
	.set _Z17sort_pairs_kernelI22helper_blocked_stripediLj128ELj1ELj10EEvPKT0_PS1_.uses_flat_scratch, 0
	.set _Z17sort_pairs_kernelI22helper_blocked_stripediLj128ELj1ELj10EEvPKT0_PS1_.has_dyn_sized_stack, 0
	.set _Z17sort_pairs_kernelI22helper_blocked_stripediLj128ELj1ELj10EEvPKT0_PS1_.has_recursion, 0
	.set _Z17sort_pairs_kernelI22helper_blocked_stripediLj128ELj1ELj10EEvPKT0_PS1_.has_indirect_call, 0
	.section	.AMDGPU.csdata,"",@progbits
; Kernel info:
; codeLenInByte = 3876
; TotalNumSgprs: 41
; NumVgprs: 32
; ScratchSize: 0
; MemoryBound: 0
; FloatMode: 240
; IeeeMode: 1
; LDSByteSize: 2064 bytes/workgroup (compile time only)
; SGPRBlocks: 8
; VGPRBlocks: 7
; NumSGPRsForWavesPerEU: 65
; NumVGPRsForWavesPerEU: 32
; Occupancy: 8
; WaveLimiterHint : 0
; COMPUTE_PGM_RSRC2:SCRATCH_EN: 0
; COMPUTE_PGM_RSRC2:USER_SGPR: 6
; COMPUTE_PGM_RSRC2:TRAP_HANDLER: 0
; COMPUTE_PGM_RSRC2:TGID_X_EN: 1
; COMPUTE_PGM_RSRC2:TGID_Y_EN: 0
; COMPUTE_PGM_RSRC2:TGID_Z_EN: 0
; COMPUTE_PGM_RSRC2:TIDIG_COMP_CNT: 2
	.section	.text._Z16sort_keys_kernelI22helper_blocked_stripediLj128ELj3ELj10EEvPKT0_PS1_,"axG",@progbits,_Z16sort_keys_kernelI22helper_blocked_stripediLj128ELj3ELj10EEvPKT0_PS1_,comdat
	.protected	_Z16sort_keys_kernelI22helper_blocked_stripediLj128ELj3ELj10EEvPKT0_PS1_ ; -- Begin function _Z16sort_keys_kernelI22helper_blocked_stripediLj128ELj3ELj10EEvPKT0_PS1_
	.globl	_Z16sort_keys_kernelI22helper_blocked_stripediLj128ELj3ELj10EEvPKT0_PS1_
	.p2align	8
	.type	_Z16sort_keys_kernelI22helper_blocked_stripediLj128ELj3ELj10EEvPKT0_PS1_,@function
_Z16sort_keys_kernelI22helper_blocked_stripediLj128ELj3ELj10EEvPKT0_PS1_: ; @_Z16sort_keys_kernelI22helper_blocked_stripediLj128ELj3ELj10EEvPKT0_PS1_
; %bb.0:
	s_load_dwordx4 s[24:27], s[4:5], 0x0
	s_load_dword s2, s[4:5], 0x1c
	s_mul_i32 s28, s6, 0x180
	s_mov_b32 s29, 0
	s_lshl_b64 s[30:31], s[28:29], 2
	s_waitcnt lgkmcnt(0)
	s_add_u32 s0, s24, s30
	v_mul_u32_u24_e32 v3, 3, v0
	s_addc_u32 s1, s25, s31
	v_lshlrev_b32_e32 v3, 2, v3
	global_load_dwordx3 v[3:5], v3, s[0:1]
	v_mbcnt_lo_u32_b32 v6, -1, 0
	v_mbcnt_hi_u32_b32 v6, -1, v6
	s_lshr_b32 s0, s2, 16
	v_lshrrev_b32_e32 v7, 6, v0
	s_and_b32 s1, s2, 0xffff
	v_mad_u32_u24 v1, v2, s0, v1
	v_and_b32_e32 v2, 15, v6
	v_mul_u32_u24_e32 v8, 0xc0, v7
	v_mad_u32_u24 v1, v1, s1, v0
	v_cmp_eq_u32_e64 s[0:1], 0, v2
	v_cmp_lt_u32_e64 s[2:3], 1, v2
	v_cmp_lt_u32_e64 s[4:5], 3, v2
	;; [unrolled: 1-line block ×3, first 2 shown]
	v_and_b32_e32 v2, 16, v6
	v_lshlrev_b32_e32 v8, 2, v8
	v_lshlrev_b32_e32 v11, 2, v6
	v_cmp_eq_u32_e64 s[8:9], 0, v2
	v_and_b32_e32 v2, 64, v0
	v_mad_u32_u24 v12, v6, 12, v8
	v_add_u32_e32 v13, v11, v8
	v_or_b32_e32 v8, 63, v2
	v_cmp_eq_u32_e64 s[12:13], v0, v8
	v_subrev_co_u32_e64 v8, s[18:19], 1, v6
	v_and_b32_e32 v9, 64, v6
	v_cmp_lt_i32_e32 vcc, v8, v9
	v_cmp_lt_u32_e64 s[10:11], 31, v6
	v_cndmask_b32_e32 v8, v8, v6, vcc
	v_and_b32_e32 v6, 1, v6
	s_mov_b32 s28, s29
	s_mov_b32 s24, s29
	v_lshlrev_b32_e32 v15, 2, v8
	v_lshlrev_b32_e32 v16, 2, v7
	v_cmp_eq_u32_e64 s[22:23], 0, v6
	v_mul_u32_u24_e32 v2, 12, v2
	v_lshrrev_b32_e32 v1, 4, v1
	s_mov_b32 s25, s29
	v_mov_b32_e32 v6, s28
	v_mov_b32_e32 v8, s24
	v_lshlrev_b32_e32 v14, 4, v0
	v_cmp_gt_u32_e64 s[14:15], 2, v0
	v_cmp_lt_u32_e64 s[16:17], 63, v0
	v_cmp_eq_u32_e64 s[20:21], 0, v0
	v_mul_i32_i24_e32 v17, -12, v0
	v_add_u32_e32 v18, -4, v16
	v_and_b32_e32 v19, 0xffffffc, v1
	v_mov_b32_e32 v7, s29
	v_mov_b32_e32 v9, s25
	;; [unrolled: 1-line block ×3, first 2 shown]
	v_add_u32_e32 v20, v11, v2
	v_mov_b32_e32 v21, 3
	s_branch .LBB202_2
.LBB202_1:                              ;   in Loop: Header=BB202_2 Depth=1
	v_lshlrev_b32_e32 v1, 2, v25
	s_barrier
	ds_write_b32 v1, v24
	v_lshlrev_b32_e32 v1, 2, v4
	ds_write_b32 v1, v22
	v_lshlrev_b32_e32 v1, 2, v3
	v_add_u32_e32 v3, v14, v17
	ds_write_b32 v1, v5
	s_waitcnt lgkmcnt(0)
	s_barrier
	ds_read2st64_b32 v[1:2], v3 offset1:2
	ds_read_b32 v5, v3 offset:1024
	s_add_i32 s29, s29, 1
	s_cmp_eq_u32 s29, 10
	s_waitcnt lgkmcnt(1)
	v_xor_b32_e32 v3, 0x80000000, v1
	v_xor_b32_e32 v4, 0x80000000, v2
	s_waitcnt lgkmcnt(0)
	v_xor_b32_e32 v5, 0x80000000, v5
	s_cbranch_scc1 .LBB202_18
.LBB202_2:                              ; =>This Loop Header: Depth=1
                                        ;     Child Loop BB202_4 Depth 2
	s_waitcnt vmcnt(0)
	v_xor_b32_e32 v1, 0x80000000, v3
	v_xor_b32_e32 v2, 0x80000000, v4
	;; [unrolled: 1-line block ×3, first 2 shown]
	ds_write2_b32 v12, v1, v2 offset1:1
	ds_write_b32 v12, v3 offset:8
	; wave barrier
	ds_read2st64_b32 v[1:2], v13 offset1:1
	ds_read_b32 v11, v13 offset:512
	v_mov_b32_e32 v23, v10
	s_waitcnt lgkmcnt(0)
	s_barrier
	; wave barrier
	s_barrier
	s_branch .LBB202_4
.LBB202_3:                              ;   in Loop: Header=BB202_4 Depth=2
	s_andn2_b64 vcc, exec, s[24:25]
	s_cbranch_vccz .LBB202_1
.LBB202_4:                              ;   Parent Loop BB202_2 Depth=1
                                        ; =>  This Inner Loop Header: Depth=2
	v_mov_b32_e32 v24, v1
	v_lshrrev_b32_e32 v1, v23, v24
	v_mov_b32_e32 v22, v2
	v_and_b32_e32 v2, 1, v1
	v_add_co_u32_e32 v4, vcc, -1, v2
	v_mov_b32_e32 v5, v11
	v_addc_co_u32_e64 v11, s[24:25], 0, -1, vcc
	v_cmp_ne_u32_e32 vcc, 0, v2
	v_xor_b32_e32 v2, vcc_hi, v11
	v_lshlrev_b32_e32 v11, 30, v1
	v_xor_b32_e32 v4, vcc_lo, v4
	v_cmp_gt_i64_e32 vcc, 0, v[10:11]
	v_not_b32_e32 v11, v11
	v_ashrrev_i32_e32 v11, 31, v11
	v_and_b32_e32 v4, exec_lo, v4
	v_xor_b32_e32 v25, vcc_hi, v11
	v_xor_b32_e32 v11, vcc_lo, v11
	v_and_b32_e32 v4, v4, v11
	v_lshlrev_b32_e32 v11, 29, v1
	v_cmp_gt_i64_e32 vcc, 0, v[10:11]
	v_not_b32_e32 v11, v11
	v_and_b32_e32 v2, exec_hi, v2
	v_ashrrev_i32_e32 v11, 31, v11
	v_and_b32_e32 v2, v2, v25
	v_xor_b32_e32 v25, vcc_hi, v11
	v_xor_b32_e32 v11, vcc_lo, v11
	v_and_b32_e32 v4, v4, v11
	v_lshlrev_b32_e32 v11, 28, v1
	v_cmp_gt_i64_e32 vcc, 0, v[10:11]
	v_not_b32_e32 v11, v11
	v_ashrrev_i32_e32 v11, 31, v11
	v_and_b32_e32 v2, v2, v25
	v_xor_b32_e32 v25, vcc_hi, v11
	v_xor_b32_e32 v11, vcc_lo, v11
	v_and_b32_e32 v4, v4, v11
	v_lshlrev_b32_e32 v11, 27, v1
	v_cmp_gt_i64_e32 vcc, 0, v[10:11]
	v_not_b32_e32 v11, v11
	;; [unrolled: 8-line block ×4, first 2 shown]
	v_ashrrev_i32_e32 v11, 31, v11
	v_and_b32_e32 v2, v2, v25
	v_xor_b32_e32 v25, vcc_hi, v11
	v_xor_b32_e32 v11, vcc_lo, v11
	v_and_b32_e32 v4, v4, v11
	v_lshlrev_b32_e32 v11, 24, v1
	v_lshlrev_b32_sdwa v3, v21, v1 dst_sel:DWORD dst_unused:UNUSED_PAD src0_sel:DWORD src1_sel:BYTE_0
	v_cmp_gt_i64_e32 vcc, 0, v[10:11]
	v_not_b32_e32 v1, v11
	v_ashrrev_i32_e32 v1, 31, v1
	v_xor_b32_e32 v11, vcc_hi, v1
	v_xor_b32_e32 v1, vcc_lo, v1
	v_and_b32_e32 v2, v2, v25
	v_and_b32_e32 v1, v4, v1
	;; [unrolled: 1-line block ×3, first 2 shown]
	v_mbcnt_lo_u32_b32 v4, v1, 0
	v_mbcnt_hi_u32_b32 v25, v2, v4
	v_cmp_ne_u64_e32 vcc, 0, v[1:2]
	v_cmp_eq_u32_e64 s[24:25], 0, v25
	s_and_b64 s[34:35], vcc, s[24:25]
	v_add_u32_e32 v26, v19, v3
	ds_write2_b64 v14, v[6:7], v[8:9] offset0:1 offset1:2
	s_waitcnt lgkmcnt(0)
	s_barrier
	; wave barrier
	s_and_saveexec_b64 s[24:25], s[34:35]
; %bb.5:                                ;   in Loop: Header=BB202_4 Depth=2
	v_bcnt_u32_b32 v1, v1, 0
	v_bcnt_u32_b32 v1, v2, v1
	ds_write_b32 v26, v1 offset:8
; %bb.6:                                ;   in Loop: Header=BB202_4 Depth=2
	s_or_b64 exec, exec, s[24:25]
	v_lshrrev_b32_e32 v1, v23, v22
	v_lshlrev_b32_sdwa v2, v21, v1 dst_sel:DWORD dst_unused:UNUSED_PAD src0_sel:DWORD src1_sel:BYTE_0
	v_add_u32_e32 v28, v19, v2
	v_and_b32_e32 v2, 1, v1
	v_add_co_u32_e32 v3, vcc, -1, v2
	v_addc_co_u32_e64 v4, s[24:25], 0, -1, vcc
	v_cmp_ne_u32_e32 vcc, 0, v2
	v_lshlrev_b32_e32 v11, 30, v1
	v_xor_b32_e32 v2, vcc_hi, v4
	v_xor_b32_e32 v3, vcc_lo, v3
	v_cmp_gt_i64_e32 vcc, 0, v[10:11]
	v_not_b32_e32 v4, v11
	v_ashrrev_i32_e32 v4, 31, v4
	v_and_b32_e32 v2, exec_hi, v2
	v_xor_b32_e32 v11, vcc_hi, v4
	v_and_b32_e32 v3, exec_lo, v3
	v_xor_b32_e32 v4, vcc_lo, v4
	v_and_b32_e32 v2, v2, v11
	v_lshlrev_b32_e32 v11, 29, v1
	v_and_b32_e32 v3, v3, v4
	v_cmp_gt_i64_e32 vcc, 0, v[10:11]
	v_not_b32_e32 v4, v11
	v_ashrrev_i32_e32 v4, 31, v4
	v_xor_b32_e32 v11, vcc_hi, v4
	v_xor_b32_e32 v4, vcc_lo, v4
	v_and_b32_e32 v2, v2, v11
	v_lshlrev_b32_e32 v11, 28, v1
	v_and_b32_e32 v3, v3, v4
	v_cmp_gt_i64_e32 vcc, 0, v[10:11]
	v_not_b32_e32 v4, v11
	v_ashrrev_i32_e32 v4, 31, v4
	v_xor_b32_e32 v11, vcc_hi, v4
	;; [unrolled: 8-line block ×5, first 2 shown]
	v_and_b32_e32 v2, v2, v11
	v_lshlrev_b32_e32 v11, 24, v1
	v_xor_b32_e32 v4, vcc_lo, v4
	v_cmp_gt_i64_e32 vcc, 0, v[10:11]
	v_not_b32_e32 v1, v11
	v_ashrrev_i32_e32 v1, 31, v1
	v_and_b32_e32 v3, v3, v4
	v_xor_b32_e32 v4, vcc_hi, v1
	v_xor_b32_e32 v1, vcc_lo, v1
	; wave barrier
	ds_read_b32 v27, v28 offset:8
	v_and_b32_e32 v1, v3, v1
	v_and_b32_e32 v2, v2, v4
	v_mbcnt_lo_u32_b32 v3, v1, 0
	v_mbcnt_hi_u32_b32 v29, v2, v3
	v_cmp_ne_u64_e32 vcc, 0, v[1:2]
	v_cmp_eq_u32_e64 s[24:25], 0, v29
	s_and_b64 s[34:35], vcc, s[24:25]
	; wave barrier
	s_and_saveexec_b64 s[24:25], s[34:35]
	s_cbranch_execz .LBB202_8
; %bb.7:                                ;   in Loop: Header=BB202_4 Depth=2
	v_bcnt_u32_b32 v1, v1, 0
	v_bcnt_u32_b32 v1, v2, v1
	s_waitcnt lgkmcnt(0)
	v_add_u32_e32 v1, v27, v1
	ds_write_b32 v28, v1 offset:8
.LBB202_8:                              ;   in Loop: Header=BB202_4 Depth=2
	s_or_b64 exec, exec, s[24:25]
	v_lshrrev_b32_e32 v1, v23, v5
	v_lshlrev_b32_sdwa v2, v21, v1 dst_sel:DWORD dst_unused:UNUSED_PAD src0_sel:DWORD src1_sel:BYTE_0
	v_add_u32_e32 v31, v19, v2
	v_and_b32_e32 v2, 1, v1
	v_add_co_u32_e32 v3, vcc, -1, v2
	v_addc_co_u32_e64 v4, s[24:25], 0, -1, vcc
	v_cmp_ne_u32_e32 vcc, 0, v2
	v_lshlrev_b32_e32 v11, 30, v1
	v_xor_b32_e32 v2, vcc_hi, v4
	v_xor_b32_e32 v3, vcc_lo, v3
	v_cmp_gt_i64_e32 vcc, 0, v[10:11]
	v_not_b32_e32 v4, v11
	v_ashrrev_i32_e32 v4, 31, v4
	v_and_b32_e32 v2, exec_hi, v2
	v_xor_b32_e32 v11, vcc_hi, v4
	v_and_b32_e32 v3, exec_lo, v3
	v_xor_b32_e32 v4, vcc_lo, v4
	v_and_b32_e32 v2, v2, v11
	v_lshlrev_b32_e32 v11, 29, v1
	v_and_b32_e32 v3, v3, v4
	v_cmp_gt_i64_e32 vcc, 0, v[10:11]
	v_not_b32_e32 v4, v11
	v_ashrrev_i32_e32 v4, 31, v4
	v_xor_b32_e32 v11, vcc_hi, v4
	v_xor_b32_e32 v4, vcc_lo, v4
	v_and_b32_e32 v2, v2, v11
	v_lshlrev_b32_e32 v11, 28, v1
	v_and_b32_e32 v3, v3, v4
	v_cmp_gt_i64_e32 vcc, 0, v[10:11]
	v_not_b32_e32 v4, v11
	v_ashrrev_i32_e32 v4, 31, v4
	v_xor_b32_e32 v11, vcc_hi, v4
	;; [unrolled: 8-line block ×5, first 2 shown]
	v_and_b32_e32 v2, v2, v11
	v_lshlrev_b32_e32 v11, 24, v1
	v_xor_b32_e32 v4, vcc_lo, v4
	v_cmp_gt_i64_e32 vcc, 0, v[10:11]
	v_not_b32_e32 v1, v11
	v_ashrrev_i32_e32 v1, 31, v1
	v_and_b32_e32 v3, v3, v4
	v_xor_b32_e32 v4, vcc_hi, v1
	v_xor_b32_e32 v1, vcc_lo, v1
	; wave barrier
	ds_read_b32 v30, v31 offset:8
	v_and_b32_e32 v1, v3, v1
	v_and_b32_e32 v2, v2, v4
	v_mbcnt_lo_u32_b32 v3, v1, 0
	v_mbcnt_hi_u32_b32 v11, v2, v3
	v_cmp_ne_u64_e32 vcc, 0, v[1:2]
	v_cmp_eq_u32_e64 s[24:25], 0, v11
	s_and_b64 s[34:35], vcc, s[24:25]
	; wave barrier
	s_and_saveexec_b64 s[24:25], s[34:35]
	s_cbranch_execz .LBB202_10
; %bb.9:                                ;   in Loop: Header=BB202_4 Depth=2
	v_bcnt_u32_b32 v1, v1, 0
	v_bcnt_u32_b32 v1, v2, v1
	s_waitcnt lgkmcnt(0)
	v_add_u32_e32 v1, v30, v1
	ds_write_b32 v31, v1 offset:8
.LBB202_10:                             ;   in Loop: Header=BB202_4 Depth=2
	s_or_b64 exec, exec, s[24:25]
	; wave barrier
	s_waitcnt lgkmcnt(0)
	s_barrier
	ds_read2_b64 v[1:4], v14 offset0:1 offset1:2
	s_waitcnt lgkmcnt(0)
	v_add_u32_e32 v32, v2, v1
	v_add3_u32 v4, v32, v3, v4
	s_nop 1
	v_mov_b32_dpp v32, v4 row_shr:1 row_mask:0xf bank_mask:0xf
	v_cndmask_b32_e64 v32, v32, 0, s[0:1]
	v_add_u32_e32 v4, v32, v4
	s_nop 1
	v_mov_b32_dpp v32, v4 row_shr:2 row_mask:0xf bank_mask:0xf
	v_cndmask_b32_e64 v32, 0, v32, s[2:3]
	v_add_u32_e32 v4, v4, v32
	;; [unrolled: 4-line block ×4, first 2 shown]
	s_nop 1
	v_mov_b32_dpp v32, v4 row_bcast:15 row_mask:0xf bank_mask:0xf
	v_cndmask_b32_e64 v32, v32, 0, s[8:9]
	v_add_u32_e32 v4, v4, v32
	s_nop 1
	v_mov_b32_dpp v32, v4 row_bcast:31 row_mask:0xf bank_mask:0xf
	v_cndmask_b32_e64 v32, 0, v32, s[10:11]
	v_add_u32_e32 v4, v4, v32
	s_and_saveexec_b64 s[24:25], s[12:13]
; %bb.11:                               ;   in Loop: Header=BB202_4 Depth=2
	ds_write_b32 v16, v4
; %bb.12:                               ;   in Loop: Header=BB202_4 Depth=2
	s_or_b64 exec, exec, s[24:25]
	s_waitcnt lgkmcnt(0)
	s_barrier
	s_and_saveexec_b64 s[24:25], s[14:15]
	s_cbranch_execz .LBB202_14
; %bb.13:                               ;   in Loop: Header=BB202_4 Depth=2
	v_add_u32_e32 v32, v14, v17
	ds_read_b32 v33, v32
	s_waitcnt lgkmcnt(0)
	s_nop 0
	v_mov_b32_dpp v34, v33 row_shr:1 row_mask:0xf bank_mask:0xf
	v_cndmask_b32_e64 v34, v34, 0, s[22:23]
	v_add_u32_e32 v33, v34, v33
	ds_write_b32 v32, v33
.LBB202_14:                             ;   in Loop: Header=BB202_4 Depth=2
	s_or_b64 exec, exec, s[24:25]
	v_mov_b32_e32 v32, 0
	s_waitcnt lgkmcnt(0)
	s_barrier
	s_and_saveexec_b64 s[24:25], s[16:17]
; %bb.15:                               ;   in Loop: Header=BB202_4 Depth=2
	ds_read_b32 v32, v18
; %bb.16:                               ;   in Loop: Header=BB202_4 Depth=2
	s_or_b64 exec, exec, s[24:25]
	s_waitcnt lgkmcnt(0)
	v_add_u32_e32 v4, v32, v4
	ds_bpermute_b32 v4, v15, v4
	v_cmp_lt_u32_e32 vcc, 23, v23
	s_and_b64 vcc, exec, vcc
	s_mov_b64 s[24:25], -1
	s_waitcnt lgkmcnt(0)
	v_cndmask_b32_e64 v4, v4, v32, s[18:19]
	v_cndmask_b32_e64 v32, v4, 0, s[20:21]
	v_add_u32_e32 v33, v32, v1
	v_add_u32_e32 v1, v33, v2
	;; [unrolled: 1-line block ×3, first 2 shown]
	ds_write2_b64 v14, v[32:33], v[1:2] offset0:1 offset1:2
	s_waitcnt lgkmcnt(0)
	s_barrier
	ds_read_b32 v1, v26 offset:8
	ds_read_b32 v2, v28 offset:8
	;; [unrolled: 1-line block ×3, first 2 shown]
	s_waitcnt lgkmcnt(2)
	v_add_u32_e32 v25, v1, v25
	s_waitcnt lgkmcnt(1)
	v_add3_u32 v4, v29, v27, v2
	s_waitcnt lgkmcnt(0)
	v_add3_u32 v3, v11, v30, v3
                                        ; implicit-def: $vgpr11
                                        ; implicit-def: $vgpr2
	s_cbranch_vccnz .LBB202_3
; %bb.17:                               ;   in Loop: Header=BB202_4 Depth=2
	v_lshlrev_b32_e32 v1, 2, v25
	s_barrier
	ds_write_b32 v1, v24
	v_lshlrev_b32_e32 v1, 2, v4
	ds_write_b32 v1, v22
	v_lshlrev_b32_e32 v1, 2, v3
	ds_write_b32 v1, v5
	s_waitcnt lgkmcnt(0)
	s_barrier
	ds_read2st64_b32 v[1:2], v20 offset1:1
	ds_read_b32 v11, v20 offset:512
	v_add_u32_e32 v23, 8, v23
	s_mov_b64 s[24:25], 0
	s_waitcnt lgkmcnt(0)
	s_barrier
	s_branch .LBB202_3
.LBB202_18:
	s_add_u32 s0, s26, s30
	s_addc_u32 s1, s27, s31
	v_lshlrev_b32_e32 v0, 2, v0
	global_store_dword v0, v3, s[0:1]
	global_store_dword v0, v4, s[0:1] offset:512
	global_store_dword v0, v5, s[0:1] offset:1024
	s_endpgm
	.section	.rodata,"a",@progbits
	.p2align	6, 0x0
	.amdhsa_kernel _Z16sort_keys_kernelI22helper_blocked_stripediLj128ELj3ELj10EEvPKT0_PS1_
		.amdhsa_group_segment_fixed_size 2064
		.amdhsa_private_segment_fixed_size 0
		.amdhsa_kernarg_size 272
		.amdhsa_user_sgpr_count 6
		.amdhsa_user_sgpr_private_segment_buffer 1
		.amdhsa_user_sgpr_dispatch_ptr 0
		.amdhsa_user_sgpr_queue_ptr 0
		.amdhsa_user_sgpr_kernarg_segment_ptr 1
		.amdhsa_user_sgpr_dispatch_id 0
		.amdhsa_user_sgpr_flat_scratch_init 0
		.amdhsa_user_sgpr_private_segment_size 0
		.amdhsa_uses_dynamic_stack 0
		.amdhsa_system_sgpr_private_segment_wavefront_offset 0
		.amdhsa_system_sgpr_workgroup_id_x 1
		.amdhsa_system_sgpr_workgroup_id_y 0
		.amdhsa_system_sgpr_workgroup_id_z 0
		.amdhsa_system_sgpr_workgroup_info 0
		.amdhsa_system_vgpr_workitem_id 2
		.amdhsa_next_free_vgpr 35
		.amdhsa_next_free_sgpr 61
		.amdhsa_reserve_vcc 1
		.amdhsa_reserve_flat_scratch 0
		.amdhsa_float_round_mode_32 0
		.amdhsa_float_round_mode_16_64 0
		.amdhsa_float_denorm_mode_32 3
		.amdhsa_float_denorm_mode_16_64 3
		.amdhsa_dx10_clamp 1
		.amdhsa_ieee_mode 1
		.amdhsa_fp16_overflow 0
		.amdhsa_exception_fp_ieee_invalid_op 0
		.amdhsa_exception_fp_denorm_src 0
		.amdhsa_exception_fp_ieee_div_zero 0
		.amdhsa_exception_fp_ieee_overflow 0
		.amdhsa_exception_fp_ieee_underflow 0
		.amdhsa_exception_fp_ieee_inexact 0
		.amdhsa_exception_int_div_zero 0
	.end_amdhsa_kernel
	.section	.text._Z16sort_keys_kernelI22helper_blocked_stripediLj128ELj3ELj10EEvPKT0_PS1_,"axG",@progbits,_Z16sort_keys_kernelI22helper_blocked_stripediLj128ELj3ELj10EEvPKT0_PS1_,comdat
.Lfunc_end202:
	.size	_Z16sort_keys_kernelI22helper_blocked_stripediLj128ELj3ELj10EEvPKT0_PS1_, .Lfunc_end202-_Z16sort_keys_kernelI22helper_blocked_stripediLj128ELj3ELj10EEvPKT0_PS1_
                                        ; -- End function
	.set _Z16sort_keys_kernelI22helper_blocked_stripediLj128ELj3ELj10EEvPKT0_PS1_.num_vgpr, 35
	.set _Z16sort_keys_kernelI22helper_blocked_stripediLj128ELj3ELj10EEvPKT0_PS1_.num_agpr, 0
	.set _Z16sort_keys_kernelI22helper_blocked_stripediLj128ELj3ELj10EEvPKT0_PS1_.numbered_sgpr, 36
	.set _Z16sort_keys_kernelI22helper_blocked_stripediLj128ELj3ELj10EEvPKT0_PS1_.num_named_barrier, 0
	.set _Z16sort_keys_kernelI22helper_blocked_stripediLj128ELj3ELj10EEvPKT0_PS1_.private_seg_size, 0
	.set _Z16sort_keys_kernelI22helper_blocked_stripediLj128ELj3ELj10EEvPKT0_PS1_.uses_vcc, 1
	.set _Z16sort_keys_kernelI22helper_blocked_stripediLj128ELj3ELj10EEvPKT0_PS1_.uses_flat_scratch, 0
	.set _Z16sort_keys_kernelI22helper_blocked_stripediLj128ELj3ELj10EEvPKT0_PS1_.has_dyn_sized_stack, 0
	.set _Z16sort_keys_kernelI22helper_blocked_stripediLj128ELj3ELj10EEvPKT0_PS1_.has_recursion, 0
	.set _Z16sort_keys_kernelI22helper_blocked_stripediLj128ELj3ELj10EEvPKT0_PS1_.has_indirect_call, 0
	.section	.AMDGPU.csdata,"",@progbits
; Kernel info:
; codeLenInByte = 2180
; TotalNumSgprs: 40
; NumVgprs: 35
; ScratchSize: 0
; MemoryBound: 0
; FloatMode: 240
; IeeeMode: 1
; LDSByteSize: 2064 bytes/workgroup (compile time only)
; SGPRBlocks: 8
; VGPRBlocks: 8
; NumSGPRsForWavesPerEU: 65
; NumVGPRsForWavesPerEU: 35
; Occupancy: 7
; WaveLimiterHint : 1
; COMPUTE_PGM_RSRC2:SCRATCH_EN: 0
; COMPUTE_PGM_RSRC2:USER_SGPR: 6
; COMPUTE_PGM_RSRC2:TRAP_HANDLER: 0
; COMPUTE_PGM_RSRC2:TGID_X_EN: 1
; COMPUTE_PGM_RSRC2:TGID_Y_EN: 0
; COMPUTE_PGM_RSRC2:TGID_Z_EN: 0
; COMPUTE_PGM_RSRC2:TIDIG_COMP_CNT: 2
	.section	.text._Z17sort_pairs_kernelI22helper_blocked_stripediLj128ELj3ELj10EEvPKT0_PS1_,"axG",@progbits,_Z17sort_pairs_kernelI22helper_blocked_stripediLj128ELj3ELj10EEvPKT0_PS1_,comdat
	.protected	_Z17sort_pairs_kernelI22helper_blocked_stripediLj128ELj3ELj10EEvPKT0_PS1_ ; -- Begin function _Z17sort_pairs_kernelI22helper_blocked_stripediLj128ELj3ELj10EEvPKT0_PS1_
	.globl	_Z17sort_pairs_kernelI22helper_blocked_stripediLj128ELj3ELj10EEvPKT0_PS1_
	.p2align	8
	.type	_Z17sort_pairs_kernelI22helper_blocked_stripediLj128ELj3ELj10EEvPKT0_PS1_,@function
_Z17sort_pairs_kernelI22helper_blocked_stripediLj128ELj3ELj10EEvPKT0_PS1_: ; @_Z17sort_pairs_kernelI22helper_blocked_stripediLj128ELj3ELj10EEvPKT0_PS1_
; %bb.0:
	s_load_dwordx4 s[24:27], s[4:5], 0x0
	s_load_dword s33, s[4:5], 0x1c
	s_mul_i32 s30, s6, 0x180
	s_mov_b32 s31, 0
	s_lshl_b64 s[28:29], s[30:31], 2
	s_waitcnt lgkmcnt(0)
	s_add_u32 s0, s24, s28
	v_mul_u32_u24_e32 v3, 3, v0
	s_addc_u32 s1, s25, s29
	v_lshlrev_b32_e32 v3, 2, v3
	global_load_dwordx3 v[3:5], v3, s[0:1]
	v_mbcnt_lo_u32_b32 v7, -1, 0
	v_mbcnt_hi_u32_b32 v7, -1, v7
	s_lshr_b32 s24, s33, 16
	v_lshrrev_b32_e32 v8, 6, v0
	v_and_b32_e32 v9, 64, v0
	v_subrev_co_u32_e64 v18, s[8:9], 1, v7
	v_and_b32_e32 v19, 64, v7
	s_and_b32 s25, s33, 0xffff
	v_mad_u32_u24 v1, v2, s24, v1
	v_mul_u32_u24_e32 v10, 0xc0, v8
	v_lshlrev_b32_e32 v11, 2, v7
	v_and_b32_e32 v15, 15, v7
	v_or_b32_e32 v17, 63, v9
	v_lshlrev_b32_e32 v14, 2, v8
	v_and_b32_e32 v8, 1, v7
	v_mul_u32_u24_e32 v9, 12, v9
	s_mov_b32 s30, s31
	v_cmp_lt_i32_e32 vcc, v18, v19
	v_mad_u32_u24 v1, v1, s25, v0
	v_and_b32_e32 v16, 16, v7
	v_lshlrev_b32_e32 v10, 2, v10
	v_cmp_eq_u32_e64 s[10:11], 0, v15
	v_cmp_lt_u32_e64 s[12:13], 1, v15
	v_cmp_lt_u32_e64 s[14:15], 3, v15
	;; [unrolled: 1-line block ×3, first 2 shown]
	v_cndmask_b32_e32 v18, v18, v7, vcc
	v_cmp_eq_u32_e64 s[22:23], 0, v8
	v_add_u32_e32 v15, v11, v9
	v_mov_b32_e32 v8, s30
	v_lshrrev_b32_e32 v1, 4, v1
	v_mov_b32_e32 v6, 0
	v_lshlrev_b32_e32 v12, 4, v0
	v_cmp_gt_u32_e64 s[0:1], 2, v0
	v_cmp_lt_u32_e64 s[2:3], 63, v0
	v_cmp_eq_u32_e64 s[4:5], 0, v0
	v_mul_i32_i24_e32 v13, -12, v0
	s_mov_b32 s34, s31
	s_mov_b32 s35, s31
	v_cmp_lt_u32_e64 s[6:7], 31, v7
	v_cmp_eq_u32_e64 s[18:19], 0, v16
	v_cmp_eq_u32_e64 s[20:21], v0, v17
	v_mov_b32_e32 v9, s31
	v_mad_u32_u24 v16, v7, 12, v10
	v_add_u32_e32 v17, v11, v10
	v_lshlrev_b32_e32 v18, 2, v18
	v_and_b32_e32 v19, 0xffffffc, v1
	v_mov_b32_e32 v20, 3
	s_waitcnt vmcnt(0)
	v_add_u32_e32 v10, 1, v3
	v_add_u32_e32 v11, 1, v4
	v_add_u32_e32 v7, 1, v5
	s_branch .LBB203_2
.LBB203_1:                              ;   in Loop: Header=BB203_2 Depth=1
	v_lshlrev_b32_e32 v3, 2, v26
	v_lshlrev_b32_e32 v4, 2, v25
	;; [unrolled: 1-line block ×3, first 2 shown]
	s_barrier
	ds_write_b32 v3, v24
	ds_write_b32 v4, v23
	;; [unrolled: 1-line block ×3, first 2 shown]
	v_add_u32_e32 v21, v12, v13
	s_waitcnt lgkmcnt(0)
	s_barrier
	ds_read2st64_b32 v[1:2], v21 offset1:2
	ds_read_b32 v22, v21 offset:1024
	s_waitcnt lgkmcnt(0)
	s_barrier
	ds_write_b32 v3, v11
	ds_write_b32 v4, v10
	;; [unrolled: 1-line block ×3, first 2 shown]
	s_waitcnt lgkmcnt(0)
	s_barrier
	ds_read2st64_b32 v[10:11], v21 offset1:2
	ds_read_b32 v7, v21 offset:1024
	s_add_i32 s31, s31, 1
	v_xor_b32_e32 v3, 0x80000000, v1
	v_xor_b32_e32 v4, 0x80000000, v2
	s_cmp_eq_u32 s31, 10
	v_xor_b32_e32 v5, 0x80000000, v22
	s_cbranch_scc1 .LBB203_18
.LBB203_2:                              ; =>This Loop Header: Depth=1
                                        ;     Child Loop BB203_4 Depth 2
	v_xor_b32_e32 v1, 0x80000000, v3
	v_xor_b32_e32 v2, 0x80000000, v4
	;; [unrolled: 1-line block ×3, first 2 shown]
	ds_write2_b32 v16, v1, v2 offset1:1
	ds_write_b32 v16, v3 offset:8
	; wave barrier
	ds_read2st64_b32 v[1:2], v17 offset1:1
	ds_read_b32 v27, v17 offset:512
	; wave barrier
	s_waitcnt lgkmcnt(5)
	ds_write2_b32 v16, v10, v11 offset1:1
	s_waitcnt lgkmcnt(5)
	ds_write_b32 v16, v7 offset:8
	; wave barrier
	ds_read2st64_b32 v[3:4], v17 offset1:1
	ds_read_b32 v28, v17 offset:512
	v_mov_b32_e32 v22, v6
	s_waitcnt lgkmcnt(0)
	s_barrier
	s_branch .LBB203_4
.LBB203_3:                              ;   in Loop: Header=BB203_4 Depth=2
	s_andn2_b64 vcc, exec, s[24:25]
	s_cbranch_vccz .LBB203_1
.LBB203_4:                              ;   Parent Loop BB203_2 Depth=1
                                        ; =>  This Inner Loop Header: Depth=2
	v_mov_b32_e32 v23, v2
	v_mov_b32_e32 v24, v1
	;; [unrolled: 1-line block ×4, first 2 shown]
	ds_write2_b64 v12, v[8:9], v[1:2] offset0:1 offset1:2
	v_lshrrev_b32_e32 v1, v22, v24
	v_and_b32_e32 v2, 1, v1
	v_mov_b32_e32 v10, v4
	v_add_co_u32_e32 v4, vcc, -1, v2
	v_addc_co_u32_e64 v7, s[24:25], 0, -1, vcc
	v_cmp_ne_u32_e32 vcc, 0, v2
	v_xor_b32_e32 v2, vcc_hi, v7
	v_lshlrev_b32_e32 v7, 30, v1
	v_xor_b32_e32 v4, vcc_lo, v4
	v_cmp_gt_i64_e32 vcc, 0, v[6:7]
	v_not_b32_e32 v7, v7
	v_ashrrev_i32_e32 v7, 31, v7
	v_and_b32_e32 v4, exec_lo, v4
	v_xor_b32_e32 v25, vcc_hi, v7
	v_xor_b32_e32 v7, vcc_lo, v7
	v_and_b32_e32 v4, v4, v7
	v_lshlrev_b32_e32 v7, 29, v1
	v_cmp_gt_i64_e32 vcc, 0, v[6:7]
	v_not_b32_e32 v7, v7
	v_and_b32_e32 v2, exec_hi, v2
	v_ashrrev_i32_e32 v7, 31, v7
	v_and_b32_e32 v2, v2, v25
	v_xor_b32_e32 v25, vcc_hi, v7
	v_xor_b32_e32 v7, vcc_lo, v7
	v_and_b32_e32 v4, v4, v7
	v_lshlrev_b32_e32 v7, 28, v1
	v_cmp_gt_i64_e32 vcc, 0, v[6:7]
	v_not_b32_e32 v7, v7
	v_ashrrev_i32_e32 v7, 31, v7
	v_and_b32_e32 v2, v2, v25
	v_xor_b32_e32 v25, vcc_hi, v7
	v_xor_b32_e32 v7, vcc_lo, v7
	v_and_b32_e32 v4, v4, v7
	v_lshlrev_b32_e32 v7, 27, v1
	v_cmp_gt_i64_e32 vcc, 0, v[6:7]
	v_not_b32_e32 v7, v7
	;; [unrolled: 8-line block ×4, first 2 shown]
	v_ashrrev_i32_e32 v7, 31, v7
	v_and_b32_e32 v2, v2, v25
	v_xor_b32_e32 v25, vcc_hi, v7
	v_xor_b32_e32 v7, vcc_lo, v7
	v_and_b32_e32 v4, v4, v7
	v_lshlrev_b32_e32 v7, 24, v1
	v_mov_b32_e32 v11, v3
	v_lshlrev_b32_sdwa v3, v20, v1 dst_sel:DWORD dst_unused:UNUSED_PAD src0_sel:DWORD src1_sel:BYTE_0
	v_cmp_gt_i64_e32 vcc, 0, v[6:7]
	v_not_b32_e32 v1, v7
	v_ashrrev_i32_e32 v1, 31, v1
	v_xor_b32_e32 v7, vcc_hi, v1
	v_xor_b32_e32 v1, vcc_lo, v1
	v_and_b32_e32 v2, v2, v25
	v_and_b32_e32 v1, v4, v1
	v_and_b32_e32 v2, v2, v7
	v_mbcnt_lo_u32_b32 v4, v1, 0
	v_mbcnt_hi_u32_b32 v25, v2, v4
	v_cmp_ne_u64_e32 vcc, 0, v[1:2]
	v_cmp_eq_u32_e64 s[24:25], 0, v25
	v_mov_b32_e32 v21, v27
	v_mov_b32_e32 v5, v28
	s_and_b64 s[36:37], vcc, s[24:25]
	v_add_u32_e32 v26, v19, v3
	s_waitcnt lgkmcnt(0)
	s_barrier
	; wave barrier
	s_and_saveexec_b64 s[24:25], s[36:37]
; %bb.5:                                ;   in Loop: Header=BB203_4 Depth=2
	v_bcnt_u32_b32 v1, v1, 0
	v_bcnt_u32_b32 v1, v2, v1
	ds_write_b32 v26, v1 offset:8
; %bb.6:                                ;   in Loop: Header=BB203_4 Depth=2
	s_or_b64 exec, exec, s[24:25]
	v_lshrrev_b32_e32 v1, v22, v23
	v_lshlrev_b32_sdwa v2, v20, v1 dst_sel:DWORD dst_unused:UNUSED_PAD src0_sel:DWORD src1_sel:BYTE_0
	v_add_u32_e32 v28, v19, v2
	v_and_b32_e32 v2, 1, v1
	v_add_co_u32_e32 v3, vcc, -1, v2
	v_addc_co_u32_e64 v4, s[24:25], 0, -1, vcc
	v_cmp_ne_u32_e32 vcc, 0, v2
	v_lshlrev_b32_e32 v7, 30, v1
	v_xor_b32_e32 v2, vcc_hi, v4
	v_xor_b32_e32 v3, vcc_lo, v3
	v_cmp_gt_i64_e32 vcc, 0, v[6:7]
	v_not_b32_e32 v4, v7
	v_ashrrev_i32_e32 v4, 31, v4
	v_and_b32_e32 v2, exec_hi, v2
	v_xor_b32_e32 v7, vcc_hi, v4
	v_and_b32_e32 v3, exec_lo, v3
	v_xor_b32_e32 v4, vcc_lo, v4
	v_and_b32_e32 v2, v2, v7
	v_lshlrev_b32_e32 v7, 29, v1
	v_and_b32_e32 v3, v3, v4
	v_cmp_gt_i64_e32 vcc, 0, v[6:7]
	v_not_b32_e32 v4, v7
	v_ashrrev_i32_e32 v4, 31, v4
	v_xor_b32_e32 v7, vcc_hi, v4
	v_xor_b32_e32 v4, vcc_lo, v4
	v_and_b32_e32 v2, v2, v7
	v_lshlrev_b32_e32 v7, 28, v1
	v_and_b32_e32 v3, v3, v4
	v_cmp_gt_i64_e32 vcc, 0, v[6:7]
	v_not_b32_e32 v4, v7
	v_ashrrev_i32_e32 v4, 31, v4
	v_xor_b32_e32 v7, vcc_hi, v4
	;; [unrolled: 8-line block ×5, first 2 shown]
	v_and_b32_e32 v2, v2, v7
	v_lshlrev_b32_e32 v7, 24, v1
	v_xor_b32_e32 v4, vcc_lo, v4
	v_cmp_gt_i64_e32 vcc, 0, v[6:7]
	v_not_b32_e32 v1, v7
	v_ashrrev_i32_e32 v1, 31, v1
	v_and_b32_e32 v3, v3, v4
	v_xor_b32_e32 v4, vcc_hi, v1
	v_xor_b32_e32 v1, vcc_lo, v1
	; wave barrier
	ds_read_b32 v27, v28 offset:8
	v_and_b32_e32 v1, v3, v1
	v_and_b32_e32 v2, v2, v4
	v_mbcnt_lo_u32_b32 v3, v1, 0
	v_mbcnt_hi_u32_b32 v29, v2, v3
	v_cmp_ne_u64_e32 vcc, 0, v[1:2]
	v_cmp_eq_u32_e64 s[24:25], 0, v29
	s_and_b64 s[36:37], vcc, s[24:25]
	; wave barrier
	s_and_saveexec_b64 s[24:25], s[36:37]
	s_cbranch_execz .LBB203_8
; %bb.7:                                ;   in Loop: Header=BB203_4 Depth=2
	v_bcnt_u32_b32 v1, v1, 0
	v_bcnt_u32_b32 v1, v2, v1
	s_waitcnt lgkmcnt(0)
	v_add_u32_e32 v1, v27, v1
	ds_write_b32 v28, v1 offset:8
.LBB203_8:                              ;   in Loop: Header=BB203_4 Depth=2
	s_or_b64 exec, exec, s[24:25]
	v_lshrrev_b32_e32 v1, v22, v21
	v_lshlrev_b32_sdwa v2, v20, v1 dst_sel:DWORD dst_unused:UNUSED_PAD src0_sel:DWORD src1_sel:BYTE_0
	v_add_u32_e32 v31, v19, v2
	v_and_b32_e32 v2, 1, v1
	v_add_co_u32_e32 v3, vcc, -1, v2
	v_addc_co_u32_e64 v4, s[24:25], 0, -1, vcc
	v_cmp_ne_u32_e32 vcc, 0, v2
	v_lshlrev_b32_e32 v7, 30, v1
	v_xor_b32_e32 v2, vcc_hi, v4
	v_xor_b32_e32 v3, vcc_lo, v3
	v_cmp_gt_i64_e32 vcc, 0, v[6:7]
	v_not_b32_e32 v4, v7
	v_ashrrev_i32_e32 v4, 31, v4
	v_and_b32_e32 v2, exec_hi, v2
	v_xor_b32_e32 v7, vcc_hi, v4
	v_and_b32_e32 v3, exec_lo, v3
	v_xor_b32_e32 v4, vcc_lo, v4
	v_and_b32_e32 v2, v2, v7
	v_lshlrev_b32_e32 v7, 29, v1
	v_and_b32_e32 v3, v3, v4
	v_cmp_gt_i64_e32 vcc, 0, v[6:7]
	v_not_b32_e32 v4, v7
	v_ashrrev_i32_e32 v4, 31, v4
	v_xor_b32_e32 v7, vcc_hi, v4
	v_xor_b32_e32 v4, vcc_lo, v4
	v_and_b32_e32 v2, v2, v7
	v_lshlrev_b32_e32 v7, 28, v1
	v_and_b32_e32 v3, v3, v4
	v_cmp_gt_i64_e32 vcc, 0, v[6:7]
	v_not_b32_e32 v4, v7
	v_ashrrev_i32_e32 v4, 31, v4
	v_xor_b32_e32 v7, vcc_hi, v4
	v_xor_b32_e32 v4, vcc_lo, v4
	v_and_b32_e32 v2, v2, v7
	v_lshlrev_b32_e32 v7, 27, v1
	v_and_b32_e32 v3, v3, v4
	v_cmp_gt_i64_e32 vcc, 0, v[6:7]
	v_not_b32_e32 v4, v7
	v_ashrrev_i32_e32 v4, 31, v4
	v_xor_b32_e32 v7, vcc_hi, v4
	v_xor_b32_e32 v4, vcc_lo, v4
	v_and_b32_e32 v2, v2, v7
	v_lshlrev_b32_e32 v7, 26, v1
	v_and_b32_e32 v3, v3, v4
	v_cmp_gt_i64_e32 vcc, 0, v[6:7]
	v_not_b32_e32 v4, v7
	v_ashrrev_i32_e32 v4, 31, v4
	v_xor_b32_e32 v7, vcc_hi, v4
	v_xor_b32_e32 v4, vcc_lo, v4
	v_and_b32_e32 v2, v2, v7
	v_lshlrev_b32_e32 v7, 25, v1
	v_and_b32_e32 v3, v3, v4
	v_cmp_gt_i64_e32 vcc, 0, v[6:7]
	v_not_b32_e32 v4, v7
	v_ashrrev_i32_e32 v4, 31, v4
	v_xor_b32_e32 v7, vcc_hi, v4
	v_and_b32_e32 v2, v2, v7
	v_lshlrev_b32_e32 v7, 24, v1
	v_xor_b32_e32 v4, vcc_lo, v4
	v_cmp_gt_i64_e32 vcc, 0, v[6:7]
	v_not_b32_e32 v1, v7
	v_ashrrev_i32_e32 v1, 31, v1
	v_and_b32_e32 v3, v3, v4
	v_xor_b32_e32 v4, vcc_hi, v1
	v_xor_b32_e32 v1, vcc_lo, v1
	; wave barrier
	ds_read_b32 v30, v31 offset:8
	v_and_b32_e32 v1, v3, v1
	v_and_b32_e32 v2, v2, v4
	v_mbcnt_lo_u32_b32 v3, v1, 0
	v_mbcnt_hi_u32_b32 v7, v2, v3
	v_cmp_ne_u64_e32 vcc, 0, v[1:2]
	v_cmp_eq_u32_e64 s[24:25], 0, v7
	s_and_b64 s[36:37], vcc, s[24:25]
	; wave barrier
	s_and_saveexec_b64 s[24:25], s[36:37]
	s_cbranch_execz .LBB203_10
; %bb.9:                                ;   in Loop: Header=BB203_4 Depth=2
	v_bcnt_u32_b32 v1, v1, 0
	v_bcnt_u32_b32 v1, v2, v1
	s_waitcnt lgkmcnt(0)
	v_add_u32_e32 v1, v30, v1
	ds_write_b32 v31, v1 offset:8
.LBB203_10:                             ;   in Loop: Header=BB203_4 Depth=2
	s_or_b64 exec, exec, s[24:25]
	; wave barrier
	s_waitcnt lgkmcnt(0)
	s_barrier
	ds_read2_b64 v[1:4], v12 offset0:1 offset1:2
	s_waitcnt lgkmcnt(0)
	v_add_u32_e32 v32, v2, v1
	v_add3_u32 v4, v32, v3, v4
	s_nop 1
	v_mov_b32_dpp v32, v4 row_shr:1 row_mask:0xf bank_mask:0xf
	v_cndmask_b32_e64 v32, v32, 0, s[10:11]
	v_add_u32_e32 v4, v32, v4
	s_nop 1
	v_mov_b32_dpp v32, v4 row_shr:2 row_mask:0xf bank_mask:0xf
	v_cndmask_b32_e64 v32, 0, v32, s[12:13]
	v_add_u32_e32 v4, v4, v32
	;; [unrolled: 4-line block ×4, first 2 shown]
	s_nop 1
	v_mov_b32_dpp v32, v4 row_bcast:15 row_mask:0xf bank_mask:0xf
	v_cndmask_b32_e64 v32, v32, 0, s[18:19]
	v_add_u32_e32 v4, v4, v32
	s_nop 1
	v_mov_b32_dpp v32, v4 row_bcast:31 row_mask:0xf bank_mask:0xf
	v_cndmask_b32_e64 v32, 0, v32, s[6:7]
	v_add_u32_e32 v4, v4, v32
	s_and_saveexec_b64 s[24:25], s[20:21]
; %bb.11:                               ;   in Loop: Header=BB203_4 Depth=2
	ds_write_b32 v14, v4
; %bb.12:                               ;   in Loop: Header=BB203_4 Depth=2
	s_or_b64 exec, exec, s[24:25]
	s_waitcnt lgkmcnt(0)
	s_barrier
	s_and_saveexec_b64 s[24:25], s[0:1]
	s_cbranch_execz .LBB203_14
; %bb.13:                               ;   in Loop: Header=BB203_4 Depth=2
	v_add_u32_e32 v32, v12, v13
	ds_read_b32 v33, v32
	s_waitcnt lgkmcnt(0)
	s_nop 0
	v_mov_b32_dpp v34, v33 row_shr:1 row_mask:0xf bank_mask:0xf
	v_cndmask_b32_e64 v34, v34, 0, s[22:23]
	v_add_u32_e32 v33, v34, v33
	ds_write_b32 v32, v33
.LBB203_14:                             ;   in Loop: Header=BB203_4 Depth=2
	s_or_b64 exec, exec, s[24:25]
	v_mov_b32_e32 v32, 0
	s_waitcnt lgkmcnt(0)
	s_barrier
	s_and_saveexec_b64 s[24:25], s[2:3]
; %bb.15:                               ;   in Loop: Header=BB203_4 Depth=2
	v_add_u32_e32 v32, -4, v14
	ds_read_b32 v32, v32
; %bb.16:                               ;   in Loop: Header=BB203_4 Depth=2
	s_or_b64 exec, exec, s[24:25]
	s_waitcnt lgkmcnt(0)
	v_add_u32_e32 v4, v32, v4
	ds_bpermute_b32 v4, v18, v4
	v_cmp_lt_u32_e32 vcc, 23, v22
	s_and_b64 vcc, exec, vcc
	s_mov_b64 s[24:25], -1
	s_waitcnt lgkmcnt(0)
	v_cndmask_b32_e64 v4, v4, v32, s[8:9]
	v_cndmask_b32_e64 v32, v4, 0, s[4:5]
	v_add_u32_e32 v33, v32, v1
	v_add_u32_e32 v1, v33, v2
	;; [unrolled: 1-line block ×3, first 2 shown]
	ds_write2_b64 v12, v[32:33], v[1:2] offset0:1 offset1:2
	s_waitcnt lgkmcnt(0)
	s_barrier
	ds_read_b32 v1, v26 offset:8
	ds_read_b32 v2, v28 offset:8
	;; [unrolled: 1-line block ×3, first 2 shown]
                                        ; implicit-def: $vgpr28
	s_waitcnt lgkmcnt(2)
	v_add_u32_e32 v26, v1, v25
	s_waitcnt lgkmcnt(1)
	v_add3_u32 v25, v29, v27, v2
	s_waitcnt lgkmcnt(0)
	v_add3_u32 v7, v7, v30, v3
                                        ; implicit-def: $vgpr27
                                        ; implicit-def: $vgpr2
                                        ; implicit-def: $vgpr4
	s_cbranch_vccnz .LBB203_3
; %bb.17:                               ;   in Loop: Header=BB203_4 Depth=2
	v_lshlrev_b32_e32 v3, 2, v26
	v_lshlrev_b32_e32 v4, 2, v25
	;; [unrolled: 1-line block ×3, first 2 shown]
	s_barrier
	ds_write_b32 v3, v24
	ds_write_b32 v4, v23
	;; [unrolled: 1-line block ×3, first 2 shown]
	s_waitcnt lgkmcnt(0)
	s_barrier
	ds_read2st64_b32 v[1:2], v15 offset1:1
	ds_read_b32 v27, v15 offset:512
	s_waitcnt lgkmcnt(0)
	s_barrier
	ds_write_b32 v3, v11
	ds_write_b32 v4, v10
	ds_write_b32 v28, v5
	s_waitcnt lgkmcnt(0)
	s_barrier
	ds_read2st64_b32 v[3:4], v15 offset1:1
	ds_read_b32 v28, v15 offset:512
	v_add_u32_e32 v22, 8, v22
	s_mov_b64 s[24:25], 0
	s_waitcnt lgkmcnt(0)
	s_barrier
	s_branch .LBB203_3
.LBB203_18:
	s_add_u32 s0, s26, s28
	s_waitcnt lgkmcnt(1)
	v_add_u32_e32 v1, v3, v10
	s_addc_u32 s1, s27, s29
	v_lshlrev_b32_e32 v0, 2, v0
	v_add_u32_e32 v2, v4, v11
	s_waitcnt lgkmcnt(0)
	v_add_u32_e32 v3, v5, v7
	global_store_dword v0, v1, s[0:1]
	global_store_dword v0, v2, s[0:1] offset:512
	global_store_dword v0, v3, s[0:1] offset:1024
	s_endpgm
	.section	.rodata,"a",@progbits
	.p2align	6, 0x0
	.amdhsa_kernel _Z17sort_pairs_kernelI22helper_blocked_stripediLj128ELj3ELj10EEvPKT0_PS1_
		.amdhsa_group_segment_fixed_size 2064
		.amdhsa_private_segment_fixed_size 0
		.amdhsa_kernarg_size 272
		.amdhsa_user_sgpr_count 6
		.amdhsa_user_sgpr_private_segment_buffer 1
		.amdhsa_user_sgpr_dispatch_ptr 0
		.amdhsa_user_sgpr_queue_ptr 0
		.amdhsa_user_sgpr_kernarg_segment_ptr 1
		.amdhsa_user_sgpr_dispatch_id 0
		.amdhsa_user_sgpr_flat_scratch_init 0
		.amdhsa_user_sgpr_private_segment_size 0
		.amdhsa_uses_dynamic_stack 0
		.amdhsa_system_sgpr_private_segment_wavefront_offset 0
		.amdhsa_system_sgpr_workgroup_id_x 1
		.amdhsa_system_sgpr_workgroup_id_y 0
		.amdhsa_system_sgpr_workgroup_id_z 0
		.amdhsa_system_sgpr_workgroup_info 0
		.amdhsa_system_vgpr_workitem_id 2
		.amdhsa_next_free_vgpr 35
		.amdhsa_next_free_sgpr 61
		.amdhsa_reserve_vcc 1
		.amdhsa_reserve_flat_scratch 0
		.amdhsa_float_round_mode_32 0
		.amdhsa_float_round_mode_16_64 0
		.amdhsa_float_denorm_mode_32 3
		.amdhsa_float_denorm_mode_16_64 3
		.amdhsa_dx10_clamp 1
		.amdhsa_ieee_mode 1
		.amdhsa_fp16_overflow 0
		.amdhsa_exception_fp_ieee_invalid_op 0
		.amdhsa_exception_fp_denorm_src 0
		.amdhsa_exception_fp_ieee_div_zero 0
		.amdhsa_exception_fp_ieee_overflow 0
		.amdhsa_exception_fp_ieee_underflow 0
		.amdhsa_exception_fp_ieee_inexact 0
		.amdhsa_exception_int_div_zero 0
	.end_amdhsa_kernel
	.section	.text._Z17sort_pairs_kernelI22helper_blocked_stripediLj128ELj3ELj10EEvPKT0_PS1_,"axG",@progbits,_Z17sort_pairs_kernelI22helper_blocked_stripediLj128ELj3ELj10EEvPKT0_PS1_,comdat
.Lfunc_end203:
	.size	_Z17sort_pairs_kernelI22helper_blocked_stripediLj128ELj3ELj10EEvPKT0_PS1_, .Lfunc_end203-_Z17sort_pairs_kernelI22helper_blocked_stripediLj128ELj3ELj10EEvPKT0_PS1_
                                        ; -- End function
	.set _Z17sort_pairs_kernelI22helper_blocked_stripediLj128ELj3ELj10EEvPKT0_PS1_.num_vgpr, 35
	.set _Z17sort_pairs_kernelI22helper_blocked_stripediLj128ELj3ELj10EEvPKT0_PS1_.num_agpr, 0
	.set _Z17sort_pairs_kernelI22helper_blocked_stripediLj128ELj3ELj10EEvPKT0_PS1_.numbered_sgpr, 38
	.set _Z17sort_pairs_kernelI22helper_blocked_stripediLj128ELj3ELj10EEvPKT0_PS1_.num_named_barrier, 0
	.set _Z17sort_pairs_kernelI22helper_blocked_stripediLj128ELj3ELj10EEvPKT0_PS1_.private_seg_size, 0
	.set _Z17sort_pairs_kernelI22helper_blocked_stripediLj128ELj3ELj10EEvPKT0_PS1_.uses_vcc, 1
	.set _Z17sort_pairs_kernelI22helper_blocked_stripediLj128ELj3ELj10EEvPKT0_PS1_.uses_flat_scratch, 0
	.set _Z17sort_pairs_kernelI22helper_blocked_stripediLj128ELj3ELj10EEvPKT0_PS1_.has_dyn_sized_stack, 0
	.set _Z17sort_pairs_kernelI22helper_blocked_stripediLj128ELj3ELj10EEvPKT0_PS1_.has_recursion, 0
	.set _Z17sort_pairs_kernelI22helper_blocked_stripediLj128ELj3ELj10EEvPKT0_PS1_.has_indirect_call, 0
	.section	.AMDGPU.csdata,"",@progbits
; Kernel info:
; codeLenInByte = 2364
; TotalNumSgprs: 42
; NumVgprs: 35
; ScratchSize: 0
; MemoryBound: 0
; FloatMode: 240
; IeeeMode: 1
; LDSByteSize: 2064 bytes/workgroup (compile time only)
; SGPRBlocks: 8
; VGPRBlocks: 8
; NumSGPRsForWavesPerEU: 65
; NumVGPRsForWavesPerEU: 35
; Occupancy: 7
; WaveLimiterHint : 1
; COMPUTE_PGM_RSRC2:SCRATCH_EN: 0
; COMPUTE_PGM_RSRC2:USER_SGPR: 6
; COMPUTE_PGM_RSRC2:TRAP_HANDLER: 0
; COMPUTE_PGM_RSRC2:TGID_X_EN: 1
; COMPUTE_PGM_RSRC2:TGID_Y_EN: 0
; COMPUTE_PGM_RSRC2:TGID_Z_EN: 0
; COMPUTE_PGM_RSRC2:TIDIG_COMP_CNT: 2
	.section	.text._Z16sort_keys_kernelI22helper_blocked_stripediLj128ELj4ELj10EEvPKT0_PS1_,"axG",@progbits,_Z16sort_keys_kernelI22helper_blocked_stripediLj128ELj4ELj10EEvPKT0_PS1_,comdat
	.protected	_Z16sort_keys_kernelI22helper_blocked_stripediLj128ELj4ELj10EEvPKT0_PS1_ ; -- Begin function _Z16sort_keys_kernelI22helper_blocked_stripediLj128ELj4ELj10EEvPKT0_PS1_
	.globl	_Z16sort_keys_kernelI22helper_blocked_stripediLj128ELj4ELj10EEvPKT0_PS1_
	.p2align	8
	.type	_Z16sort_keys_kernelI22helper_blocked_stripediLj128ELj4ELj10EEvPKT0_PS1_,@function
_Z16sort_keys_kernelI22helper_blocked_stripediLj128ELj4ELj10EEvPKT0_PS1_: ; @_Z16sort_keys_kernelI22helper_blocked_stripediLj128ELj4ELj10EEvPKT0_PS1_
; %bb.0:
	s_load_dwordx4 s[36:39], s[4:5], 0x0
	s_load_dword s8, s[4:5], 0x1c
	s_lshl_b32 s40, s6, 9
	s_mov_b32 s41, 0
	s_lshl_b64 s[42:43], s[40:41], 2
	s_waitcnt lgkmcnt(0)
	s_add_u32 s0, s36, s42
	s_addc_u32 s1, s37, s43
	v_lshlrev_b32_e32 v9, 4, v0
	global_load_dwordx4 v[3:6], v9, s[0:1]
	v_mbcnt_lo_u32_b32 v7, -1, 0
	v_mbcnt_hi_u32_b32 v7, -1, v7
	s_lshr_b32 s9, s8, 16
	s_and_b32 s8, s8, 0xffff
	v_mad_u32_u24 v1, v2, s9, v1
	v_and_b32_e32 v2, 15, v7
	v_mad_u32_u24 v1, v1, s8, v0
	v_cmp_eq_u32_e64 s[8:9], 0, v2
	v_cmp_lt_u32_e64 s[10:11], 1, v2
	v_cmp_lt_u32_e64 s[12:13], 3, v2
	;; [unrolled: 1-line block ×3, first 2 shown]
	v_and_b32_e32 v2, 16, v7
	v_cmp_eq_u32_e64 s[16:17], 0, v2
	v_or_b32_e32 v2, 63, v0
	v_and_b32_e32 v14, 64, v7
	v_cmp_eq_u32_e64 s[20:21], v0, v2
	v_subrev_co_u32_e64 v2, s[26:27], 1, v7
	v_lshrrev_b32_e32 v8, 2, v7
	v_and_b32_e32 v10, 3, v7
	v_cmp_lt_i32_e32 vcc, v2, v14
	v_cmp_eq_u32_e64 s[0:1], 3, v10
	v_cmp_eq_u32_e64 s[2:3], 2, v10
	;; [unrolled: 1-line block ×4, first 2 shown]
	v_or_b32_e32 v10, v8, v14
	v_add_u32_e32 v8, 48, v8
	v_cndmask_b32_e32 v2, v2, v7, vcc
	v_and_or_b32 v8, v8, 63, v14
	v_lshlrev_b32_e32 v14, 2, v2
	v_lshrrev_b32_e32 v2, 4, v0
	v_and_b32_e32 v15, 4, v2
	v_and_b32_e32 v2, 1, v7
	v_lshlrev_b32_e32 v10, 2, v10
	v_cmp_eq_u32_e64 s[30:31], 0, v2
	v_and_b32_e32 v2, 0x400, v9
	v_lshrrev_b32_e32 v1, 4, v1
	v_add_u32_e32 v11, 64, v10
	v_or_b32_e32 v12, 0x80, v10
	v_lshlrev_b32_e32 v13, 2, v8
	v_cmp_lt_u32_e64 s[18:19], 31, v7
	v_cmp_gt_u32_e64 s[22:23], 2, v0
	v_cmp_lt_u32_e64 s[24:25], 63, v0
	v_cmp_eq_u32_e64 s[28:29], 0, v0
	v_mul_i32_i24_e32 v16, -12, v0
	v_add_u32_e32 v17, -4, v15
	v_lshl_or_b32 v18, v7, 2, v2
	v_and_b32_e32 v19, 0xffffffc, v1
	s_mov_b32 s40, s41
	s_mov_b32 s36, s41
	;; [unrolled: 1-line block ×3, first 2 shown]
	v_mov_b32_e32 v7, 0
	v_mov_b32_e32 v20, 3
	s_mov_b32 s33, s41
	s_branch .LBB204_2
.LBB204_1:                              ;   in Loop: Header=BB204_2 Depth=1
	v_lshlrev_b32_e32 v1, 2, v27
	s_barrier
	ds_write_b32 v1, v23
	v_lshlrev_b32_e32 v1, 2, v25
	ds_write_b32 v1, v22
	v_lshlrev_b32_e32 v1, 2, v24
	;; [unrolled: 2-line block ×3, first 2 shown]
	v_add_u32_e32 v3, v9, v16
	ds_write_b32 v1, v5
	s_waitcnt lgkmcnt(0)
	s_barrier
	ds_read2st64_b32 v[1:2], v3 offset1:2
	ds_read2st64_b32 v[5:6], v3 offset0:4 offset1:6
	s_add_i32 s33, s33, 1
	s_cmp_eq_u32 s33, 10
	s_waitcnt lgkmcnt(1)
	v_xor_b32_e32 v3, 0x80000000, v1
	v_xor_b32_e32 v4, 0x80000000, v2
	s_waitcnt lgkmcnt(0)
	v_xor_b32_e32 v5, 0x80000000, v5
	v_xor_b32_e32 v6, 0x80000000, v6
	s_cbranch_scc1 .LBB204_20
.LBB204_2:                              ; =>This Loop Header: Depth=1
                                        ;     Child Loop BB204_4 Depth 2
	s_waitcnt vmcnt(0)
	v_xor_b32_e32 v3, 0x80000000, v3
	ds_bpermute_b32 v1, v10, v3
	v_xor_b32_e32 v4, 0x80000000, v4
	v_xor_b32_e32 v5, 0x80000000, v5
	ds_bpermute_b32 v2, v10, v4
	v_xor_b32_e32 v6, 0x80000000, v6
	ds_bpermute_b32 v8, v10, v5
	ds_bpermute_b32 v21, v10, v6
	;; [unrolled: 1-line block ×3, first 2 shown]
	s_waitcnt lgkmcnt(4)
	v_cndmask_b32_e64 v1, 0, v1, s[6:7]
	ds_bpermute_b32 v23, v11, v4
	s_waitcnt lgkmcnt(4)
	v_cndmask_b32_e64 v1, v1, v2, s[4:5]
	s_waitcnt lgkmcnt(3)
	v_cndmask_b32_e64 v1, v1, v8, s[2:3]
	ds_bpermute_b32 v8, v11, v5
	s_waitcnt lgkmcnt(3)
	v_cndmask_b32_e64 v1, v1, v21, s[0:1]
	s_waitcnt lgkmcnt(2)
	v_cndmask_b32_e64 v2, 0, v22, s[6:7]
	ds_bpermute_b32 v21, v11, v6
	ds_bpermute_b32 v22, v12, v3
	s_waitcnt lgkmcnt(3)
	v_cndmask_b32_e64 v2, v2, v23, s[4:5]
	ds_bpermute_b32 v23, v12, v4
	ds_bpermute_b32 v24, v12, v5
	s_waitcnt lgkmcnt(4)
	v_cndmask_b32_e64 v2, v2, v8, s[2:3]
	s_waitcnt lgkmcnt(3)
	v_cndmask_b32_e64 v2, v2, v21, s[0:1]
	;; [unrolled: 2-line block ×3, first 2 shown]
	ds_bpermute_b32 v21, v12, v6
	ds_bpermute_b32 v22, v13, v3
	;; [unrolled: 1-line block ×4, first 2 shown]
	s_waitcnt lgkmcnt(5)
	v_cndmask_b32_e64 v8, v8, v23, s[4:5]
	ds_bpermute_b32 v6, v13, v6
	s_waitcnt lgkmcnt(5)
	v_cndmask_b32_e64 v8, v8, v24, s[2:3]
	s_waitcnt lgkmcnt(4)
	v_cndmask_b32_e64 v3, v8, v21, s[0:1]
	;; [unrolled: 2-line block ×6, first 2 shown]
	v_mov_b32_e32 v21, v7
	s_barrier
	s_branch .LBB204_4
.LBB204_3:                              ;   in Loop: Header=BB204_4 Depth=2
	s_andn2_b64 vcc, exec, s[34:35]
	s_cbranch_vccz .LBB204_1
.LBB204_4:                              ;   Parent Loop BB204_2 Depth=1
                                        ; =>  This Inner Loop Header: Depth=2
	v_mov_b32_e32 v5, v4
	v_mov_b32_e32 v6, v3
	;; [unrolled: 1-line block ×8, first 2 shown]
	ds_write2_b64 v9, v[1:2], v[3:4] offset0:1 offset1:2
	v_lshrrev_b32_e32 v1, v21, v23
	v_and_b32_e32 v2, 1, v1
	v_add_co_u32_e32 v4, vcc, -1, v2
	v_addc_co_u32_e64 v8, s[34:35], 0, -1, vcc
	v_cmp_ne_u32_e32 vcc, 0, v2
	v_xor_b32_e32 v2, vcc_hi, v8
	v_lshlrev_b32_e32 v8, 30, v1
	v_xor_b32_e32 v4, vcc_lo, v4
	v_cmp_gt_i64_e32 vcc, 0, v[7:8]
	v_not_b32_e32 v8, v8
	v_ashrrev_i32_e32 v8, 31, v8
	v_and_b32_e32 v4, exec_lo, v4
	v_xor_b32_e32 v24, vcc_hi, v8
	v_xor_b32_e32 v8, vcc_lo, v8
	v_and_b32_e32 v4, v4, v8
	v_lshlrev_b32_e32 v8, 29, v1
	v_cmp_gt_i64_e32 vcc, 0, v[7:8]
	v_not_b32_e32 v8, v8
	v_and_b32_e32 v2, exec_hi, v2
	v_ashrrev_i32_e32 v8, 31, v8
	v_and_b32_e32 v2, v2, v24
	v_xor_b32_e32 v24, vcc_hi, v8
	v_xor_b32_e32 v8, vcc_lo, v8
	v_and_b32_e32 v4, v4, v8
	v_lshlrev_b32_e32 v8, 28, v1
	v_cmp_gt_i64_e32 vcc, 0, v[7:8]
	v_not_b32_e32 v8, v8
	v_ashrrev_i32_e32 v8, 31, v8
	v_and_b32_e32 v2, v2, v24
	v_xor_b32_e32 v24, vcc_hi, v8
	v_xor_b32_e32 v8, vcc_lo, v8
	v_and_b32_e32 v4, v4, v8
	v_lshlrev_b32_e32 v8, 27, v1
	v_cmp_gt_i64_e32 vcc, 0, v[7:8]
	v_not_b32_e32 v8, v8
	;; [unrolled: 8-line block ×4, first 2 shown]
	v_ashrrev_i32_e32 v8, 31, v8
	v_and_b32_e32 v2, v2, v24
	v_xor_b32_e32 v24, vcc_hi, v8
	v_xor_b32_e32 v8, vcc_lo, v8
	v_and_b32_e32 v4, v4, v8
	v_lshlrev_b32_e32 v8, 24, v1
	v_lshlrev_b32_sdwa v3, v20, v1 dst_sel:DWORD dst_unused:UNUSED_PAD src0_sel:DWORD src1_sel:BYTE_0
	v_cmp_gt_i64_e32 vcc, 0, v[7:8]
	v_not_b32_e32 v1, v8
	v_ashrrev_i32_e32 v1, 31, v1
	v_xor_b32_e32 v8, vcc_hi, v1
	v_xor_b32_e32 v1, vcc_lo, v1
	v_and_b32_e32 v2, v2, v24
	v_and_b32_e32 v1, v4, v1
	;; [unrolled: 1-line block ×3, first 2 shown]
	v_mbcnt_lo_u32_b32 v4, v1, 0
	v_mbcnt_hi_u32_b32 v24, v2, v4
	v_cmp_ne_u64_e32 vcc, 0, v[1:2]
	v_cmp_eq_u32_e64 s[34:35], 0, v24
	s_and_b64 s[44:45], vcc, s[34:35]
	v_add_u32_e32 v25, v19, v3
	s_waitcnt lgkmcnt(0)
	s_barrier
	; wave barrier
	s_and_saveexec_b64 s[34:35], s[44:45]
; %bb.5:                                ;   in Loop: Header=BB204_4 Depth=2
	v_bcnt_u32_b32 v1, v1, 0
	v_bcnt_u32_b32 v1, v2, v1
	ds_write_b32 v25, v1 offset:8
; %bb.6:                                ;   in Loop: Header=BB204_4 Depth=2
	s_or_b64 exec, exec, s[34:35]
	v_lshrrev_b32_e32 v1, v21, v22
	v_lshlrev_b32_sdwa v2, v20, v1 dst_sel:DWORD dst_unused:UNUSED_PAD src0_sel:DWORD src1_sel:BYTE_0
	v_add_u32_e32 v27, v19, v2
	v_and_b32_e32 v2, 1, v1
	v_add_co_u32_e32 v3, vcc, -1, v2
	v_addc_co_u32_e64 v4, s[34:35], 0, -1, vcc
	v_cmp_ne_u32_e32 vcc, 0, v2
	v_lshlrev_b32_e32 v8, 30, v1
	v_xor_b32_e32 v2, vcc_hi, v4
	v_xor_b32_e32 v3, vcc_lo, v3
	v_cmp_gt_i64_e32 vcc, 0, v[7:8]
	v_not_b32_e32 v4, v8
	v_ashrrev_i32_e32 v4, 31, v4
	v_and_b32_e32 v2, exec_hi, v2
	v_xor_b32_e32 v8, vcc_hi, v4
	v_and_b32_e32 v3, exec_lo, v3
	v_xor_b32_e32 v4, vcc_lo, v4
	v_and_b32_e32 v2, v2, v8
	v_lshlrev_b32_e32 v8, 29, v1
	v_and_b32_e32 v3, v3, v4
	v_cmp_gt_i64_e32 vcc, 0, v[7:8]
	v_not_b32_e32 v4, v8
	v_ashrrev_i32_e32 v4, 31, v4
	v_xor_b32_e32 v8, vcc_hi, v4
	v_xor_b32_e32 v4, vcc_lo, v4
	v_and_b32_e32 v2, v2, v8
	v_lshlrev_b32_e32 v8, 28, v1
	v_and_b32_e32 v3, v3, v4
	v_cmp_gt_i64_e32 vcc, 0, v[7:8]
	v_not_b32_e32 v4, v8
	v_ashrrev_i32_e32 v4, 31, v4
	v_xor_b32_e32 v8, vcc_hi, v4
	v_xor_b32_e32 v4, vcc_lo, v4
	v_and_b32_e32 v2, v2, v8
	v_lshlrev_b32_e32 v8, 27, v1
	v_and_b32_e32 v3, v3, v4
	v_cmp_gt_i64_e32 vcc, 0, v[7:8]
	v_not_b32_e32 v4, v8
	v_ashrrev_i32_e32 v4, 31, v4
	v_xor_b32_e32 v8, vcc_hi, v4
	v_xor_b32_e32 v4, vcc_lo, v4
	v_and_b32_e32 v2, v2, v8
	v_lshlrev_b32_e32 v8, 26, v1
	v_and_b32_e32 v3, v3, v4
	v_cmp_gt_i64_e32 vcc, 0, v[7:8]
	v_not_b32_e32 v4, v8
	v_ashrrev_i32_e32 v4, 31, v4
	v_xor_b32_e32 v8, vcc_hi, v4
	v_xor_b32_e32 v4, vcc_lo, v4
	v_and_b32_e32 v2, v2, v8
	v_lshlrev_b32_e32 v8, 25, v1
	v_and_b32_e32 v3, v3, v4
	v_cmp_gt_i64_e32 vcc, 0, v[7:8]
	v_not_b32_e32 v4, v8
	v_ashrrev_i32_e32 v4, 31, v4
	v_xor_b32_e32 v8, vcc_hi, v4
	v_and_b32_e32 v2, v2, v8
	v_lshlrev_b32_e32 v8, 24, v1
	v_xor_b32_e32 v4, vcc_lo, v4
	v_cmp_gt_i64_e32 vcc, 0, v[7:8]
	v_not_b32_e32 v1, v8
	v_ashrrev_i32_e32 v1, 31, v1
	v_and_b32_e32 v3, v3, v4
	v_xor_b32_e32 v4, vcc_hi, v1
	v_xor_b32_e32 v1, vcc_lo, v1
	; wave barrier
	ds_read_b32 v26, v27 offset:8
	v_and_b32_e32 v1, v3, v1
	v_and_b32_e32 v2, v2, v4
	v_mbcnt_lo_u32_b32 v3, v1, 0
	v_mbcnt_hi_u32_b32 v28, v2, v3
	v_cmp_ne_u64_e32 vcc, 0, v[1:2]
	v_cmp_eq_u32_e64 s[34:35], 0, v28
	s_and_b64 s[44:45], vcc, s[34:35]
	; wave barrier
	s_and_saveexec_b64 s[34:35], s[44:45]
	s_cbranch_execz .LBB204_8
; %bb.7:                                ;   in Loop: Header=BB204_4 Depth=2
	v_bcnt_u32_b32 v1, v1, 0
	v_bcnt_u32_b32 v1, v2, v1
	s_waitcnt lgkmcnt(0)
	v_add_u32_e32 v1, v26, v1
	ds_write_b32 v27, v1 offset:8
.LBB204_8:                              ;   in Loop: Header=BB204_4 Depth=2
	s_or_b64 exec, exec, s[34:35]
	v_lshrrev_b32_e32 v1, v21, v6
	v_lshlrev_b32_sdwa v2, v20, v1 dst_sel:DWORD dst_unused:UNUSED_PAD src0_sel:DWORD src1_sel:BYTE_0
	v_add_u32_e32 v30, v19, v2
	v_and_b32_e32 v2, 1, v1
	v_add_co_u32_e32 v3, vcc, -1, v2
	v_addc_co_u32_e64 v4, s[34:35], 0, -1, vcc
	v_cmp_ne_u32_e32 vcc, 0, v2
	v_lshlrev_b32_e32 v8, 30, v1
	v_xor_b32_e32 v2, vcc_hi, v4
	v_xor_b32_e32 v3, vcc_lo, v3
	v_cmp_gt_i64_e32 vcc, 0, v[7:8]
	v_not_b32_e32 v4, v8
	v_ashrrev_i32_e32 v4, 31, v4
	v_and_b32_e32 v2, exec_hi, v2
	v_xor_b32_e32 v8, vcc_hi, v4
	v_and_b32_e32 v3, exec_lo, v3
	v_xor_b32_e32 v4, vcc_lo, v4
	v_and_b32_e32 v2, v2, v8
	v_lshlrev_b32_e32 v8, 29, v1
	v_and_b32_e32 v3, v3, v4
	v_cmp_gt_i64_e32 vcc, 0, v[7:8]
	v_not_b32_e32 v4, v8
	v_ashrrev_i32_e32 v4, 31, v4
	v_xor_b32_e32 v8, vcc_hi, v4
	v_xor_b32_e32 v4, vcc_lo, v4
	v_and_b32_e32 v2, v2, v8
	v_lshlrev_b32_e32 v8, 28, v1
	v_and_b32_e32 v3, v3, v4
	v_cmp_gt_i64_e32 vcc, 0, v[7:8]
	v_not_b32_e32 v4, v8
	v_ashrrev_i32_e32 v4, 31, v4
	v_xor_b32_e32 v8, vcc_hi, v4
	;; [unrolled: 8-line block ×5, first 2 shown]
	v_and_b32_e32 v2, v2, v8
	v_lshlrev_b32_e32 v8, 24, v1
	v_xor_b32_e32 v4, vcc_lo, v4
	v_cmp_gt_i64_e32 vcc, 0, v[7:8]
	v_not_b32_e32 v1, v8
	v_ashrrev_i32_e32 v1, 31, v1
	v_and_b32_e32 v3, v3, v4
	v_xor_b32_e32 v4, vcc_hi, v1
	v_xor_b32_e32 v1, vcc_lo, v1
	; wave barrier
	ds_read_b32 v29, v30 offset:8
	v_and_b32_e32 v1, v3, v1
	v_and_b32_e32 v2, v2, v4
	v_mbcnt_lo_u32_b32 v3, v1, 0
	v_mbcnt_hi_u32_b32 v31, v2, v3
	v_cmp_ne_u64_e32 vcc, 0, v[1:2]
	v_cmp_eq_u32_e64 s[34:35], 0, v31
	s_and_b64 s[44:45], vcc, s[34:35]
	; wave barrier
	s_and_saveexec_b64 s[34:35], s[44:45]
	s_cbranch_execz .LBB204_10
; %bb.9:                                ;   in Loop: Header=BB204_4 Depth=2
	v_bcnt_u32_b32 v1, v1, 0
	v_bcnt_u32_b32 v1, v2, v1
	s_waitcnt lgkmcnt(0)
	v_add_u32_e32 v1, v29, v1
	ds_write_b32 v30, v1 offset:8
.LBB204_10:                             ;   in Loop: Header=BB204_4 Depth=2
	s_or_b64 exec, exec, s[34:35]
	v_lshrrev_b32_e32 v1, v21, v5
	v_lshlrev_b32_sdwa v2, v20, v1 dst_sel:DWORD dst_unused:UNUSED_PAD src0_sel:DWORD src1_sel:BYTE_0
	v_add_u32_e32 v33, v19, v2
	v_and_b32_e32 v2, 1, v1
	v_add_co_u32_e32 v3, vcc, -1, v2
	v_addc_co_u32_e64 v4, s[34:35], 0, -1, vcc
	v_cmp_ne_u32_e32 vcc, 0, v2
	v_lshlrev_b32_e32 v8, 30, v1
	v_xor_b32_e32 v2, vcc_hi, v4
	v_xor_b32_e32 v3, vcc_lo, v3
	v_cmp_gt_i64_e32 vcc, 0, v[7:8]
	v_not_b32_e32 v4, v8
	v_ashrrev_i32_e32 v4, 31, v4
	v_and_b32_e32 v2, exec_hi, v2
	v_xor_b32_e32 v8, vcc_hi, v4
	v_and_b32_e32 v3, exec_lo, v3
	v_xor_b32_e32 v4, vcc_lo, v4
	v_and_b32_e32 v2, v2, v8
	v_lshlrev_b32_e32 v8, 29, v1
	v_and_b32_e32 v3, v3, v4
	v_cmp_gt_i64_e32 vcc, 0, v[7:8]
	v_not_b32_e32 v4, v8
	v_ashrrev_i32_e32 v4, 31, v4
	v_xor_b32_e32 v8, vcc_hi, v4
	v_xor_b32_e32 v4, vcc_lo, v4
	v_and_b32_e32 v2, v2, v8
	v_lshlrev_b32_e32 v8, 28, v1
	v_and_b32_e32 v3, v3, v4
	v_cmp_gt_i64_e32 vcc, 0, v[7:8]
	v_not_b32_e32 v4, v8
	v_ashrrev_i32_e32 v4, 31, v4
	v_xor_b32_e32 v8, vcc_hi, v4
	;; [unrolled: 8-line block ×5, first 2 shown]
	v_and_b32_e32 v2, v2, v8
	v_lshlrev_b32_e32 v8, 24, v1
	v_xor_b32_e32 v4, vcc_lo, v4
	v_cmp_gt_i64_e32 vcc, 0, v[7:8]
	v_not_b32_e32 v1, v8
	v_ashrrev_i32_e32 v1, 31, v1
	v_and_b32_e32 v3, v3, v4
	v_xor_b32_e32 v4, vcc_hi, v1
	v_xor_b32_e32 v1, vcc_lo, v1
	; wave barrier
	ds_read_b32 v32, v33 offset:8
	v_and_b32_e32 v1, v3, v1
	v_and_b32_e32 v2, v2, v4
	v_mbcnt_lo_u32_b32 v3, v1, 0
	v_mbcnt_hi_u32_b32 v8, v2, v3
	v_cmp_ne_u64_e32 vcc, 0, v[1:2]
	v_cmp_eq_u32_e64 s[34:35], 0, v8
	s_and_b64 s[44:45], vcc, s[34:35]
	; wave barrier
	s_and_saveexec_b64 s[34:35], s[44:45]
	s_cbranch_execz .LBB204_12
; %bb.11:                               ;   in Loop: Header=BB204_4 Depth=2
	v_bcnt_u32_b32 v1, v1, 0
	v_bcnt_u32_b32 v1, v2, v1
	s_waitcnt lgkmcnt(0)
	v_add_u32_e32 v1, v32, v1
	ds_write_b32 v33, v1 offset:8
.LBB204_12:                             ;   in Loop: Header=BB204_4 Depth=2
	s_or_b64 exec, exec, s[34:35]
	; wave barrier
	s_waitcnt lgkmcnt(0)
	s_barrier
	ds_read2_b64 v[1:4], v9 offset0:1 offset1:2
	s_waitcnt lgkmcnt(0)
	v_add_u32_e32 v34, v2, v1
	v_add3_u32 v4, v34, v3, v4
	s_nop 1
	v_mov_b32_dpp v34, v4 row_shr:1 row_mask:0xf bank_mask:0xf
	v_cndmask_b32_e64 v34, v34, 0, s[8:9]
	v_add_u32_e32 v4, v34, v4
	s_nop 1
	v_mov_b32_dpp v34, v4 row_shr:2 row_mask:0xf bank_mask:0xf
	v_cndmask_b32_e64 v34, 0, v34, s[10:11]
	v_add_u32_e32 v4, v4, v34
	;; [unrolled: 4-line block ×4, first 2 shown]
	s_nop 1
	v_mov_b32_dpp v34, v4 row_bcast:15 row_mask:0xf bank_mask:0xf
	v_cndmask_b32_e64 v34, v34, 0, s[16:17]
	v_add_u32_e32 v4, v4, v34
	s_nop 1
	v_mov_b32_dpp v34, v4 row_bcast:31 row_mask:0xf bank_mask:0xf
	v_cndmask_b32_e64 v34, 0, v34, s[18:19]
	v_add_u32_e32 v4, v4, v34
	s_and_saveexec_b64 s[34:35], s[20:21]
; %bb.13:                               ;   in Loop: Header=BB204_4 Depth=2
	ds_write_b32 v15, v4
; %bb.14:                               ;   in Loop: Header=BB204_4 Depth=2
	s_or_b64 exec, exec, s[34:35]
	s_waitcnt lgkmcnt(0)
	s_barrier
	s_and_saveexec_b64 s[34:35], s[22:23]
	s_cbranch_execz .LBB204_16
; %bb.15:                               ;   in Loop: Header=BB204_4 Depth=2
	v_add_u32_e32 v34, v9, v16
	ds_read_b32 v35, v34
	s_waitcnt lgkmcnt(0)
	s_nop 0
	v_mov_b32_dpp v36, v35 row_shr:1 row_mask:0xf bank_mask:0xf
	v_cndmask_b32_e64 v36, v36, 0, s[30:31]
	v_add_u32_e32 v35, v36, v35
	ds_write_b32 v34, v35
.LBB204_16:                             ;   in Loop: Header=BB204_4 Depth=2
	s_or_b64 exec, exec, s[34:35]
	v_mov_b32_e32 v34, 0
	s_waitcnt lgkmcnt(0)
	s_barrier
	s_and_saveexec_b64 s[34:35], s[24:25]
; %bb.17:                               ;   in Loop: Header=BB204_4 Depth=2
	ds_read_b32 v34, v17
; %bb.18:                               ;   in Loop: Header=BB204_4 Depth=2
	s_or_b64 exec, exec, s[34:35]
	s_waitcnt lgkmcnt(0)
	v_add_u32_e32 v4, v34, v4
	ds_bpermute_b32 v4, v14, v4
	v_cmp_lt_u32_e32 vcc, 23, v21
	s_and_b64 vcc, exec, vcc
	s_mov_b64 s[34:35], -1
	s_waitcnt lgkmcnt(0)
	v_cndmask_b32_e64 v4, v4, v34, s[26:27]
	v_cndmask_b32_e64 v34, v4, 0, s[28:29]
	v_add_u32_e32 v35, v34, v1
	v_add_u32_e32 v1, v35, v2
	;; [unrolled: 1-line block ×3, first 2 shown]
	ds_write2_b64 v9, v[34:35], v[1:2] offset0:1 offset1:2
	s_waitcnt lgkmcnt(0)
	s_barrier
	ds_read_b32 v1, v25 offset:8
	ds_read_b32 v2, v27 offset:8
	;; [unrolled: 1-line block ×4, first 2 shown]
	s_waitcnt lgkmcnt(3)
	v_add_u32_e32 v27, v1, v24
	s_waitcnt lgkmcnt(2)
	v_add3_u32 v25, v28, v26, v2
	s_waitcnt lgkmcnt(1)
	v_add3_u32 v24, v31, v29, v3
	;; [unrolled: 2-line block ×3, first 2 shown]
                                        ; implicit-def: $vgpr4
                                        ; implicit-def: $vgpr2
	s_cbranch_vccnz .LBB204_3
; %bb.19:                               ;   in Loop: Header=BB204_4 Depth=2
	v_lshlrev_b32_e32 v1, 2, v27
	s_barrier
	ds_write_b32 v1, v23
	v_lshlrev_b32_e32 v1, 2, v25
	ds_write_b32 v1, v22
	v_lshlrev_b32_e32 v1, 2, v24
	;; [unrolled: 2-line block ×3, first 2 shown]
	ds_write_b32 v1, v5
	s_waitcnt lgkmcnt(0)
	s_barrier
	ds_read2st64_b32 v[1:2], v18 offset1:1
	ds_read2st64_b32 v[3:4], v18 offset0:2 offset1:3
	v_add_u32_e32 v21, 8, v21
	s_mov_b64 s[34:35], 0
	s_waitcnt lgkmcnt(0)
	s_barrier
	s_branch .LBB204_3
.LBB204_20:
	s_add_u32 s0, s38, s42
	s_addc_u32 s1, s39, s43
	v_lshlrev_b32_e32 v0, 2, v0
	global_store_dword v0, v3, s[0:1]
	global_store_dword v0, v4, s[0:1] offset:512
	global_store_dword v0, v5, s[0:1] offset:1024
	;; [unrolled: 1-line block ×3, first 2 shown]
	s_endpgm
	.section	.rodata,"a",@progbits
	.p2align	6, 0x0
	.amdhsa_kernel _Z16sort_keys_kernelI22helper_blocked_stripediLj128ELj4ELj10EEvPKT0_PS1_
		.amdhsa_group_segment_fixed_size 2064
		.amdhsa_private_segment_fixed_size 0
		.amdhsa_kernarg_size 272
		.amdhsa_user_sgpr_count 6
		.amdhsa_user_sgpr_private_segment_buffer 1
		.amdhsa_user_sgpr_dispatch_ptr 0
		.amdhsa_user_sgpr_queue_ptr 0
		.amdhsa_user_sgpr_kernarg_segment_ptr 1
		.amdhsa_user_sgpr_dispatch_id 0
		.amdhsa_user_sgpr_flat_scratch_init 0
		.amdhsa_user_sgpr_private_segment_size 0
		.amdhsa_uses_dynamic_stack 0
		.amdhsa_system_sgpr_private_segment_wavefront_offset 0
		.amdhsa_system_sgpr_workgroup_id_x 1
		.amdhsa_system_sgpr_workgroup_id_y 0
		.amdhsa_system_sgpr_workgroup_id_z 0
		.amdhsa_system_sgpr_workgroup_info 0
		.amdhsa_system_vgpr_workitem_id 2
		.amdhsa_next_free_vgpr 37
		.amdhsa_next_free_sgpr 61
		.amdhsa_reserve_vcc 1
		.amdhsa_reserve_flat_scratch 0
		.amdhsa_float_round_mode_32 0
		.amdhsa_float_round_mode_16_64 0
		.amdhsa_float_denorm_mode_32 3
		.amdhsa_float_denorm_mode_16_64 3
		.amdhsa_dx10_clamp 1
		.amdhsa_ieee_mode 1
		.amdhsa_fp16_overflow 0
		.amdhsa_exception_fp_ieee_invalid_op 0
		.amdhsa_exception_fp_denorm_src 0
		.amdhsa_exception_fp_ieee_div_zero 0
		.amdhsa_exception_fp_ieee_overflow 0
		.amdhsa_exception_fp_ieee_underflow 0
		.amdhsa_exception_fp_ieee_inexact 0
		.amdhsa_exception_int_div_zero 0
	.end_amdhsa_kernel
	.section	.text._Z16sort_keys_kernelI22helper_blocked_stripediLj128ELj4ELj10EEvPKT0_PS1_,"axG",@progbits,_Z16sort_keys_kernelI22helper_blocked_stripediLj128ELj4ELj10EEvPKT0_PS1_,comdat
.Lfunc_end204:
	.size	_Z16sort_keys_kernelI22helper_blocked_stripediLj128ELj4ELj10EEvPKT0_PS1_, .Lfunc_end204-_Z16sort_keys_kernelI22helper_blocked_stripediLj128ELj4ELj10EEvPKT0_PS1_
                                        ; -- End function
	.set _Z16sort_keys_kernelI22helper_blocked_stripediLj128ELj4ELj10EEvPKT0_PS1_.num_vgpr, 37
	.set _Z16sort_keys_kernelI22helper_blocked_stripediLj128ELj4ELj10EEvPKT0_PS1_.num_agpr, 0
	.set _Z16sort_keys_kernelI22helper_blocked_stripediLj128ELj4ELj10EEvPKT0_PS1_.numbered_sgpr, 46
	.set _Z16sort_keys_kernelI22helper_blocked_stripediLj128ELj4ELj10EEvPKT0_PS1_.num_named_barrier, 0
	.set _Z16sort_keys_kernelI22helper_blocked_stripediLj128ELj4ELj10EEvPKT0_PS1_.private_seg_size, 0
	.set _Z16sort_keys_kernelI22helper_blocked_stripediLj128ELj4ELj10EEvPKT0_PS1_.uses_vcc, 1
	.set _Z16sort_keys_kernelI22helper_blocked_stripediLj128ELj4ELj10EEvPKT0_PS1_.uses_flat_scratch, 0
	.set _Z16sort_keys_kernelI22helper_blocked_stripediLj128ELj4ELj10EEvPKT0_PS1_.has_dyn_sized_stack, 0
	.set _Z16sort_keys_kernelI22helper_blocked_stripediLj128ELj4ELj10EEvPKT0_PS1_.has_recursion, 0
	.set _Z16sort_keys_kernelI22helper_blocked_stripediLj128ELj4ELj10EEvPKT0_PS1_.has_indirect_call, 0
	.section	.AMDGPU.csdata,"",@progbits
; Kernel info:
; codeLenInByte = 2936
; TotalNumSgprs: 50
; NumVgprs: 37
; ScratchSize: 0
; MemoryBound: 0
; FloatMode: 240
; IeeeMode: 1
; LDSByteSize: 2064 bytes/workgroup (compile time only)
; SGPRBlocks: 8
; VGPRBlocks: 9
; NumSGPRsForWavesPerEU: 65
; NumVGPRsForWavesPerEU: 37
; Occupancy: 6
; WaveLimiterHint : 1
; COMPUTE_PGM_RSRC2:SCRATCH_EN: 0
; COMPUTE_PGM_RSRC2:USER_SGPR: 6
; COMPUTE_PGM_RSRC2:TRAP_HANDLER: 0
; COMPUTE_PGM_RSRC2:TGID_X_EN: 1
; COMPUTE_PGM_RSRC2:TGID_Y_EN: 0
; COMPUTE_PGM_RSRC2:TGID_Z_EN: 0
; COMPUTE_PGM_RSRC2:TIDIG_COMP_CNT: 2
	.section	.text._Z17sort_pairs_kernelI22helper_blocked_stripediLj128ELj4ELj10EEvPKT0_PS1_,"axG",@progbits,_Z17sort_pairs_kernelI22helper_blocked_stripediLj128ELj4ELj10EEvPKT0_PS1_,comdat
	.protected	_Z17sort_pairs_kernelI22helper_blocked_stripediLj128ELj4ELj10EEvPKT0_PS1_ ; -- Begin function _Z17sort_pairs_kernelI22helper_blocked_stripediLj128ELj4ELj10EEvPKT0_PS1_
	.globl	_Z17sort_pairs_kernelI22helper_blocked_stripediLj128ELj4ELj10EEvPKT0_PS1_
	.p2align	8
	.type	_Z17sort_pairs_kernelI22helper_blocked_stripediLj128ELj4ELj10EEvPKT0_PS1_,@function
_Z17sort_pairs_kernelI22helper_blocked_stripediLj128ELj4ELj10EEvPKT0_PS1_: ; @_Z17sort_pairs_kernelI22helper_blocked_stripediLj128ELj4ELj10EEvPKT0_PS1_
; %bb.0:
	s_load_dwordx4 s[36:39], s[4:5], 0x0
	s_load_dword s33, s[4:5], 0x1c
	s_lshl_b32 s42, s6, 9
	s_mov_b32 s43, 0
	s_lshl_b64 s[40:41], s[42:43], 2
	s_waitcnt lgkmcnt(0)
	s_add_u32 s0, s36, s40
	s_addc_u32 s1, s37, s41
	v_lshlrev_b32_e32 v12, 4, v0
	global_load_dwordx4 v[3:6], v12, s[0:1]
	v_mbcnt_lo_u32_b32 v8, -1, 0
	v_mbcnt_hi_u32_b32 v8, -1, v8
	v_or_b32_e32 v9, 63, v0
	s_lshr_b32 s34, s33, 16
	v_lshrrev_b32_e32 v11, 2, v8
	v_and_b32_e32 v19, 64, v8
	v_cmp_eq_u32_e64 s[8:9], v0, v9
	v_subrev_co_u32_e64 v9, s[10:11], 1, v8
	s_and_b32 s33, s33, 0xffff
	v_mad_u32_u24 v1, v2, s34, v1
	v_lshrrev_b32_e32 v10, 4, v0
	v_and_b32_e32 v17, 15, v8
	v_and_b32_e32 v18, 16, v8
	;; [unrolled: 1-line block ×3, first 2 shown]
	v_or_b32_e32 v21, v11, v19
	v_add_u32_e32 v11, 48, v11
	v_cmp_lt_i32_e32 vcc, v9, v19
	v_mad_u32_u24 v1, v1, s33, v0
	v_and_b32_e32 v16, 3, v8
	v_cmp_lt_u32_e64 s[6:7], 31, v8
	v_and_b32_e32 v15, 4, v10
	v_and_b32_e32 v10, 1, v8
	v_cmp_eq_u32_e64 s[20:21], 0, v17
	v_cmp_lt_u32_e64 s[22:23], 1, v17
	v_cmp_lt_u32_e64 s[24:25], 3, v17
	;; [unrolled: 1-line block ×3, first 2 shown]
	v_cmp_eq_u32_e64 s[28:29], 0, v18
	v_cndmask_b32_e32 v9, v9, v8, vcc
	v_lshl_or_b32 v17, v8, 2, v20
	v_lshlrev_b32_e32 v18, 2, v21
	v_and_or_b32 v8, v11, 63, v19
	v_lshrrev_b32_e32 v1, 4, v1
	v_mov_b32_e32 v7, 0
	v_mov_b32_e32 v13, 3
	v_cmp_gt_u32_e64 s[0:1], 2, v0
	v_cmp_lt_u32_e64 s[2:3], 63, v0
	v_cmp_eq_u32_e64 s[4:5], 0, v0
	v_mul_i32_i24_e32 v14, -12, v0
	s_mov_b32 s36, s43
	s_mov_b32 s37, s43
	;; [unrolled: 1-line block ×3, first 2 shown]
	v_cmp_eq_u32_e64 s[12:13], 3, v16
	v_cmp_eq_u32_e64 s[14:15], 2, v16
	;; [unrolled: 1-line block ×5, first 2 shown]
	v_add_u32_e32 v16, -4, v15
	v_lshlrev_b32_e32 v19, 2, v9
	v_add_u32_e32 v20, 64, v18
	v_or_b32_e32 v21, 0x80, v18
	v_lshlrev_b32_e32 v22, 2, v8
	v_and_b32_e32 v23, 0xffffffc, v1
	s_mov_b32 s33, s43
	s_waitcnt vmcnt(0)
	v_add_u32_e32 v10, 1, v3
	v_add_u32_e32 v11, 1, v4
	;; [unrolled: 1-line block ×4, first 2 shown]
	s_branch .LBB205_2
.LBB205_1:                              ;   in Loop: Header=BB205_2 Depth=1
	v_lshlrev_b32_e32 v3, 2, v37
	v_lshlrev_b32_e32 v4, 2, v34
	;; [unrolled: 1-line block ×4, first 2 shown]
	s_barrier
	ds_write_b32 v3, v30
	ds_write_b32 v4, v29
	;; [unrolled: 1-line block ×4, first 2 shown]
	v_add_u32_e32 v26, v12, v14
	s_waitcnt lgkmcnt(0)
	s_barrier
	ds_read2st64_b32 v[1:2], v26 offset1:2
	ds_read2st64_b32 v[5:6], v26 offset0:4 offset1:6
	s_waitcnt lgkmcnt(0)
	s_barrier
	ds_write_b32 v3, v25
	ds_write_b32 v4, v24
	;; [unrolled: 1-line block ×4, first 2 shown]
	s_waitcnt lgkmcnt(0)
	s_barrier
	ds_read2st64_b32 v[10:11], v26 offset1:2
	ds_read2st64_b32 v[8:9], v26 offset0:4 offset1:6
	s_add_i32 s33, s33, 1
	v_xor_b32_e32 v3, 0x80000000, v1
	v_xor_b32_e32 v4, 0x80000000, v2
	;; [unrolled: 1-line block ×3, first 2 shown]
	s_cmp_eq_u32 s33, 10
	v_xor_b32_e32 v6, 0x80000000, v6
	s_cbranch_scc1 .LBB205_20
.LBB205_2:                              ; =>This Loop Header: Depth=1
                                        ;     Child Loop BB205_4 Depth 2
	v_xor_b32_e32 v24, 0x80000000, v3
	v_xor_b32_e32 v4, 0x80000000, v4
	ds_bpermute_b32 v1, v18, v24
	ds_bpermute_b32 v2, v18, v4
	v_xor_b32_e32 v5, 0x80000000, v5
	v_xor_b32_e32 v6, 0x80000000, v6
	ds_bpermute_b32 v3, v18, v6
	s_waitcnt lgkmcnt(2)
	v_cndmask_b32_e64 v1, 0, v1, s[18:19]
	s_waitcnt lgkmcnt(1)
	v_cndmask_b32_e64 v1, v1, v2, s[16:17]
	ds_bpermute_b32 v2, v18, v5
	ds_bpermute_b32 v25, v20, v24
	;; [unrolled: 1-line block ×5, first 2 shown]
	s_waitcnt lgkmcnt(4)
	v_cndmask_b32_e64 v1, v1, v2, s[14:15]
	v_cndmask_b32_e64 v1, v1, v3, s[12:13]
	s_waitcnt lgkmcnt(3)
	v_cndmask_b32_e64 v2, 0, v25, s[18:19]
	ds_bpermute_b32 v3, v20, v6
	ds_bpermute_b32 v25, v21, v24
	;; [unrolled: 1-line block ×3, first 2 shown]
	s_waitcnt lgkmcnt(5)
	v_cndmask_b32_e64 v2, v2, v26, s[16:17]
	ds_bpermute_b32 v26, v21, v4
	ds_bpermute_b32 v4, v22, v4
	s_waitcnt lgkmcnt(6)
	v_cndmask_b32_e64 v2, v2, v27, s[14:15]
	ds_bpermute_b32 v27, v21, v5
	ds_bpermute_b32 v5, v22, v5
	;; [unrolled: 1-line block ×3, first 2 shown]
	s_waitcnt lgkmcnt(7)
	v_cndmask_b32_e64 v2, v2, v3, s[12:13]
	s_waitcnt lgkmcnt(6)
	v_cndmask_b32_e64 v3, 0, v25, s[18:19]
	ds_bpermute_b32 v25, v18, v10
	s_waitcnt lgkmcnt(6)
	v_cndmask_b32_e64 v24, 0, v24, s[18:19]
	s_waitcnt lgkmcnt(4)
	v_cndmask_b32_e64 v4, v24, v4, s[16:17]
	;; [unrolled: 2-line block ×4, first 2 shown]
	ds_bpermute_b32 v6, v18, v11
	v_cndmask_b32_e64 v3, v3, v26, s[16:17]
	ds_bpermute_b32 v24, v18, v8
	ds_bpermute_b32 v26, v20, v10
	s_waitcnt lgkmcnt(3)
	v_cndmask_b32_e64 v5, 0, v25, s[18:19]
	ds_bpermute_b32 v25, v18, v9
	v_cndmask_b32_e64 v3, v3, v27, s[14:15]
	ds_bpermute_b32 v27, v20, v11
	s_waitcnt lgkmcnt(4)
	v_cndmask_b32_e64 v5, v5, v6, s[16:17]
	s_waitcnt lgkmcnt(3)
	v_cndmask_b32_e64 v5, v5, v24, s[14:15]
	;; [unrolled: 2-line block ×3, first 2 shown]
	ds_bpermute_b32 v24, v20, v8
	ds_bpermute_b32 v26, v21, v10
	s_waitcnt lgkmcnt(3)
	v_cndmask_b32_e64 v5, v5, v25, s[12:13]
	ds_bpermute_b32 v25, v20, v9
	ds_bpermute_b32 v10, v22, v10
	s_waitcnt lgkmcnt(4)
	v_cndmask_b32_e64 v6, v6, v27, s[16:17]
	ds_bpermute_b32 v27, v21, v11
	ds_bpermute_b32 v11, v22, v11
	v_cndmask_b32_e64 v3, v3, v28, s[12:13]
	ds_bpermute_b32 v28, v21, v8
	s_waitcnt lgkmcnt(6)
	v_cndmask_b32_e64 v6, v6, v24, s[14:15]
	s_waitcnt lgkmcnt(5)
	v_cndmask_b32_e64 v24, 0, v26, s[18:19]
	ds_bpermute_b32 v26, v22, v8
	s_waitcnt lgkmcnt(5)
	v_cndmask_b32_e64 v6, v6, v25, s[12:13]
	ds_bpermute_b32 v25, v21, v9
	ds_bpermute_b32 v9, v22, v9
	s_waitcnt lgkmcnt(6)
	v_cndmask_b32_e64 v10, 0, v10, s[18:19]
	s_waitcnt lgkmcnt(5)
	v_cndmask_b32_e64 v24, v24, v27, s[16:17]
	;; [unrolled: 2-line block ×7, first 2 shown]
	v_mov_b32_e32 v27, v7
	s_barrier
	s_branch .LBB205_4
.LBB205_3:                              ;   in Loop: Header=BB205_4 Depth=2
	s_andn2_b64 vcc, exec, s[34:35]
	s_cbranch_vccz .LBB205_1
.LBB205_4:                              ;   Parent Loop BB205_2 Depth=1
                                        ; =>  This Inner Loop Header: Depth=2
	v_mov_b32_e32 v26, v4
	v_mov_b32_e32 v28, v3
	;; [unrolled: 1-line block ×8, first 2 shown]
	ds_write2_b64 v12, v[1:2], v[3:4] offset0:1 offset1:2
	v_lshrrev_b32_e32 v1, v27, v30
	v_and_b32_e32 v2, 1, v1
	v_add_co_u32_e32 v4, vcc, -1, v2
	v_mov_b32_e32 v11, v8
	v_mov_b32_e32 v25, v5
	v_addc_co_u32_e64 v5, s[34:35], 0, -1, vcc
	v_cmp_ne_u32_e32 vcc, 0, v2
	v_lshlrev_b32_e32 v8, 30, v1
	v_xor_b32_e32 v2, vcc_hi, v5
	v_xor_b32_e32 v4, vcc_lo, v4
	v_cmp_gt_i64_e32 vcc, 0, v[7:8]
	v_not_b32_e32 v5, v8
	v_ashrrev_i32_e32 v5, 31, v5
	v_mov_b32_e32 v24, v6
	v_and_b32_e32 v4, exec_lo, v4
	v_xor_b32_e32 v6, vcc_hi, v5
	v_xor_b32_e32 v5, vcc_lo, v5
	v_lshlrev_b32_e32 v8, 29, v1
	v_and_b32_e32 v4, v4, v5
	v_cmp_gt_i64_e32 vcc, 0, v[7:8]
	v_not_b32_e32 v5, v8
	v_and_b32_e32 v2, exec_hi, v2
	v_ashrrev_i32_e32 v5, 31, v5
	v_and_b32_e32 v2, v2, v6
	v_xor_b32_e32 v6, vcc_hi, v5
	v_xor_b32_e32 v5, vcc_lo, v5
	v_lshlrev_b32_e32 v8, 28, v1
	v_and_b32_e32 v4, v4, v5
	v_cmp_gt_i64_e32 vcc, 0, v[7:8]
	v_not_b32_e32 v5, v8
	v_ashrrev_i32_e32 v5, 31, v5
	v_and_b32_e32 v2, v2, v6
	v_xor_b32_e32 v6, vcc_hi, v5
	v_xor_b32_e32 v5, vcc_lo, v5
	v_lshlrev_b32_e32 v8, 27, v1
	v_and_b32_e32 v4, v4, v5
	v_cmp_gt_i64_e32 vcc, 0, v[7:8]
	v_not_b32_e32 v5, v8
	;; [unrolled: 8-line block ×4, first 2 shown]
	v_ashrrev_i32_e32 v5, 31, v5
	v_lshlrev_b32_e32 v8, 24, v1
	v_lshlrev_b32_sdwa v3, v13, v1 dst_sel:DWORD dst_unused:UNUSED_PAD src0_sel:DWORD src1_sel:BYTE_0
	v_and_b32_e32 v2, v2, v6
	v_xor_b32_e32 v6, vcc_hi, v5
	v_xor_b32_e32 v5, vcc_lo, v5
	v_cmp_gt_i64_e32 vcc, 0, v[7:8]
	v_not_b32_e32 v1, v8
	v_ashrrev_i32_e32 v1, 31, v1
	v_and_b32_e32 v4, v4, v5
	v_xor_b32_e32 v5, vcc_hi, v1
	v_xor_b32_e32 v1, vcc_lo, v1
	v_and_b32_e32 v2, v2, v6
	v_and_b32_e32 v1, v4, v1
	v_and_b32_e32 v2, v2, v5
	v_mbcnt_lo_u32_b32 v4, v1, 0
	v_mbcnt_hi_u32_b32 v5, v2, v4
	v_cmp_ne_u64_e32 vcc, 0, v[1:2]
	v_cmp_eq_u32_e64 s[34:35], 0, v5
	v_mov_b32_e32 v10, v9
	s_and_b64 s[44:45], vcc, s[34:35]
	v_add_u32_e32 v6, v23, v3
	s_waitcnt lgkmcnt(0)
	s_barrier
	; wave barrier
	s_and_saveexec_b64 s[34:35], s[44:45]
; %bb.5:                                ;   in Loop: Header=BB205_4 Depth=2
	v_bcnt_u32_b32 v1, v1, 0
	v_bcnt_u32_b32 v1, v2, v1
	ds_write_b32 v6, v1 offset:8
; %bb.6:                                ;   in Loop: Header=BB205_4 Depth=2
	s_or_b64 exec, exec, s[34:35]
	v_lshrrev_b32_e32 v1, v27, v29
	v_lshlrev_b32_sdwa v2, v13, v1 dst_sel:DWORD dst_unused:UNUSED_PAD src0_sel:DWORD src1_sel:BYTE_0
	v_add_u32_e32 v31, v23, v2
	v_and_b32_e32 v2, 1, v1
	v_add_co_u32_e32 v3, vcc, -1, v2
	v_addc_co_u32_e64 v4, s[34:35], 0, -1, vcc
	v_cmp_ne_u32_e32 vcc, 0, v2
	v_lshlrev_b32_e32 v8, 30, v1
	v_xor_b32_e32 v2, vcc_hi, v4
	v_xor_b32_e32 v3, vcc_lo, v3
	v_cmp_gt_i64_e32 vcc, 0, v[7:8]
	v_not_b32_e32 v4, v8
	v_ashrrev_i32_e32 v4, 31, v4
	v_and_b32_e32 v2, exec_hi, v2
	v_xor_b32_e32 v8, vcc_hi, v4
	v_and_b32_e32 v3, exec_lo, v3
	v_xor_b32_e32 v4, vcc_lo, v4
	v_and_b32_e32 v2, v2, v8
	v_lshlrev_b32_e32 v8, 29, v1
	v_and_b32_e32 v3, v3, v4
	v_cmp_gt_i64_e32 vcc, 0, v[7:8]
	v_not_b32_e32 v4, v8
	v_ashrrev_i32_e32 v4, 31, v4
	v_xor_b32_e32 v8, vcc_hi, v4
	v_xor_b32_e32 v4, vcc_lo, v4
	v_and_b32_e32 v2, v2, v8
	v_lshlrev_b32_e32 v8, 28, v1
	v_and_b32_e32 v3, v3, v4
	v_cmp_gt_i64_e32 vcc, 0, v[7:8]
	v_not_b32_e32 v4, v8
	v_ashrrev_i32_e32 v4, 31, v4
	v_xor_b32_e32 v8, vcc_hi, v4
	;; [unrolled: 8-line block ×5, first 2 shown]
	v_and_b32_e32 v2, v2, v8
	v_lshlrev_b32_e32 v8, 24, v1
	v_xor_b32_e32 v4, vcc_lo, v4
	v_cmp_gt_i64_e32 vcc, 0, v[7:8]
	v_not_b32_e32 v1, v8
	v_ashrrev_i32_e32 v1, 31, v1
	v_and_b32_e32 v3, v3, v4
	v_xor_b32_e32 v4, vcc_hi, v1
	v_xor_b32_e32 v1, vcc_lo, v1
	; wave barrier
	ds_read_b32 v9, v31 offset:8
	v_and_b32_e32 v1, v3, v1
	v_and_b32_e32 v2, v2, v4
	v_mbcnt_lo_u32_b32 v3, v1, 0
	v_mbcnt_hi_u32_b32 v32, v2, v3
	v_cmp_ne_u64_e32 vcc, 0, v[1:2]
	v_cmp_eq_u32_e64 s[34:35], 0, v32
	s_and_b64 s[44:45], vcc, s[34:35]
	; wave barrier
	s_and_saveexec_b64 s[34:35], s[44:45]
	s_cbranch_execz .LBB205_8
; %bb.7:                                ;   in Loop: Header=BB205_4 Depth=2
	v_bcnt_u32_b32 v1, v1, 0
	v_bcnt_u32_b32 v1, v2, v1
	s_waitcnt lgkmcnt(0)
	v_add_u32_e32 v1, v9, v1
	ds_write_b32 v31, v1 offset:8
.LBB205_8:                              ;   in Loop: Header=BB205_4 Depth=2
	s_or_b64 exec, exec, s[34:35]
	v_lshrrev_b32_e32 v1, v27, v28
	v_lshlrev_b32_sdwa v2, v13, v1 dst_sel:DWORD dst_unused:UNUSED_PAD src0_sel:DWORD src1_sel:BYTE_0
	v_add_u32_e32 v34, v23, v2
	v_and_b32_e32 v2, 1, v1
	v_add_co_u32_e32 v3, vcc, -1, v2
	v_addc_co_u32_e64 v4, s[34:35], 0, -1, vcc
	v_cmp_ne_u32_e32 vcc, 0, v2
	v_lshlrev_b32_e32 v8, 30, v1
	v_xor_b32_e32 v2, vcc_hi, v4
	v_xor_b32_e32 v3, vcc_lo, v3
	v_cmp_gt_i64_e32 vcc, 0, v[7:8]
	v_not_b32_e32 v4, v8
	v_ashrrev_i32_e32 v4, 31, v4
	v_and_b32_e32 v2, exec_hi, v2
	v_xor_b32_e32 v8, vcc_hi, v4
	v_and_b32_e32 v3, exec_lo, v3
	v_xor_b32_e32 v4, vcc_lo, v4
	v_and_b32_e32 v2, v2, v8
	v_lshlrev_b32_e32 v8, 29, v1
	v_and_b32_e32 v3, v3, v4
	v_cmp_gt_i64_e32 vcc, 0, v[7:8]
	v_not_b32_e32 v4, v8
	v_ashrrev_i32_e32 v4, 31, v4
	v_xor_b32_e32 v8, vcc_hi, v4
	v_xor_b32_e32 v4, vcc_lo, v4
	v_and_b32_e32 v2, v2, v8
	v_lshlrev_b32_e32 v8, 28, v1
	v_and_b32_e32 v3, v3, v4
	v_cmp_gt_i64_e32 vcc, 0, v[7:8]
	v_not_b32_e32 v4, v8
	v_ashrrev_i32_e32 v4, 31, v4
	v_xor_b32_e32 v8, vcc_hi, v4
	;; [unrolled: 8-line block ×5, first 2 shown]
	v_and_b32_e32 v2, v2, v8
	v_lshlrev_b32_e32 v8, 24, v1
	v_xor_b32_e32 v4, vcc_lo, v4
	v_cmp_gt_i64_e32 vcc, 0, v[7:8]
	v_not_b32_e32 v1, v8
	v_ashrrev_i32_e32 v1, 31, v1
	v_and_b32_e32 v3, v3, v4
	v_xor_b32_e32 v4, vcc_hi, v1
	v_xor_b32_e32 v1, vcc_lo, v1
	; wave barrier
	ds_read_b32 v33, v34 offset:8
	v_and_b32_e32 v1, v3, v1
	v_and_b32_e32 v2, v2, v4
	v_mbcnt_lo_u32_b32 v3, v1, 0
	v_mbcnt_hi_u32_b32 v35, v2, v3
	v_cmp_ne_u64_e32 vcc, 0, v[1:2]
	v_cmp_eq_u32_e64 s[34:35], 0, v35
	s_and_b64 s[44:45], vcc, s[34:35]
	; wave barrier
	s_and_saveexec_b64 s[34:35], s[44:45]
	s_cbranch_execz .LBB205_10
; %bb.9:                                ;   in Loop: Header=BB205_4 Depth=2
	v_bcnt_u32_b32 v1, v1, 0
	v_bcnt_u32_b32 v1, v2, v1
	s_waitcnt lgkmcnt(0)
	v_add_u32_e32 v1, v33, v1
	ds_write_b32 v34, v1 offset:8
.LBB205_10:                             ;   in Loop: Header=BB205_4 Depth=2
	s_or_b64 exec, exec, s[34:35]
	v_lshrrev_b32_e32 v1, v27, v26
	v_lshlrev_b32_sdwa v2, v13, v1 dst_sel:DWORD dst_unused:UNUSED_PAD src0_sel:DWORD src1_sel:BYTE_0
	v_add_u32_e32 v37, v23, v2
	v_and_b32_e32 v2, 1, v1
	v_add_co_u32_e32 v3, vcc, -1, v2
	v_addc_co_u32_e64 v4, s[34:35], 0, -1, vcc
	v_cmp_ne_u32_e32 vcc, 0, v2
	v_lshlrev_b32_e32 v8, 30, v1
	v_xor_b32_e32 v2, vcc_hi, v4
	v_xor_b32_e32 v3, vcc_lo, v3
	v_cmp_gt_i64_e32 vcc, 0, v[7:8]
	v_not_b32_e32 v4, v8
	v_ashrrev_i32_e32 v4, 31, v4
	v_and_b32_e32 v2, exec_hi, v2
	v_xor_b32_e32 v8, vcc_hi, v4
	v_and_b32_e32 v3, exec_lo, v3
	v_xor_b32_e32 v4, vcc_lo, v4
	v_and_b32_e32 v2, v2, v8
	v_lshlrev_b32_e32 v8, 29, v1
	v_and_b32_e32 v3, v3, v4
	v_cmp_gt_i64_e32 vcc, 0, v[7:8]
	v_not_b32_e32 v4, v8
	v_ashrrev_i32_e32 v4, 31, v4
	v_xor_b32_e32 v8, vcc_hi, v4
	v_xor_b32_e32 v4, vcc_lo, v4
	v_and_b32_e32 v2, v2, v8
	v_lshlrev_b32_e32 v8, 28, v1
	v_and_b32_e32 v3, v3, v4
	v_cmp_gt_i64_e32 vcc, 0, v[7:8]
	v_not_b32_e32 v4, v8
	v_ashrrev_i32_e32 v4, 31, v4
	v_xor_b32_e32 v8, vcc_hi, v4
	;; [unrolled: 8-line block ×5, first 2 shown]
	v_and_b32_e32 v2, v2, v8
	v_lshlrev_b32_e32 v8, 24, v1
	v_xor_b32_e32 v4, vcc_lo, v4
	v_cmp_gt_i64_e32 vcc, 0, v[7:8]
	v_not_b32_e32 v1, v8
	v_ashrrev_i32_e32 v1, 31, v1
	v_and_b32_e32 v3, v3, v4
	v_xor_b32_e32 v4, vcc_hi, v1
	v_xor_b32_e32 v1, vcc_lo, v1
	; wave barrier
	ds_read_b32 v36, v37 offset:8
	v_and_b32_e32 v1, v3, v1
	v_and_b32_e32 v2, v2, v4
	v_mbcnt_lo_u32_b32 v3, v1, 0
	v_mbcnt_hi_u32_b32 v8, v2, v3
	v_cmp_ne_u64_e32 vcc, 0, v[1:2]
	v_cmp_eq_u32_e64 s[34:35], 0, v8
	s_and_b64 s[44:45], vcc, s[34:35]
	; wave barrier
	s_and_saveexec_b64 s[34:35], s[44:45]
	s_cbranch_execz .LBB205_12
; %bb.11:                               ;   in Loop: Header=BB205_4 Depth=2
	v_bcnt_u32_b32 v1, v1, 0
	v_bcnt_u32_b32 v1, v2, v1
	s_waitcnt lgkmcnt(0)
	v_add_u32_e32 v1, v36, v1
	ds_write_b32 v37, v1 offset:8
.LBB205_12:                             ;   in Loop: Header=BB205_4 Depth=2
	s_or_b64 exec, exec, s[34:35]
	; wave barrier
	s_waitcnt lgkmcnt(0)
	s_barrier
	ds_read2_b64 v[1:4], v12 offset0:1 offset1:2
	s_waitcnt lgkmcnt(0)
	v_add_u32_e32 v38, v2, v1
	v_add3_u32 v4, v38, v3, v4
	s_nop 1
	v_mov_b32_dpp v38, v4 row_shr:1 row_mask:0xf bank_mask:0xf
	v_cndmask_b32_e64 v38, v38, 0, s[20:21]
	v_add_u32_e32 v4, v38, v4
	s_nop 1
	v_mov_b32_dpp v38, v4 row_shr:2 row_mask:0xf bank_mask:0xf
	v_cndmask_b32_e64 v38, 0, v38, s[22:23]
	v_add_u32_e32 v4, v4, v38
	;; [unrolled: 4-line block ×4, first 2 shown]
	s_nop 1
	v_mov_b32_dpp v38, v4 row_bcast:15 row_mask:0xf bank_mask:0xf
	v_cndmask_b32_e64 v38, v38, 0, s[28:29]
	v_add_u32_e32 v4, v4, v38
	s_nop 1
	v_mov_b32_dpp v38, v4 row_bcast:31 row_mask:0xf bank_mask:0xf
	v_cndmask_b32_e64 v38, 0, v38, s[6:7]
	v_add_u32_e32 v4, v4, v38
	s_and_saveexec_b64 s[34:35], s[8:9]
; %bb.13:                               ;   in Loop: Header=BB205_4 Depth=2
	ds_write_b32 v15, v4
; %bb.14:                               ;   in Loop: Header=BB205_4 Depth=2
	s_or_b64 exec, exec, s[34:35]
	s_waitcnt lgkmcnt(0)
	s_barrier
	s_and_saveexec_b64 s[34:35], s[0:1]
	s_cbranch_execz .LBB205_16
; %bb.15:                               ;   in Loop: Header=BB205_4 Depth=2
	v_add_u32_e32 v38, v12, v14
	ds_read_b32 v39, v38
	s_waitcnt lgkmcnt(0)
	s_nop 0
	v_mov_b32_dpp v40, v39 row_shr:1 row_mask:0xf bank_mask:0xf
	v_cndmask_b32_e64 v40, v40, 0, s[30:31]
	v_add_u32_e32 v39, v40, v39
	ds_write_b32 v38, v39
.LBB205_16:                             ;   in Loop: Header=BB205_4 Depth=2
	s_or_b64 exec, exec, s[34:35]
	v_mov_b32_e32 v38, 0
	s_waitcnt lgkmcnt(0)
	s_barrier
	s_and_saveexec_b64 s[34:35], s[2:3]
; %bb.17:                               ;   in Loop: Header=BB205_4 Depth=2
	ds_read_b32 v38, v16
; %bb.18:                               ;   in Loop: Header=BB205_4 Depth=2
	s_or_b64 exec, exec, s[34:35]
	s_waitcnt lgkmcnt(0)
	v_add_u32_e32 v4, v38, v4
	ds_bpermute_b32 v4, v19, v4
	v_cmp_lt_u32_e32 vcc, 23, v27
	s_and_b64 vcc, exec, vcc
	s_mov_b64 s[34:35], -1
	s_waitcnt lgkmcnt(0)
	v_cndmask_b32_e64 v4, v4, v38, s[10:11]
	v_cndmask_b32_e64 v38, v4, 0, s[4:5]
	v_add_u32_e32 v39, v38, v1
	v_add_u32_e32 v1, v39, v2
	;; [unrolled: 1-line block ×3, first 2 shown]
	ds_write2_b64 v12, v[38:39], v[1:2] offset0:1 offset1:2
	s_waitcnt lgkmcnt(0)
	s_barrier
	ds_read_b32 v1, v6 offset:8
	ds_read_b32 v2, v31 offset:8
	;; [unrolled: 1-line block ×4, first 2 shown]
	s_waitcnt lgkmcnt(3)
	v_add_u32_e32 v37, v1, v5
	s_waitcnt lgkmcnt(2)
	v_add3_u32 v34, v32, v9, v2
	s_waitcnt lgkmcnt(1)
	v_add3_u32 v32, v35, v33, v3
	;; [unrolled: 2-line block ×3, first 2 shown]
                                        ; implicit-def: $vgpr4
                                        ; implicit-def: $vgpr2
                                        ; implicit-def: $vgpr9
                                        ; implicit-def: $vgpr6
	s_cbranch_vccnz .LBB205_3
; %bb.19:                               ;   in Loop: Header=BB205_4 Depth=2
	v_lshlrev_b32_e32 v5, 2, v37
	v_lshlrev_b32_e32 v6, 2, v34
	;; [unrolled: 1-line block ×4, first 2 shown]
	s_barrier
	ds_write_b32 v5, v30
	ds_write_b32 v6, v29
	;; [unrolled: 1-line block ×4, first 2 shown]
	s_waitcnt lgkmcnt(0)
	s_barrier
	ds_read2st64_b32 v[1:2], v17 offset1:1
	ds_read2st64_b32 v[3:4], v17 offset0:2 offset1:3
	s_waitcnt lgkmcnt(0)
	s_barrier
	ds_write_b32 v5, v25
	ds_write_b32 v6, v24
	;; [unrolled: 1-line block ×4, first 2 shown]
	s_waitcnt lgkmcnt(0)
	s_barrier
	ds_read2st64_b32 v[5:6], v17 offset1:1
	ds_read2st64_b32 v[8:9], v17 offset0:2 offset1:3
	v_add_u32_e32 v27, 8, v27
	s_mov_b64 s[34:35], 0
	s_waitcnt lgkmcnt(0)
	s_barrier
	s_branch .LBB205_3
.LBB205_20:
	s_add_u32 s0, s38, s40
	s_waitcnt lgkmcnt(1)
	v_add_u32_e32 v1, v3, v10
	s_addc_u32 s1, s39, s41
	v_lshlrev_b32_e32 v0, 2, v0
	v_add_u32_e32 v2, v4, v11
	s_waitcnt lgkmcnt(0)
	v_add_u32_e32 v3, v5, v8
	v_add_u32_e32 v4, v6, v9
	global_store_dword v0, v1, s[0:1]
	global_store_dword v0, v2, s[0:1] offset:512
	global_store_dword v0, v3, s[0:1] offset:1024
	;; [unrolled: 1-line block ×3, first 2 shown]
	s_endpgm
	.section	.rodata,"a",@progbits
	.p2align	6, 0x0
	.amdhsa_kernel _Z17sort_pairs_kernelI22helper_blocked_stripediLj128ELj4ELj10EEvPKT0_PS1_
		.amdhsa_group_segment_fixed_size 2064
		.amdhsa_private_segment_fixed_size 0
		.amdhsa_kernarg_size 272
		.amdhsa_user_sgpr_count 6
		.amdhsa_user_sgpr_private_segment_buffer 1
		.amdhsa_user_sgpr_dispatch_ptr 0
		.amdhsa_user_sgpr_queue_ptr 0
		.amdhsa_user_sgpr_kernarg_segment_ptr 1
		.amdhsa_user_sgpr_dispatch_id 0
		.amdhsa_user_sgpr_flat_scratch_init 0
		.amdhsa_user_sgpr_private_segment_size 0
		.amdhsa_uses_dynamic_stack 0
		.amdhsa_system_sgpr_private_segment_wavefront_offset 0
		.amdhsa_system_sgpr_workgroup_id_x 1
		.amdhsa_system_sgpr_workgroup_id_y 0
		.amdhsa_system_sgpr_workgroup_id_z 0
		.amdhsa_system_sgpr_workgroup_info 0
		.amdhsa_system_vgpr_workitem_id 2
		.amdhsa_next_free_vgpr 41
		.amdhsa_next_free_sgpr 61
		.amdhsa_reserve_vcc 1
		.amdhsa_reserve_flat_scratch 0
		.amdhsa_float_round_mode_32 0
		.amdhsa_float_round_mode_16_64 0
		.amdhsa_float_denorm_mode_32 3
		.amdhsa_float_denorm_mode_16_64 3
		.amdhsa_dx10_clamp 1
		.amdhsa_ieee_mode 1
		.amdhsa_fp16_overflow 0
		.amdhsa_exception_fp_ieee_invalid_op 0
		.amdhsa_exception_fp_denorm_src 0
		.amdhsa_exception_fp_ieee_div_zero 0
		.amdhsa_exception_fp_ieee_overflow 0
		.amdhsa_exception_fp_ieee_underflow 0
		.amdhsa_exception_fp_ieee_inexact 0
		.amdhsa_exception_int_div_zero 0
	.end_amdhsa_kernel
	.section	.text._Z17sort_pairs_kernelI22helper_blocked_stripediLj128ELj4ELj10EEvPKT0_PS1_,"axG",@progbits,_Z17sort_pairs_kernelI22helper_blocked_stripediLj128ELj4ELj10EEvPKT0_PS1_,comdat
.Lfunc_end205:
	.size	_Z17sort_pairs_kernelI22helper_blocked_stripediLj128ELj4ELj10EEvPKT0_PS1_, .Lfunc_end205-_Z17sort_pairs_kernelI22helper_blocked_stripediLj128ELj4ELj10EEvPKT0_PS1_
                                        ; -- End function
	.set _Z17sort_pairs_kernelI22helper_blocked_stripediLj128ELj4ELj10EEvPKT0_PS1_.num_vgpr, 41
	.set _Z17sort_pairs_kernelI22helper_blocked_stripediLj128ELj4ELj10EEvPKT0_PS1_.num_agpr, 0
	.set _Z17sort_pairs_kernelI22helper_blocked_stripediLj128ELj4ELj10EEvPKT0_PS1_.numbered_sgpr, 46
	.set _Z17sort_pairs_kernelI22helper_blocked_stripediLj128ELj4ELj10EEvPKT0_PS1_.num_named_barrier, 0
	.set _Z17sort_pairs_kernelI22helper_blocked_stripediLj128ELj4ELj10EEvPKT0_PS1_.private_seg_size, 0
	.set _Z17sort_pairs_kernelI22helper_blocked_stripediLj128ELj4ELj10EEvPKT0_PS1_.uses_vcc, 1
	.set _Z17sort_pairs_kernelI22helper_blocked_stripediLj128ELj4ELj10EEvPKT0_PS1_.uses_flat_scratch, 0
	.set _Z17sort_pairs_kernelI22helper_blocked_stripediLj128ELj4ELj10EEvPKT0_PS1_.has_dyn_sized_stack, 0
	.set _Z17sort_pairs_kernelI22helper_blocked_stripediLj128ELj4ELj10EEvPKT0_PS1_.has_recursion, 0
	.set _Z17sort_pairs_kernelI22helper_blocked_stripediLj128ELj4ELj10EEvPKT0_PS1_.has_indirect_call, 0
	.section	.AMDGPU.csdata,"",@progbits
; Kernel info:
; codeLenInByte = 3416
; TotalNumSgprs: 50
; NumVgprs: 41
; ScratchSize: 0
; MemoryBound: 0
; FloatMode: 240
; IeeeMode: 1
; LDSByteSize: 2064 bytes/workgroup (compile time only)
; SGPRBlocks: 8
; VGPRBlocks: 10
; NumSGPRsForWavesPerEU: 65
; NumVGPRsForWavesPerEU: 41
; Occupancy: 5
; WaveLimiterHint : 1
; COMPUTE_PGM_RSRC2:SCRATCH_EN: 0
; COMPUTE_PGM_RSRC2:USER_SGPR: 6
; COMPUTE_PGM_RSRC2:TRAP_HANDLER: 0
; COMPUTE_PGM_RSRC2:TGID_X_EN: 1
; COMPUTE_PGM_RSRC2:TGID_Y_EN: 0
; COMPUTE_PGM_RSRC2:TGID_Z_EN: 0
; COMPUTE_PGM_RSRC2:TIDIG_COMP_CNT: 2
	.section	.text._Z16sort_keys_kernelI22helper_blocked_stripediLj128ELj8ELj10EEvPKT0_PS1_,"axG",@progbits,_Z16sort_keys_kernelI22helper_blocked_stripediLj128ELj8ELj10EEvPKT0_PS1_,comdat
	.protected	_Z16sort_keys_kernelI22helper_blocked_stripediLj128ELj8ELj10EEvPKT0_PS1_ ; -- Begin function _Z16sort_keys_kernelI22helper_blocked_stripediLj128ELj8ELj10EEvPKT0_PS1_
	.globl	_Z16sort_keys_kernelI22helper_blocked_stripediLj128ELj8ELj10EEvPKT0_PS1_
	.p2align	8
	.type	_Z16sort_keys_kernelI22helper_blocked_stripediLj128ELj8ELj10EEvPKT0_PS1_,@function
_Z16sort_keys_kernelI22helper_blocked_stripediLj128ELj8ELj10EEvPKT0_PS1_: ; @_Z16sort_keys_kernelI22helper_blocked_stripediLj128ELj8ELj10EEvPKT0_PS1_
; %bb.0:
	s_load_dwordx4 s[24:27], s[4:5], 0x0
	s_load_dword s2, s[4:5], 0x1c
	s_lshl_b32 s28, s6, 10
	s_mov_b32 s29, 0
	s_lshl_b64 s[30:31], s[28:29], 2
	s_waitcnt lgkmcnt(0)
	s_add_u32 s0, s24, s30
	s_addc_u32 s1, s25, s31
	v_lshlrev_b32_e32 v11, 5, v0
	global_load_dwordx4 v[3:6], v11, s[0:1]
	global_load_dwordx4 v[7:10], v11, s[0:1] offset:16
	v_mbcnt_lo_u32_b32 v12, -1, 0
	v_mbcnt_hi_u32_b32 v12, -1, v12
	s_lshr_b32 s0, s2, 16
	s_and_b32 s1, s2, 0xffff
	v_mad_u32_u24 v1, v2, s0, v1
	v_and_b32_e32 v2, 15, v12
	v_and_b32_e32 v13, 64, v0
	v_mad_u32_u24 v1, v1, s1, v0
	v_cmp_eq_u32_e64 s[0:1], 0, v2
	v_cmp_lt_u32_e64 s[2:3], 1, v2
	v_cmp_lt_u32_e64 s[4:5], 3, v2
	;; [unrolled: 1-line block ×3, first 2 shown]
	v_and_b32_e32 v2, 16, v12
	v_and_b32_e32 v11, 0x800, v11
	v_cmp_eq_u32_e64 s[8:9], 0, v2
	v_or_b32_e32 v2, 63, v13
	v_lshl_or_b32 v18, v12, 2, v11
	v_cmp_eq_u32_e64 s[12:13], v0, v2
	v_subrev_co_u32_e64 v2, s[18:19], 1, v12
	v_and_b32_e32 v11, 64, v12
	v_cmp_lt_i32_e32 vcc, v2, v11
	v_cndmask_b32_e32 v2, v2, v12, vcc
	v_lshlrev_b32_e32 v20, 2, v2
	v_lshrrev_b32_e32 v2, 4, v0
	s_mov_b32 s28, s29
	s_mov_b32 s24, s29
	v_add_lshl_u32 v17, v12, v13, 5
	v_cmp_lt_u32_e64 s[10:11], 31, v12
	v_and_b32_e32 v21, 4, v2
	v_and_b32_e32 v2, 1, v12
	v_lshrrev_b32_e32 v1, 4, v1
	s_mov_b32 s25, s29
	v_mov_b32_e32 v11, s28
	v_mov_b32_e32 v13, s24
	v_lshlrev_b32_e32 v19, 4, v0
	v_cmp_gt_u32_e64 s[14:15], 2, v0
	v_cmp_lt_u32_e64 s[16:17], 63, v0
	v_cmp_eq_u32_e64 s[20:21], 0, v0
	v_mul_i32_i24_e32 v22, -12, v0
	v_cmp_eq_u32_e64 s[22:23], 0, v2
	v_add_u32_e32 v23, -4, v21
	v_and_b32_e32 v24, 0xffffffc, v1
	v_mov_b32_e32 v12, s29
	v_mov_b32_e32 v14, s25
	;; [unrolled: 1-line block ×4, first 2 shown]
	s_branch .LBB206_2
.LBB206_1:                              ;   in Loop: Header=BB206_2 Depth=1
	v_lshlrev_b32_e32 v1, 2, v44
	s_barrier
	ds_write_b32 v1, v32
	v_lshlrev_b32_e32 v1, 2, v41
	ds_write_b32 v1, v31
	v_lshlrev_b32_e32 v1, 2, v38
	;; [unrolled: 2-line block ×7, first 2 shown]
	v_add_u32_e32 v3, v19, v22
	ds_write_b32 v1, v9
	s_waitcnt lgkmcnt(0)
	s_barrier
	ds_read2st64_b32 v[1:2], v3 offset1:2
	ds_read2st64_b32 v[5:6], v3 offset0:4 offset1:6
	ds_read2st64_b32 v[7:8], v3 offset0:8 offset1:10
	;; [unrolled: 1-line block ×3, first 2 shown]
	s_add_i32 s29, s29, 1
	s_waitcnt lgkmcnt(3)
	v_xor_b32_e32 v3, 0x80000000, v1
	v_xor_b32_e32 v4, 0x80000000, v2
	s_waitcnt lgkmcnt(2)
	v_xor_b32_e32 v5, 0x80000000, v5
	v_xor_b32_e32 v6, 0x80000000, v6
	;; [unrolled: 3-line block ×3, first 2 shown]
	s_waitcnt lgkmcnt(0)
	v_xor_b32_e32 v9, 0x80000000, v9
	s_cmp_eq_u32 s29, 10
	v_xor_b32_e32 v10, 0x80000000, v10
	s_cbranch_scc1 .LBB206_28
.LBB206_2:                              ; =>This Loop Header: Depth=1
                                        ;     Child Loop BB206_4 Depth 2
	s_waitcnt vmcnt(1)
	v_xor_b32_e32 v1, 0x80000000, v3
	v_xor_b32_e32 v2, 0x80000000, v4
	;; [unrolled: 1-line block ×4, first 2 shown]
	s_waitcnt vmcnt(0)
	v_xor_b32_e32 v5, 0x80000000, v7
	v_xor_b32_e32 v6, 0x80000000, v8
	;; [unrolled: 1-line block ×4, first 2 shown]
	ds_write2_b64 v17, v[1:2], v[3:4] offset1:1
	ds_write2_b64 v17, v[5:6], v[7:8] offset0:2 offset1:3
	; wave barrier
	ds_read2st64_b32 v[1:2], v18 offset1:1
	ds_read2st64_b32 v[3:4], v18 offset0:2 offset1:3
	ds_read2st64_b32 v[5:6], v18 offset0:4 offset1:5
	;; [unrolled: 1-line block ×3, first 2 shown]
	v_mov_b32_e32 v28, v15
	s_waitcnt lgkmcnt(0)
	s_barrier
	; wave barrier
	s_barrier
	s_branch .LBB206_4
.LBB206_3:                              ;   in Loop: Header=BB206_4 Depth=2
	s_andn2_b64 vcc, exec, s[24:25]
	s_cbranch_vccz .LBB206_1
.LBB206_4:                              ;   Parent Loop BB206_2 Depth=1
                                        ; =>  This Inner Loop Header: Depth=2
	v_mov_b32_e32 v32, v1
	v_lshrrev_b32_e32 v1, v28, v32
	v_mov_b32_e32 v31, v2
	v_and_b32_e32 v2, 1, v1
	v_mov_b32_e32 v29, v4
	v_add_co_u32_e32 v4, vcc, -1, v2
	v_mov_b32_e32 v27, v5
	v_addc_co_u32_e64 v5, s[24:25], 0, -1, vcc
	v_cmp_ne_u32_e32 vcc, 0, v2
	v_lshlrev_b32_e32 v16, 30, v1
	v_xor_b32_e32 v2, vcc_hi, v5
	v_xor_b32_e32 v4, vcc_lo, v4
	v_cmp_gt_i64_e32 vcc, 0, v[15:16]
	v_not_b32_e32 v5, v16
	v_ashrrev_i32_e32 v5, 31, v5
	v_mov_b32_e32 v26, v6
	v_and_b32_e32 v4, exec_lo, v4
	v_xor_b32_e32 v6, vcc_hi, v5
	v_xor_b32_e32 v5, vcc_lo, v5
	v_lshlrev_b32_e32 v16, 29, v1
	v_and_b32_e32 v4, v4, v5
	v_cmp_gt_i64_e32 vcc, 0, v[15:16]
	v_not_b32_e32 v5, v16
	v_and_b32_e32 v2, exec_hi, v2
	v_ashrrev_i32_e32 v5, 31, v5
	v_and_b32_e32 v2, v2, v6
	v_xor_b32_e32 v6, vcc_hi, v5
	v_xor_b32_e32 v5, vcc_lo, v5
	v_lshlrev_b32_e32 v16, 28, v1
	v_and_b32_e32 v4, v4, v5
	v_cmp_gt_i64_e32 vcc, 0, v[15:16]
	v_not_b32_e32 v5, v16
	v_ashrrev_i32_e32 v5, 31, v5
	v_and_b32_e32 v2, v2, v6
	v_xor_b32_e32 v6, vcc_hi, v5
	v_xor_b32_e32 v5, vcc_lo, v5
	v_lshlrev_b32_e32 v16, 27, v1
	v_and_b32_e32 v4, v4, v5
	v_cmp_gt_i64_e32 vcc, 0, v[15:16]
	v_not_b32_e32 v5, v16
	;; [unrolled: 8-line block ×4, first 2 shown]
	v_ashrrev_i32_e32 v5, 31, v5
	v_lshlrev_b32_e32 v16, 24, v1
	v_mov_b32_e32 v30, v3
	v_lshlrev_b32_sdwa v3, v25, v1 dst_sel:DWORD dst_unused:UNUSED_PAD src0_sel:DWORD src1_sel:BYTE_0
	v_and_b32_e32 v2, v2, v6
	v_xor_b32_e32 v6, vcc_hi, v5
	v_xor_b32_e32 v5, vcc_lo, v5
	v_cmp_gt_i64_e32 vcc, 0, v[15:16]
	v_not_b32_e32 v1, v16
	v_ashrrev_i32_e32 v1, 31, v1
	v_and_b32_e32 v4, v4, v5
	v_xor_b32_e32 v5, vcc_hi, v1
	v_xor_b32_e32 v1, vcc_lo, v1
	v_and_b32_e32 v2, v2, v6
	v_and_b32_e32 v1, v4, v1
	v_and_b32_e32 v2, v2, v5
	v_mbcnt_lo_u32_b32 v4, v1, 0
	v_mbcnt_hi_u32_b32 v5, v2, v4
	v_cmp_ne_u64_e32 vcc, 0, v[1:2]
	v_cmp_eq_u32_e64 s[24:25], 0, v5
	v_mov_b32_e32 v9, v8
	v_mov_b32_e32 v10, v7
	s_and_b64 s[34:35], vcc, s[24:25]
	v_add_u32_e32 v6, v24, v3
	ds_write2_b64 v19, v[11:12], v[13:14] offset0:1 offset1:2
	s_waitcnt lgkmcnt(0)
	s_barrier
	; wave barrier
	s_and_saveexec_b64 s[24:25], s[34:35]
; %bb.5:                                ;   in Loop: Header=BB206_4 Depth=2
	v_bcnt_u32_b32 v1, v1, 0
	v_bcnt_u32_b32 v1, v2, v1
	ds_write_b32 v6, v1 offset:8
; %bb.6:                                ;   in Loop: Header=BB206_4 Depth=2
	s_or_b64 exec, exec, s[24:25]
	v_lshrrev_b32_e32 v1, v28, v31
	v_lshlrev_b32_sdwa v2, v25, v1 dst_sel:DWORD dst_unused:UNUSED_PAD src0_sel:DWORD src1_sel:BYTE_0
	v_add_u32_e32 v8, v24, v2
	v_and_b32_e32 v2, 1, v1
	v_add_co_u32_e32 v3, vcc, -1, v2
	v_addc_co_u32_e64 v4, s[24:25], 0, -1, vcc
	v_cmp_ne_u32_e32 vcc, 0, v2
	v_lshlrev_b32_e32 v16, 30, v1
	v_xor_b32_e32 v2, vcc_hi, v4
	v_xor_b32_e32 v3, vcc_lo, v3
	v_cmp_gt_i64_e32 vcc, 0, v[15:16]
	v_not_b32_e32 v4, v16
	v_ashrrev_i32_e32 v4, 31, v4
	v_and_b32_e32 v2, exec_hi, v2
	v_xor_b32_e32 v16, vcc_hi, v4
	v_and_b32_e32 v3, exec_lo, v3
	v_xor_b32_e32 v4, vcc_lo, v4
	v_and_b32_e32 v2, v2, v16
	v_lshlrev_b32_e32 v16, 29, v1
	v_and_b32_e32 v3, v3, v4
	v_cmp_gt_i64_e32 vcc, 0, v[15:16]
	v_not_b32_e32 v4, v16
	v_ashrrev_i32_e32 v4, 31, v4
	v_xor_b32_e32 v16, vcc_hi, v4
	v_xor_b32_e32 v4, vcc_lo, v4
	v_and_b32_e32 v2, v2, v16
	v_lshlrev_b32_e32 v16, 28, v1
	v_and_b32_e32 v3, v3, v4
	v_cmp_gt_i64_e32 vcc, 0, v[15:16]
	v_not_b32_e32 v4, v16
	v_ashrrev_i32_e32 v4, 31, v4
	v_xor_b32_e32 v16, vcc_hi, v4
	;; [unrolled: 8-line block ×5, first 2 shown]
	v_and_b32_e32 v2, v2, v16
	v_lshlrev_b32_e32 v16, 24, v1
	v_xor_b32_e32 v4, vcc_lo, v4
	v_cmp_gt_i64_e32 vcc, 0, v[15:16]
	v_not_b32_e32 v1, v16
	v_ashrrev_i32_e32 v1, 31, v1
	v_and_b32_e32 v3, v3, v4
	v_xor_b32_e32 v4, vcc_hi, v1
	v_xor_b32_e32 v1, vcc_lo, v1
	; wave barrier
	ds_read_b32 v7, v8 offset:8
	v_and_b32_e32 v1, v3, v1
	v_and_b32_e32 v2, v2, v4
	v_mbcnt_lo_u32_b32 v3, v1, 0
	v_mbcnt_hi_u32_b32 v33, v2, v3
	v_cmp_ne_u64_e32 vcc, 0, v[1:2]
	v_cmp_eq_u32_e64 s[24:25], 0, v33
	s_and_b64 s[34:35], vcc, s[24:25]
	; wave barrier
	s_and_saveexec_b64 s[24:25], s[34:35]
	s_cbranch_execz .LBB206_8
; %bb.7:                                ;   in Loop: Header=BB206_4 Depth=2
	v_bcnt_u32_b32 v1, v1, 0
	v_bcnt_u32_b32 v1, v2, v1
	s_waitcnt lgkmcnt(0)
	v_add_u32_e32 v1, v7, v1
	ds_write_b32 v8, v1 offset:8
.LBB206_8:                              ;   in Loop: Header=BB206_4 Depth=2
	s_or_b64 exec, exec, s[24:25]
	v_lshrrev_b32_e32 v1, v28, v30
	v_lshlrev_b32_sdwa v2, v25, v1 dst_sel:DWORD dst_unused:UNUSED_PAD src0_sel:DWORD src1_sel:BYTE_0
	v_add_u32_e32 v35, v24, v2
	v_and_b32_e32 v2, 1, v1
	v_add_co_u32_e32 v3, vcc, -1, v2
	v_addc_co_u32_e64 v4, s[24:25], 0, -1, vcc
	v_cmp_ne_u32_e32 vcc, 0, v2
	v_lshlrev_b32_e32 v16, 30, v1
	v_xor_b32_e32 v2, vcc_hi, v4
	v_xor_b32_e32 v3, vcc_lo, v3
	v_cmp_gt_i64_e32 vcc, 0, v[15:16]
	v_not_b32_e32 v4, v16
	v_ashrrev_i32_e32 v4, 31, v4
	v_and_b32_e32 v2, exec_hi, v2
	v_xor_b32_e32 v16, vcc_hi, v4
	v_and_b32_e32 v3, exec_lo, v3
	v_xor_b32_e32 v4, vcc_lo, v4
	v_and_b32_e32 v2, v2, v16
	v_lshlrev_b32_e32 v16, 29, v1
	v_and_b32_e32 v3, v3, v4
	v_cmp_gt_i64_e32 vcc, 0, v[15:16]
	v_not_b32_e32 v4, v16
	v_ashrrev_i32_e32 v4, 31, v4
	v_xor_b32_e32 v16, vcc_hi, v4
	v_xor_b32_e32 v4, vcc_lo, v4
	v_and_b32_e32 v2, v2, v16
	v_lshlrev_b32_e32 v16, 28, v1
	v_and_b32_e32 v3, v3, v4
	v_cmp_gt_i64_e32 vcc, 0, v[15:16]
	v_not_b32_e32 v4, v16
	v_ashrrev_i32_e32 v4, 31, v4
	v_xor_b32_e32 v16, vcc_hi, v4
	;; [unrolled: 8-line block ×5, first 2 shown]
	v_and_b32_e32 v2, v2, v16
	v_lshlrev_b32_e32 v16, 24, v1
	v_xor_b32_e32 v4, vcc_lo, v4
	v_cmp_gt_i64_e32 vcc, 0, v[15:16]
	v_not_b32_e32 v1, v16
	v_ashrrev_i32_e32 v1, 31, v1
	v_and_b32_e32 v3, v3, v4
	v_xor_b32_e32 v4, vcc_hi, v1
	v_xor_b32_e32 v1, vcc_lo, v1
	; wave barrier
	ds_read_b32 v34, v35 offset:8
	v_and_b32_e32 v1, v3, v1
	v_and_b32_e32 v2, v2, v4
	v_mbcnt_lo_u32_b32 v3, v1, 0
	v_mbcnt_hi_u32_b32 v36, v2, v3
	v_cmp_ne_u64_e32 vcc, 0, v[1:2]
	v_cmp_eq_u32_e64 s[24:25], 0, v36
	s_and_b64 s[34:35], vcc, s[24:25]
	; wave barrier
	s_and_saveexec_b64 s[24:25], s[34:35]
	s_cbranch_execz .LBB206_10
; %bb.9:                                ;   in Loop: Header=BB206_4 Depth=2
	v_bcnt_u32_b32 v1, v1, 0
	v_bcnt_u32_b32 v1, v2, v1
	s_waitcnt lgkmcnt(0)
	v_add_u32_e32 v1, v34, v1
	ds_write_b32 v35, v1 offset:8
.LBB206_10:                             ;   in Loop: Header=BB206_4 Depth=2
	s_or_b64 exec, exec, s[24:25]
	v_lshrrev_b32_e32 v1, v28, v29
	v_lshlrev_b32_sdwa v2, v25, v1 dst_sel:DWORD dst_unused:UNUSED_PAD src0_sel:DWORD src1_sel:BYTE_0
	v_add_u32_e32 v38, v24, v2
	v_and_b32_e32 v2, 1, v1
	v_add_co_u32_e32 v3, vcc, -1, v2
	v_addc_co_u32_e64 v4, s[24:25], 0, -1, vcc
	v_cmp_ne_u32_e32 vcc, 0, v2
	v_lshlrev_b32_e32 v16, 30, v1
	v_xor_b32_e32 v2, vcc_hi, v4
	v_xor_b32_e32 v3, vcc_lo, v3
	v_cmp_gt_i64_e32 vcc, 0, v[15:16]
	v_not_b32_e32 v4, v16
	v_ashrrev_i32_e32 v4, 31, v4
	v_and_b32_e32 v2, exec_hi, v2
	v_xor_b32_e32 v16, vcc_hi, v4
	v_and_b32_e32 v3, exec_lo, v3
	v_xor_b32_e32 v4, vcc_lo, v4
	v_and_b32_e32 v2, v2, v16
	v_lshlrev_b32_e32 v16, 29, v1
	v_and_b32_e32 v3, v3, v4
	v_cmp_gt_i64_e32 vcc, 0, v[15:16]
	v_not_b32_e32 v4, v16
	v_ashrrev_i32_e32 v4, 31, v4
	v_xor_b32_e32 v16, vcc_hi, v4
	v_xor_b32_e32 v4, vcc_lo, v4
	v_and_b32_e32 v2, v2, v16
	v_lshlrev_b32_e32 v16, 28, v1
	v_and_b32_e32 v3, v3, v4
	v_cmp_gt_i64_e32 vcc, 0, v[15:16]
	v_not_b32_e32 v4, v16
	v_ashrrev_i32_e32 v4, 31, v4
	v_xor_b32_e32 v16, vcc_hi, v4
	v_xor_b32_e32 v4, vcc_lo, v4
	v_and_b32_e32 v2, v2, v16
	v_lshlrev_b32_e32 v16, 27, v1
	v_and_b32_e32 v3, v3, v4
	v_cmp_gt_i64_e32 vcc, 0, v[15:16]
	v_not_b32_e32 v4, v16
	v_ashrrev_i32_e32 v4, 31, v4
	v_xor_b32_e32 v16, vcc_hi, v4
	v_xor_b32_e32 v4, vcc_lo, v4
	v_and_b32_e32 v2, v2, v16
	v_lshlrev_b32_e32 v16, 26, v1
	v_and_b32_e32 v3, v3, v4
	v_cmp_gt_i64_e32 vcc, 0, v[15:16]
	v_not_b32_e32 v4, v16
	v_ashrrev_i32_e32 v4, 31, v4
	v_xor_b32_e32 v16, vcc_hi, v4
	v_xor_b32_e32 v4, vcc_lo, v4
	v_and_b32_e32 v2, v2, v16
	v_lshlrev_b32_e32 v16, 25, v1
	v_and_b32_e32 v3, v3, v4
	v_cmp_gt_i64_e32 vcc, 0, v[15:16]
	v_not_b32_e32 v4, v16
	v_ashrrev_i32_e32 v4, 31, v4
	v_xor_b32_e32 v16, vcc_hi, v4
	v_and_b32_e32 v2, v2, v16
	v_lshlrev_b32_e32 v16, 24, v1
	v_xor_b32_e32 v4, vcc_lo, v4
	v_cmp_gt_i64_e32 vcc, 0, v[15:16]
	v_not_b32_e32 v1, v16
	v_ashrrev_i32_e32 v1, 31, v1
	v_and_b32_e32 v3, v3, v4
	v_xor_b32_e32 v4, vcc_hi, v1
	v_xor_b32_e32 v1, vcc_lo, v1
	; wave barrier
	ds_read_b32 v37, v38 offset:8
	v_and_b32_e32 v1, v3, v1
	v_and_b32_e32 v2, v2, v4
	v_mbcnt_lo_u32_b32 v3, v1, 0
	v_mbcnt_hi_u32_b32 v39, v2, v3
	v_cmp_ne_u64_e32 vcc, 0, v[1:2]
	v_cmp_eq_u32_e64 s[24:25], 0, v39
	s_and_b64 s[34:35], vcc, s[24:25]
	; wave barrier
	s_and_saveexec_b64 s[24:25], s[34:35]
	s_cbranch_execz .LBB206_12
; %bb.11:                               ;   in Loop: Header=BB206_4 Depth=2
	v_bcnt_u32_b32 v1, v1, 0
	v_bcnt_u32_b32 v1, v2, v1
	s_waitcnt lgkmcnt(0)
	v_add_u32_e32 v1, v37, v1
	ds_write_b32 v38, v1 offset:8
.LBB206_12:                             ;   in Loop: Header=BB206_4 Depth=2
	s_or_b64 exec, exec, s[24:25]
	v_lshrrev_b32_e32 v1, v28, v27
	v_lshlrev_b32_sdwa v2, v25, v1 dst_sel:DWORD dst_unused:UNUSED_PAD src0_sel:DWORD src1_sel:BYTE_0
	v_add_u32_e32 v41, v24, v2
	v_and_b32_e32 v2, 1, v1
	v_add_co_u32_e32 v3, vcc, -1, v2
	v_addc_co_u32_e64 v4, s[24:25], 0, -1, vcc
	v_cmp_ne_u32_e32 vcc, 0, v2
	v_lshlrev_b32_e32 v16, 30, v1
	v_xor_b32_e32 v2, vcc_hi, v4
	v_xor_b32_e32 v3, vcc_lo, v3
	v_cmp_gt_i64_e32 vcc, 0, v[15:16]
	v_not_b32_e32 v4, v16
	v_ashrrev_i32_e32 v4, 31, v4
	v_and_b32_e32 v2, exec_hi, v2
	v_xor_b32_e32 v16, vcc_hi, v4
	v_and_b32_e32 v3, exec_lo, v3
	v_xor_b32_e32 v4, vcc_lo, v4
	v_and_b32_e32 v2, v2, v16
	v_lshlrev_b32_e32 v16, 29, v1
	v_and_b32_e32 v3, v3, v4
	v_cmp_gt_i64_e32 vcc, 0, v[15:16]
	v_not_b32_e32 v4, v16
	v_ashrrev_i32_e32 v4, 31, v4
	v_xor_b32_e32 v16, vcc_hi, v4
	v_xor_b32_e32 v4, vcc_lo, v4
	v_and_b32_e32 v2, v2, v16
	v_lshlrev_b32_e32 v16, 28, v1
	v_and_b32_e32 v3, v3, v4
	v_cmp_gt_i64_e32 vcc, 0, v[15:16]
	v_not_b32_e32 v4, v16
	v_ashrrev_i32_e32 v4, 31, v4
	v_xor_b32_e32 v16, vcc_hi, v4
	;; [unrolled: 8-line block ×5, first 2 shown]
	v_and_b32_e32 v2, v2, v16
	v_lshlrev_b32_e32 v16, 24, v1
	v_xor_b32_e32 v4, vcc_lo, v4
	v_cmp_gt_i64_e32 vcc, 0, v[15:16]
	v_not_b32_e32 v1, v16
	v_ashrrev_i32_e32 v1, 31, v1
	v_and_b32_e32 v3, v3, v4
	v_xor_b32_e32 v4, vcc_hi, v1
	v_xor_b32_e32 v1, vcc_lo, v1
	; wave barrier
	ds_read_b32 v40, v41 offset:8
	v_and_b32_e32 v1, v3, v1
	v_and_b32_e32 v2, v2, v4
	v_mbcnt_lo_u32_b32 v3, v1, 0
	v_mbcnt_hi_u32_b32 v42, v2, v3
	v_cmp_ne_u64_e32 vcc, 0, v[1:2]
	v_cmp_eq_u32_e64 s[24:25], 0, v42
	s_and_b64 s[34:35], vcc, s[24:25]
	; wave barrier
	s_and_saveexec_b64 s[24:25], s[34:35]
	s_cbranch_execz .LBB206_14
; %bb.13:                               ;   in Loop: Header=BB206_4 Depth=2
	v_bcnt_u32_b32 v1, v1, 0
	v_bcnt_u32_b32 v1, v2, v1
	s_waitcnt lgkmcnt(0)
	v_add_u32_e32 v1, v40, v1
	ds_write_b32 v41, v1 offset:8
.LBB206_14:                             ;   in Loop: Header=BB206_4 Depth=2
	s_or_b64 exec, exec, s[24:25]
	v_lshrrev_b32_e32 v1, v28, v26
	v_lshlrev_b32_sdwa v2, v25, v1 dst_sel:DWORD dst_unused:UNUSED_PAD src0_sel:DWORD src1_sel:BYTE_0
	v_add_u32_e32 v44, v24, v2
	v_and_b32_e32 v2, 1, v1
	v_add_co_u32_e32 v3, vcc, -1, v2
	v_addc_co_u32_e64 v4, s[24:25], 0, -1, vcc
	v_cmp_ne_u32_e32 vcc, 0, v2
	v_lshlrev_b32_e32 v16, 30, v1
	v_xor_b32_e32 v2, vcc_hi, v4
	v_xor_b32_e32 v3, vcc_lo, v3
	v_cmp_gt_i64_e32 vcc, 0, v[15:16]
	v_not_b32_e32 v4, v16
	v_ashrrev_i32_e32 v4, 31, v4
	v_and_b32_e32 v2, exec_hi, v2
	v_xor_b32_e32 v16, vcc_hi, v4
	v_and_b32_e32 v3, exec_lo, v3
	v_xor_b32_e32 v4, vcc_lo, v4
	v_and_b32_e32 v2, v2, v16
	v_lshlrev_b32_e32 v16, 29, v1
	v_and_b32_e32 v3, v3, v4
	v_cmp_gt_i64_e32 vcc, 0, v[15:16]
	v_not_b32_e32 v4, v16
	v_ashrrev_i32_e32 v4, 31, v4
	v_xor_b32_e32 v16, vcc_hi, v4
	v_xor_b32_e32 v4, vcc_lo, v4
	v_and_b32_e32 v2, v2, v16
	v_lshlrev_b32_e32 v16, 28, v1
	v_and_b32_e32 v3, v3, v4
	v_cmp_gt_i64_e32 vcc, 0, v[15:16]
	v_not_b32_e32 v4, v16
	v_ashrrev_i32_e32 v4, 31, v4
	v_xor_b32_e32 v16, vcc_hi, v4
	;; [unrolled: 8-line block ×5, first 2 shown]
	v_and_b32_e32 v2, v2, v16
	v_lshlrev_b32_e32 v16, 24, v1
	v_xor_b32_e32 v4, vcc_lo, v4
	v_cmp_gt_i64_e32 vcc, 0, v[15:16]
	v_not_b32_e32 v1, v16
	v_ashrrev_i32_e32 v1, 31, v1
	v_and_b32_e32 v3, v3, v4
	v_xor_b32_e32 v4, vcc_hi, v1
	v_xor_b32_e32 v1, vcc_lo, v1
	; wave barrier
	ds_read_b32 v43, v44 offset:8
	v_and_b32_e32 v1, v3, v1
	v_and_b32_e32 v2, v2, v4
	v_mbcnt_lo_u32_b32 v3, v1, 0
	v_mbcnt_hi_u32_b32 v45, v2, v3
	v_cmp_ne_u64_e32 vcc, 0, v[1:2]
	v_cmp_eq_u32_e64 s[24:25], 0, v45
	s_and_b64 s[34:35], vcc, s[24:25]
	; wave barrier
	s_and_saveexec_b64 s[24:25], s[34:35]
	s_cbranch_execz .LBB206_16
; %bb.15:                               ;   in Loop: Header=BB206_4 Depth=2
	v_bcnt_u32_b32 v1, v1, 0
	v_bcnt_u32_b32 v1, v2, v1
	s_waitcnt lgkmcnt(0)
	v_add_u32_e32 v1, v43, v1
	ds_write_b32 v44, v1 offset:8
.LBB206_16:                             ;   in Loop: Header=BB206_4 Depth=2
	s_or_b64 exec, exec, s[24:25]
	v_lshrrev_b32_e32 v1, v28, v10
	v_lshlrev_b32_sdwa v2, v25, v1 dst_sel:DWORD dst_unused:UNUSED_PAD src0_sel:DWORD src1_sel:BYTE_0
	v_add_u32_e32 v47, v24, v2
	v_and_b32_e32 v2, 1, v1
	v_add_co_u32_e32 v3, vcc, -1, v2
	v_addc_co_u32_e64 v4, s[24:25], 0, -1, vcc
	v_cmp_ne_u32_e32 vcc, 0, v2
	v_lshlrev_b32_e32 v16, 30, v1
	v_xor_b32_e32 v2, vcc_hi, v4
	v_xor_b32_e32 v3, vcc_lo, v3
	v_cmp_gt_i64_e32 vcc, 0, v[15:16]
	v_not_b32_e32 v4, v16
	v_ashrrev_i32_e32 v4, 31, v4
	v_and_b32_e32 v2, exec_hi, v2
	v_xor_b32_e32 v16, vcc_hi, v4
	v_and_b32_e32 v3, exec_lo, v3
	v_xor_b32_e32 v4, vcc_lo, v4
	v_and_b32_e32 v2, v2, v16
	v_lshlrev_b32_e32 v16, 29, v1
	v_and_b32_e32 v3, v3, v4
	v_cmp_gt_i64_e32 vcc, 0, v[15:16]
	v_not_b32_e32 v4, v16
	v_ashrrev_i32_e32 v4, 31, v4
	v_xor_b32_e32 v16, vcc_hi, v4
	v_xor_b32_e32 v4, vcc_lo, v4
	v_and_b32_e32 v2, v2, v16
	v_lshlrev_b32_e32 v16, 28, v1
	v_and_b32_e32 v3, v3, v4
	v_cmp_gt_i64_e32 vcc, 0, v[15:16]
	v_not_b32_e32 v4, v16
	v_ashrrev_i32_e32 v4, 31, v4
	v_xor_b32_e32 v16, vcc_hi, v4
	;; [unrolled: 8-line block ×5, first 2 shown]
	v_and_b32_e32 v2, v2, v16
	v_lshlrev_b32_e32 v16, 24, v1
	v_xor_b32_e32 v4, vcc_lo, v4
	v_cmp_gt_i64_e32 vcc, 0, v[15:16]
	v_not_b32_e32 v1, v16
	v_ashrrev_i32_e32 v1, 31, v1
	v_and_b32_e32 v3, v3, v4
	v_xor_b32_e32 v4, vcc_hi, v1
	v_xor_b32_e32 v1, vcc_lo, v1
	; wave barrier
	ds_read_b32 v46, v47 offset:8
	v_and_b32_e32 v1, v3, v1
	v_and_b32_e32 v2, v2, v4
	v_mbcnt_lo_u32_b32 v3, v1, 0
	v_mbcnt_hi_u32_b32 v48, v2, v3
	v_cmp_ne_u64_e32 vcc, 0, v[1:2]
	v_cmp_eq_u32_e64 s[24:25], 0, v48
	s_and_b64 s[34:35], vcc, s[24:25]
	; wave barrier
	s_and_saveexec_b64 s[24:25], s[34:35]
	s_cbranch_execz .LBB206_18
; %bb.17:                               ;   in Loop: Header=BB206_4 Depth=2
	v_bcnt_u32_b32 v1, v1, 0
	v_bcnt_u32_b32 v1, v2, v1
	s_waitcnt lgkmcnt(0)
	v_add_u32_e32 v1, v46, v1
	ds_write_b32 v47, v1 offset:8
.LBB206_18:                             ;   in Loop: Header=BB206_4 Depth=2
	s_or_b64 exec, exec, s[24:25]
	v_lshrrev_b32_e32 v1, v28, v9
	v_lshlrev_b32_sdwa v2, v25, v1 dst_sel:DWORD dst_unused:UNUSED_PAD src0_sel:DWORD src1_sel:BYTE_0
	v_add_u32_e32 v50, v24, v2
	v_and_b32_e32 v2, 1, v1
	v_add_co_u32_e32 v3, vcc, -1, v2
	v_addc_co_u32_e64 v4, s[24:25], 0, -1, vcc
	v_cmp_ne_u32_e32 vcc, 0, v2
	v_lshlrev_b32_e32 v16, 30, v1
	v_xor_b32_e32 v2, vcc_hi, v4
	v_xor_b32_e32 v3, vcc_lo, v3
	v_cmp_gt_i64_e32 vcc, 0, v[15:16]
	v_not_b32_e32 v4, v16
	v_ashrrev_i32_e32 v4, 31, v4
	v_and_b32_e32 v2, exec_hi, v2
	v_xor_b32_e32 v16, vcc_hi, v4
	v_and_b32_e32 v3, exec_lo, v3
	v_xor_b32_e32 v4, vcc_lo, v4
	v_and_b32_e32 v2, v2, v16
	v_lshlrev_b32_e32 v16, 29, v1
	v_and_b32_e32 v3, v3, v4
	v_cmp_gt_i64_e32 vcc, 0, v[15:16]
	v_not_b32_e32 v4, v16
	v_ashrrev_i32_e32 v4, 31, v4
	v_xor_b32_e32 v16, vcc_hi, v4
	v_xor_b32_e32 v4, vcc_lo, v4
	v_and_b32_e32 v2, v2, v16
	v_lshlrev_b32_e32 v16, 28, v1
	v_and_b32_e32 v3, v3, v4
	v_cmp_gt_i64_e32 vcc, 0, v[15:16]
	v_not_b32_e32 v4, v16
	v_ashrrev_i32_e32 v4, 31, v4
	v_xor_b32_e32 v16, vcc_hi, v4
	;; [unrolled: 8-line block ×5, first 2 shown]
	v_and_b32_e32 v2, v2, v16
	v_lshlrev_b32_e32 v16, 24, v1
	v_xor_b32_e32 v4, vcc_lo, v4
	v_cmp_gt_i64_e32 vcc, 0, v[15:16]
	v_not_b32_e32 v1, v16
	v_ashrrev_i32_e32 v1, 31, v1
	v_and_b32_e32 v3, v3, v4
	v_xor_b32_e32 v4, vcc_hi, v1
	v_xor_b32_e32 v1, vcc_lo, v1
	; wave barrier
	ds_read_b32 v49, v50 offset:8
	v_and_b32_e32 v1, v3, v1
	v_and_b32_e32 v2, v2, v4
	v_mbcnt_lo_u32_b32 v3, v1, 0
	v_mbcnt_hi_u32_b32 v16, v2, v3
	v_cmp_ne_u64_e32 vcc, 0, v[1:2]
	v_cmp_eq_u32_e64 s[24:25], 0, v16
	s_and_b64 s[34:35], vcc, s[24:25]
	; wave barrier
	s_and_saveexec_b64 s[24:25], s[34:35]
	s_cbranch_execz .LBB206_20
; %bb.19:                               ;   in Loop: Header=BB206_4 Depth=2
	v_bcnt_u32_b32 v1, v1, 0
	v_bcnt_u32_b32 v1, v2, v1
	s_waitcnt lgkmcnt(0)
	v_add_u32_e32 v1, v49, v1
	ds_write_b32 v50, v1 offset:8
.LBB206_20:                             ;   in Loop: Header=BB206_4 Depth=2
	s_or_b64 exec, exec, s[24:25]
	; wave barrier
	s_waitcnt lgkmcnt(0)
	s_barrier
	ds_read2_b64 v[1:4], v19 offset0:1 offset1:2
	s_waitcnt lgkmcnt(0)
	v_add_u32_e32 v51, v2, v1
	v_add3_u32 v4, v51, v3, v4
	s_nop 1
	v_mov_b32_dpp v51, v4 row_shr:1 row_mask:0xf bank_mask:0xf
	v_cndmask_b32_e64 v51, v51, 0, s[0:1]
	v_add_u32_e32 v4, v51, v4
	s_nop 1
	v_mov_b32_dpp v51, v4 row_shr:2 row_mask:0xf bank_mask:0xf
	v_cndmask_b32_e64 v51, 0, v51, s[2:3]
	v_add_u32_e32 v4, v4, v51
	;; [unrolled: 4-line block ×4, first 2 shown]
	s_nop 1
	v_mov_b32_dpp v51, v4 row_bcast:15 row_mask:0xf bank_mask:0xf
	v_cndmask_b32_e64 v51, v51, 0, s[8:9]
	v_add_u32_e32 v4, v4, v51
	s_nop 1
	v_mov_b32_dpp v51, v4 row_bcast:31 row_mask:0xf bank_mask:0xf
	v_cndmask_b32_e64 v51, 0, v51, s[10:11]
	v_add_u32_e32 v4, v4, v51
	s_and_saveexec_b64 s[24:25], s[12:13]
; %bb.21:                               ;   in Loop: Header=BB206_4 Depth=2
	ds_write_b32 v21, v4
; %bb.22:                               ;   in Loop: Header=BB206_4 Depth=2
	s_or_b64 exec, exec, s[24:25]
	s_waitcnt lgkmcnt(0)
	s_barrier
	s_and_saveexec_b64 s[24:25], s[14:15]
	s_cbranch_execz .LBB206_24
; %bb.23:                               ;   in Loop: Header=BB206_4 Depth=2
	v_add_u32_e32 v51, v19, v22
	ds_read_b32 v52, v51
	s_waitcnt lgkmcnt(0)
	s_nop 0
	v_mov_b32_dpp v53, v52 row_shr:1 row_mask:0xf bank_mask:0xf
	v_cndmask_b32_e64 v53, v53, 0, s[22:23]
	v_add_u32_e32 v52, v53, v52
	ds_write_b32 v51, v52
.LBB206_24:                             ;   in Loop: Header=BB206_4 Depth=2
	s_or_b64 exec, exec, s[24:25]
	v_mov_b32_e32 v51, 0
	s_waitcnt lgkmcnt(0)
	s_barrier
	s_and_saveexec_b64 s[24:25], s[16:17]
; %bb.25:                               ;   in Loop: Header=BB206_4 Depth=2
	ds_read_b32 v51, v23
; %bb.26:                               ;   in Loop: Header=BB206_4 Depth=2
	s_or_b64 exec, exec, s[24:25]
	s_waitcnt lgkmcnt(0)
	v_add_u32_e32 v4, v51, v4
	ds_bpermute_b32 v4, v20, v4
	v_cmp_lt_u32_e32 vcc, 23, v28
	s_and_b64 vcc, exec, vcc
	s_mov_b64 s[24:25], -1
	s_waitcnt lgkmcnt(0)
	v_cndmask_b32_e64 v4, v4, v51, s[18:19]
	v_cndmask_b32_e64 v51, v4, 0, s[20:21]
	v_add_u32_e32 v52, v51, v1
	v_add_u32_e32 v1, v52, v2
	;; [unrolled: 1-line block ×3, first 2 shown]
	ds_write2_b64 v19, v[51:52], v[1:2] offset0:1 offset1:2
	s_waitcnt lgkmcnt(0)
	s_barrier
	ds_read_b32 v1, v6 offset:8
	ds_read_b32 v2, v8 offset:8
	;; [unrolled: 1-line block ×8, first 2 shown]
	s_waitcnt lgkmcnt(7)
	v_add_u32_e32 v44, v1, v5
	s_waitcnt lgkmcnt(6)
	v_add3_u32 v41, v33, v7, v2
	s_waitcnt lgkmcnt(5)
	v_add3_u32 v38, v36, v34, v3
	;; [unrolled: 2-line block ×7, first 2 shown]
                                        ; implicit-def: $vgpr8
                                        ; implicit-def: $vgpr6
                                        ; implicit-def: $vgpr4
                                        ; implicit-def: $vgpr2
	s_cbranch_vccnz .LBB206_3
; %bb.27:                               ;   in Loop: Header=BB206_4 Depth=2
	v_lshlrev_b32_e32 v1, 2, v44
	s_barrier
	ds_write_b32 v1, v32
	v_lshlrev_b32_e32 v1, 2, v41
	ds_write_b32 v1, v31
	v_lshlrev_b32_e32 v1, 2, v38
	;; [unrolled: 2-line block ×7, first 2 shown]
	ds_write_b32 v1, v9
	s_waitcnt lgkmcnt(0)
	s_barrier
	ds_read2st64_b32 v[1:2], v18 offset1:1
	ds_read2st64_b32 v[3:4], v18 offset0:2 offset1:3
	ds_read2st64_b32 v[5:6], v18 offset0:4 offset1:5
	;; [unrolled: 1-line block ×3, first 2 shown]
	v_add_u32_e32 v28, 8, v28
	s_mov_b64 s[24:25], 0
	s_waitcnt lgkmcnt(0)
	s_barrier
	s_branch .LBB206_3
.LBB206_28:
	s_add_u32 s0, s26, s30
	s_addc_u32 s1, s27, s31
	v_lshlrev_b32_e32 v0, 2, v0
	global_store_dword v0, v3, s[0:1]
	global_store_dword v0, v4, s[0:1] offset:512
	global_store_dword v0, v5, s[0:1] offset:1024
	;; [unrolled: 1-line block ×7, first 2 shown]
	s_endpgm
	.section	.rodata,"a",@progbits
	.p2align	6, 0x0
	.amdhsa_kernel _Z16sort_keys_kernelI22helper_blocked_stripediLj128ELj8ELj10EEvPKT0_PS1_
		.amdhsa_group_segment_fixed_size 4096
		.amdhsa_private_segment_fixed_size 0
		.amdhsa_kernarg_size 272
		.amdhsa_user_sgpr_count 6
		.amdhsa_user_sgpr_private_segment_buffer 1
		.amdhsa_user_sgpr_dispatch_ptr 0
		.amdhsa_user_sgpr_queue_ptr 0
		.amdhsa_user_sgpr_kernarg_segment_ptr 1
		.amdhsa_user_sgpr_dispatch_id 0
		.amdhsa_user_sgpr_flat_scratch_init 0
		.amdhsa_user_sgpr_private_segment_size 0
		.amdhsa_uses_dynamic_stack 0
		.amdhsa_system_sgpr_private_segment_wavefront_offset 0
		.amdhsa_system_sgpr_workgroup_id_x 1
		.amdhsa_system_sgpr_workgroup_id_y 0
		.amdhsa_system_sgpr_workgroup_id_z 0
		.amdhsa_system_sgpr_workgroup_info 0
		.amdhsa_system_vgpr_workitem_id 2
		.amdhsa_next_free_vgpr 54
		.amdhsa_next_free_sgpr 61
		.amdhsa_reserve_vcc 1
		.amdhsa_reserve_flat_scratch 0
		.amdhsa_float_round_mode_32 0
		.amdhsa_float_round_mode_16_64 0
		.amdhsa_float_denorm_mode_32 3
		.amdhsa_float_denorm_mode_16_64 3
		.amdhsa_dx10_clamp 1
		.amdhsa_ieee_mode 1
		.amdhsa_fp16_overflow 0
		.amdhsa_exception_fp_ieee_invalid_op 0
		.amdhsa_exception_fp_denorm_src 0
		.amdhsa_exception_fp_ieee_div_zero 0
		.amdhsa_exception_fp_ieee_overflow 0
		.amdhsa_exception_fp_ieee_underflow 0
		.amdhsa_exception_fp_ieee_inexact 0
		.amdhsa_exception_int_div_zero 0
	.end_amdhsa_kernel
	.section	.text._Z16sort_keys_kernelI22helper_blocked_stripediLj128ELj8ELj10EEvPKT0_PS1_,"axG",@progbits,_Z16sort_keys_kernelI22helper_blocked_stripediLj128ELj8ELj10EEvPKT0_PS1_,comdat
.Lfunc_end206:
	.size	_Z16sort_keys_kernelI22helper_blocked_stripediLj128ELj8ELj10EEvPKT0_PS1_, .Lfunc_end206-_Z16sort_keys_kernelI22helper_blocked_stripediLj128ELj8ELj10EEvPKT0_PS1_
                                        ; -- End function
	.set _Z16sort_keys_kernelI22helper_blocked_stripediLj128ELj8ELj10EEvPKT0_PS1_.num_vgpr, 54
	.set _Z16sort_keys_kernelI22helper_blocked_stripediLj128ELj8ELj10EEvPKT0_PS1_.num_agpr, 0
	.set _Z16sort_keys_kernelI22helper_blocked_stripediLj128ELj8ELj10EEvPKT0_PS1_.numbered_sgpr, 36
	.set _Z16sort_keys_kernelI22helper_blocked_stripediLj128ELj8ELj10EEvPKT0_PS1_.num_named_barrier, 0
	.set _Z16sort_keys_kernelI22helper_blocked_stripediLj128ELj8ELj10EEvPKT0_PS1_.private_seg_size, 0
	.set _Z16sort_keys_kernelI22helper_blocked_stripediLj128ELj8ELj10EEvPKT0_PS1_.uses_vcc, 1
	.set _Z16sort_keys_kernelI22helper_blocked_stripediLj128ELj8ELj10EEvPKT0_PS1_.uses_flat_scratch, 0
	.set _Z16sort_keys_kernelI22helper_blocked_stripediLj128ELj8ELj10EEvPKT0_PS1_.has_dyn_sized_stack, 0
	.set _Z16sort_keys_kernelI22helper_blocked_stripediLj128ELj8ELj10EEvPKT0_PS1_.has_recursion, 0
	.set _Z16sort_keys_kernelI22helper_blocked_stripediLj128ELj8ELj10EEvPKT0_PS1_.has_indirect_call, 0
	.section	.AMDGPU.csdata,"",@progbits
; Kernel info:
; codeLenInByte = 4388
; TotalNumSgprs: 40
; NumVgprs: 54
; ScratchSize: 0
; MemoryBound: 0
; FloatMode: 240
; IeeeMode: 1
; LDSByteSize: 4096 bytes/workgroup (compile time only)
; SGPRBlocks: 8
; VGPRBlocks: 13
; NumSGPRsForWavesPerEU: 65
; NumVGPRsForWavesPerEU: 54
; Occupancy: 4
; WaveLimiterHint : 1
; COMPUTE_PGM_RSRC2:SCRATCH_EN: 0
; COMPUTE_PGM_RSRC2:USER_SGPR: 6
; COMPUTE_PGM_RSRC2:TRAP_HANDLER: 0
; COMPUTE_PGM_RSRC2:TGID_X_EN: 1
; COMPUTE_PGM_RSRC2:TGID_Y_EN: 0
; COMPUTE_PGM_RSRC2:TGID_Z_EN: 0
; COMPUTE_PGM_RSRC2:TIDIG_COMP_CNT: 2
	.section	.text._Z17sort_pairs_kernelI22helper_blocked_stripediLj128ELj8ELj10EEvPKT0_PS1_,"axG",@progbits,_Z17sort_pairs_kernelI22helper_blocked_stripediLj128ELj8ELj10EEvPKT0_PS1_,comdat
	.protected	_Z17sort_pairs_kernelI22helper_blocked_stripediLj128ELj8ELj10EEvPKT0_PS1_ ; -- Begin function _Z17sort_pairs_kernelI22helper_blocked_stripediLj128ELj8ELj10EEvPKT0_PS1_
	.globl	_Z17sort_pairs_kernelI22helper_blocked_stripediLj128ELj8ELj10EEvPKT0_PS1_
	.p2align	8
	.type	_Z17sort_pairs_kernelI22helper_blocked_stripediLj128ELj8ELj10EEvPKT0_PS1_,@function
_Z17sort_pairs_kernelI22helper_blocked_stripediLj128ELj8ELj10EEvPKT0_PS1_: ; @_Z17sort_pairs_kernelI22helper_blocked_stripediLj128ELj8ELj10EEvPKT0_PS1_
; %bb.0:
	s_load_dwordx4 s[24:27], s[4:5], 0x0
	s_load_dword s33, s[4:5], 0x1c
	s_lshl_b32 s30, s6, 10
	s_mov_b32 s31, 0
	s_lshl_b64 s[28:29], s[30:31], 2
	s_waitcnt lgkmcnt(0)
	s_add_u32 s0, s24, s28
	s_addc_u32 s1, s25, s29
	v_lshlrev_b32_e32 v12, 5, v0
	global_load_dwordx4 v[7:10], v12, s[0:1]
	global_load_dwordx4 v[3:6], v12, s[0:1] offset:16
	v_mbcnt_lo_u32_b32 v13, -1, 0
	v_mbcnt_hi_u32_b32 v13, -1, v13
	s_lshr_b32 s24, s33, 16
	v_subrev_co_u32_e64 v18, s[8:9], 1, v13
	v_and_b32_e32 v19, 64, v13
	s_and_b32 s25, s33, 0xffff
	v_mad_u32_u24 v1, v2, s24, v1
	v_and_b32_e32 v14, 64, v0
	v_lshrrev_b32_e32 v15, 4, v0
	v_and_b32_e32 v12, 0x800, v12
	v_cmp_lt_i32_e32 vcc, v18, v19
	v_mad_u32_u24 v1, v1, s25, v0
	v_add_lshl_u32 v23, v13, v14, 5
	v_and_b32_e32 v16, 15, v13
	v_and_b32_e32 v17, 16, v13
	v_or_b32_e32 v14, 63, v14
	v_and_b32_e32 v24, 4, v15
	v_and_b32_e32 v15, 1, v13
	v_lshl_or_b32 v25, v13, 2, v12
	v_cndmask_b32_e32 v12, v18, v13, vcc
	v_lshrrev_b32_e32 v1, 4, v1
	v_mov_b32_e32 v11, 0
	v_mov_b32_e32 v20, 3
	v_lshlrev_b32_e32 v21, 4, v0
	v_cmp_gt_u32_e64 s[0:1], 2, v0
	v_cmp_lt_u32_e64 s[2:3], 63, v0
	v_cmp_eq_u32_e64 s[4:5], 0, v0
	v_mul_i32_i24_e32 v22, -12, v0
	s_mov_b32 s34, s31
	s_mov_b32 s35, s31
	v_cmp_lt_u32_e64 s[6:7], 31, v13
	s_mov_b32 s30, s31
	v_cmp_eq_u32_e64 s[10:11], 0, v16
	v_cmp_lt_u32_e64 s[12:13], 1, v16
	v_cmp_lt_u32_e64 s[14:15], 3, v16
	;; [unrolled: 1-line block ×3, first 2 shown]
	v_cmp_eq_u32_e64 s[18:19], 0, v17
	v_cmp_eq_u32_e64 s[20:21], v0, v14
	;; [unrolled: 1-line block ×3, first 2 shown]
	v_add_u32_e32 v26, -4, v24
	v_lshlrev_b32_e32 v27, 2, v12
	v_and_b32_e32 v28, 0xffffffc, v1
	s_mov_b32 s33, s31
	s_waitcnt vmcnt(1)
	v_add_u32_e32 v14, 1, v7
	v_add_u32_e32 v15, 1, v8
	;; [unrolled: 1-line block ×4, first 2 shown]
	s_waitcnt vmcnt(0)
	v_add_u32_e32 v12, 1, v3
	v_add_u32_e32 v13, 1, v4
	;; [unrolled: 1-line block ×4, first 2 shown]
	s_branch .LBB207_2
.LBB207_1:                              ;   in Loop: Header=BB207_2 Depth=1
	v_lshlrev_b32_e32 v7, 2, v56
	v_lshlrev_b32_e32 v8, 2, v55
	;; [unrolled: 1-line block ×8, first 2 shown]
	v_add_u32_e32 v16, v21, v22
	s_barrier
	ds_write_b32 v7, v43
	ds_write_b32 v8, v42
	;; [unrolled: 1-line block ×8, first 2 shown]
	s_waitcnt lgkmcnt(0)
	s_barrier
	ds_read2st64_b32 v[1:2], v16 offset1:2
	ds_read2st64_b32 v[3:4], v16 offset0:4 offset1:6
	ds_read2st64_b32 v[5:6], v16 offset0:8 offset1:10
	;; [unrolled: 1-line block ×3, first 2 shown]
	s_waitcnt lgkmcnt(0)
	s_barrier
	ds_write_b32 v7, v36
	ds_write_b32 v8, v34
	;; [unrolled: 1-line block ×8, first 2 shown]
	s_waitcnt lgkmcnt(0)
	s_barrier
	ds_read2st64_b32 v[14:15], v16 offset1:2
	ds_read2st64_b32 v[18:19], v16 offset0:4 offset1:6
	ds_read2st64_b32 v[12:13], v16 offset0:8 offset1:10
	;; [unrolled: 1-line block ×3, first 2 shown]
	s_add_i32 s33, s33, 1
	v_xor_b32_e32 v7, 0x80000000, v1
	v_xor_b32_e32 v8, 0x80000000, v2
	;; [unrolled: 1-line block ×7, first 2 shown]
	s_cmp_eq_u32 s33, 10
	v_xor_b32_e32 v6, 0x80000000, v38
	s_cbranch_scc1 .LBB207_28
.LBB207_2:                              ; =>This Loop Header: Depth=1
                                        ;     Child Loop BB207_4 Depth 2
	v_xor_b32_e32 v1, 0x80000000, v7
	v_xor_b32_e32 v2, 0x80000000, v8
	;; [unrolled: 1-line block ×8, first 2 shown]
	ds_write2_b64 v23, v[1:2], v[7:8] offset1:1
	ds_write2_b64 v23, v[3:4], v[5:6] offset0:2 offset1:3
	; wave barrier
	ds_read2st64_b32 v[1:2], v25 offset1:1
	ds_read2st64_b32 v[3:4], v25 offset0:2 offset1:3
	ds_read2st64_b32 v[5:6], v25 offset0:4 offset1:5
	ds_read2st64_b32 v[7:8], v25 offset0:6 offset1:7
	; wave barrier
	s_waitcnt lgkmcnt(8)
	ds_write2_b64 v23, v[14:15], v[18:19] offset1:1
	s_waitcnt lgkmcnt(7)
	ds_write2_b64 v23, v[12:13], v[16:17] offset0:2 offset1:3
	; wave barrier
	ds_read2st64_b32 v[9:10], v25 offset1:1
	ds_read2st64_b32 v[12:13], v25 offset0:2 offset1:3
	ds_read2st64_b32 v[14:15], v25 offset0:4 offset1:5
	;; [unrolled: 1-line block ×3, first 2 shown]
	v_mov_b32_e32 v35, v11
	s_waitcnt lgkmcnt(0)
	s_barrier
	s_branch .LBB207_4
.LBB207_3:                              ;   in Loop: Header=BB207_4 Depth=2
	s_andn2_b64 vcc, exec, s[24:25]
	s_cbranch_vccz .LBB207_1
.LBB207_4:                              ;   Parent Loop BB207_2 Depth=1
                                        ; =>  This Inner Loop Header: Depth=2
	v_mov_b32_e32 v40, v4
	v_mov_b32_e32 v41, v3
	v_mov_b32_e32 v42, v2
	v_mov_b32_e32 v43, v1
	v_mov_b32_e32 v1, s30
	v_mov_b32_e32 v3, s34
	v_mov_b32_e32 v2, s31
	v_mov_b32_e32 v4, s35
	ds_write2_b64 v21, v[1:2], v[3:4] offset0:1 offset1:2
	v_lshrrev_b32_e32 v1, v35, v43
	v_and_b32_e32 v2, 1, v1
	v_add_co_u32_e32 v4, vcc, -1, v2
	v_mov_b32_e32 v39, v5
	v_mov_b32_e32 v32, v12
	v_addc_co_u32_e64 v5, s[24:25], 0, -1, vcc
	v_cmp_ne_u32_e32 vcc, 0, v2
	v_lshlrev_b32_e32 v12, 30, v1
	v_xor_b32_e32 v2, vcc_hi, v5
	v_xor_b32_e32 v4, vcc_lo, v4
	v_cmp_gt_i64_e32 vcc, 0, v[11:12]
	v_not_b32_e32 v5, v12
	v_ashrrev_i32_e32 v5, 31, v5
	v_mov_b32_e32 v38, v6
	v_and_b32_e32 v4, exec_lo, v4
	v_xor_b32_e32 v6, vcc_hi, v5
	v_xor_b32_e32 v5, vcc_lo, v5
	v_lshlrev_b32_e32 v12, 29, v1
	v_and_b32_e32 v4, v4, v5
	v_cmp_gt_i64_e32 vcc, 0, v[11:12]
	v_not_b32_e32 v5, v12
	v_and_b32_e32 v2, exec_hi, v2
	v_ashrrev_i32_e32 v5, 31, v5
	v_and_b32_e32 v2, v2, v6
	v_xor_b32_e32 v6, vcc_hi, v5
	v_xor_b32_e32 v5, vcc_lo, v5
	v_lshlrev_b32_e32 v12, 28, v1
	v_and_b32_e32 v4, v4, v5
	v_cmp_gt_i64_e32 vcc, 0, v[11:12]
	v_not_b32_e32 v5, v12
	v_ashrrev_i32_e32 v5, 31, v5
	v_and_b32_e32 v2, v2, v6
	v_xor_b32_e32 v6, vcc_hi, v5
	v_xor_b32_e32 v5, vcc_lo, v5
	v_lshlrev_b32_e32 v12, 27, v1
	v_and_b32_e32 v4, v4, v5
	v_cmp_gt_i64_e32 vcc, 0, v[11:12]
	v_not_b32_e32 v5, v12
	;; [unrolled: 8-line block ×4, first 2 shown]
	v_ashrrev_i32_e32 v5, 31, v5
	v_lshlrev_b32_e32 v12, 24, v1
	v_lshlrev_b32_sdwa v3, v20, v1 dst_sel:DWORD dst_unused:UNUSED_PAD src0_sel:DWORD src1_sel:BYTE_0
	v_and_b32_e32 v2, v2, v6
	v_xor_b32_e32 v6, vcc_hi, v5
	v_xor_b32_e32 v5, vcc_lo, v5
	v_cmp_gt_i64_e32 vcc, 0, v[11:12]
	v_not_b32_e32 v1, v12
	v_ashrrev_i32_e32 v1, 31, v1
	v_and_b32_e32 v4, v4, v5
	v_xor_b32_e32 v5, vcc_hi, v1
	v_xor_b32_e32 v1, vcc_lo, v1
	v_and_b32_e32 v2, v2, v6
	v_and_b32_e32 v1, v4, v1
	;; [unrolled: 1-line block ×3, first 2 shown]
	v_mbcnt_lo_u32_b32 v4, v1, 0
	v_mbcnt_hi_u32_b32 v5, v2, v4
	v_cmp_ne_u64_e32 vcc, 0, v[1:2]
	v_cmp_eq_u32_e64 s[24:25], 0, v5
	v_mov_b32_e32 v33, v8
	v_mov_b32_e32 v37, v7
	v_mov_b32_e32 v18, v17
	v_mov_b32_e32 v19, v16
	v_mov_b32_e32 v29, v15
	v_mov_b32_e32 v30, v14
	v_mov_b32_e32 v31, v13
	v_mov_b32_e32 v34, v10
	v_mov_b32_e32 v36, v9
	s_and_b64 s[36:37], vcc, s[24:25]
	v_add_u32_e32 v6, v28, v3
	s_waitcnt lgkmcnt(0)
	s_barrier
	; wave barrier
	s_and_saveexec_b64 s[24:25], s[36:37]
; %bb.5:                                ;   in Loop: Header=BB207_4 Depth=2
	v_bcnt_u32_b32 v1, v1, 0
	v_bcnt_u32_b32 v1, v2, v1
	ds_write_b32 v6, v1 offset:8
; %bb.6:                                ;   in Loop: Header=BB207_4 Depth=2
	s_or_b64 exec, exec, s[24:25]
	v_lshrrev_b32_e32 v1, v35, v42
	v_lshlrev_b32_sdwa v2, v20, v1 dst_sel:DWORD dst_unused:UNUSED_PAD src0_sel:DWORD src1_sel:BYTE_0
	v_add_u32_e32 v8, v28, v2
	v_and_b32_e32 v2, 1, v1
	v_add_co_u32_e32 v3, vcc, -1, v2
	v_addc_co_u32_e64 v4, s[24:25], 0, -1, vcc
	v_cmp_ne_u32_e32 vcc, 0, v2
	v_lshlrev_b32_e32 v12, 30, v1
	v_xor_b32_e32 v2, vcc_hi, v4
	v_xor_b32_e32 v3, vcc_lo, v3
	v_cmp_gt_i64_e32 vcc, 0, v[11:12]
	v_not_b32_e32 v4, v12
	v_ashrrev_i32_e32 v4, 31, v4
	v_and_b32_e32 v3, exec_lo, v3
	v_xor_b32_e32 v9, vcc_hi, v4
	v_xor_b32_e32 v4, vcc_lo, v4
	v_lshlrev_b32_e32 v12, 29, v1
	v_and_b32_e32 v3, v3, v4
	v_cmp_gt_i64_e32 vcc, 0, v[11:12]
	v_not_b32_e32 v4, v12
	v_and_b32_e32 v2, exec_hi, v2
	v_ashrrev_i32_e32 v4, 31, v4
	v_and_b32_e32 v2, v2, v9
	v_xor_b32_e32 v9, vcc_hi, v4
	v_xor_b32_e32 v4, vcc_lo, v4
	v_lshlrev_b32_e32 v12, 28, v1
	v_and_b32_e32 v3, v3, v4
	v_cmp_gt_i64_e32 vcc, 0, v[11:12]
	v_not_b32_e32 v4, v12
	v_ashrrev_i32_e32 v4, 31, v4
	v_and_b32_e32 v2, v2, v9
	v_xor_b32_e32 v9, vcc_hi, v4
	v_xor_b32_e32 v4, vcc_lo, v4
	v_lshlrev_b32_e32 v12, 27, v1
	v_and_b32_e32 v3, v3, v4
	v_cmp_gt_i64_e32 vcc, 0, v[11:12]
	v_not_b32_e32 v4, v12
	;; [unrolled: 8-line block ×4, first 2 shown]
	v_ashrrev_i32_e32 v4, 31, v4
	v_lshlrev_b32_e32 v12, 24, v1
	v_and_b32_e32 v2, v2, v9
	v_xor_b32_e32 v9, vcc_hi, v4
	v_xor_b32_e32 v4, vcc_lo, v4
	v_cmp_gt_i64_e32 vcc, 0, v[11:12]
	v_not_b32_e32 v1, v12
	v_ashrrev_i32_e32 v1, 31, v1
	v_and_b32_e32 v3, v3, v4
	v_xor_b32_e32 v4, vcc_hi, v1
	v_xor_b32_e32 v1, vcc_lo, v1
	; wave barrier
	ds_read_b32 v7, v8 offset:8
	v_and_b32_e32 v2, v2, v9
	v_and_b32_e32 v1, v3, v1
	;; [unrolled: 1-line block ×3, first 2 shown]
	v_mbcnt_lo_u32_b32 v3, v1, 0
	v_mbcnt_hi_u32_b32 v9, v2, v3
	v_cmp_ne_u64_e32 vcc, 0, v[1:2]
	v_cmp_eq_u32_e64 s[24:25], 0, v9
	s_and_b64 s[36:37], vcc, s[24:25]
	; wave barrier
	s_and_saveexec_b64 s[24:25], s[36:37]
	s_cbranch_execz .LBB207_8
; %bb.7:                                ;   in Loop: Header=BB207_4 Depth=2
	v_bcnt_u32_b32 v1, v1, 0
	v_bcnt_u32_b32 v1, v2, v1
	s_waitcnt lgkmcnt(0)
	v_add_u32_e32 v1, v7, v1
	ds_write_b32 v8, v1 offset:8
.LBB207_8:                              ;   in Loop: Header=BB207_4 Depth=2
	s_or_b64 exec, exec, s[24:25]
	v_lshrrev_b32_e32 v1, v35, v41
	v_lshlrev_b32_sdwa v2, v20, v1 dst_sel:DWORD dst_unused:UNUSED_PAD src0_sel:DWORD src1_sel:BYTE_0
	v_add_u32_e32 v13, v28, v2
	v_and_b32_e32 v2, 1, v1
	v_add_co_u32_e32 v3, vcc, -1, v2
	v_addc_co_u32_e64 v4, s[24:25], 0, -1, vcc
	v_cmp_ne_u32_e32 vcc, 0, v2
	v_lshlrev_b32_e32 v12, 30, v1
	v_xor_b32_e32 v2, vcc_hi, v4
	v_xor_b32_e32 v3, vcc_lo, v3
	v_cmp_gt_i64_e32 vcc, 0, v[11:12]
	v_not_b32_e32 v4, v12
	v_ashrrev_i32_e32 v4, 31, v4
	v_and_b32_e32 v2, exec_hi, v2
	v_xor_b32_e32 v12, vcc_hi, v4
	v_and_b32_e32 v3, exec_lo, v3
	v_xor_b32_e32 v4, vcc_lo, v4
	v_and_b32_e32 v2, v2, v12
	v_lshlrev_b32_e32 v12, 29, v1
	v_and_b32_e32 v3, v3, v4
	v_cmp_gt_i64_e32 vcc, 0, v[11:12]
	v_not_b32_e32 v4, v12
	v_ashrrev_i32_e32 v4, 31, v4
	v_xor_b32_e32 v12, vcc_hi, v4
	v_xor_b32_e32 v4, vcc_lo, v4
	v_and_b32_e32 v2, v2, v12
	v_lshlrev_b32_e32 v12, 28, v1
	v_and_b32_e32 v3, v3, v4
	v_cmp_gt_i64_e32 vcc, 0, v[11:12]
	v_not_b32_e32 v4, v12
	v_ashrrev_i32_e32 v4, 31, v4
	v_xor_b32_e32 v12, vcc_hi, v4
	v_xor_b32_e32 v4, vcc_lo, v4
	v_and_b32_e32 v2, v2, v12
	v_lshlrev_b32_e32 v12, 27, v1
	v_and_b32_e32 v3, v3, v4
	v_cmp_gt_i64_e32 vcc, 0, v[11:12]
	v_not_b32_e32 v4, v12
	v_ashrrev_i32_e32 v4, 31, v4
	v_xor_b32_e32 v12, vcc_hi, v4
	v_xor_b32_e32 v4, vcc_lo, v4
	v_and_b32_e32 v2, v2, v12
	v_lshlrev_b32_e32 v12, 26, v1
	v_and_b32_e32 v3, v3, v4
	v_cmp_gt_i64_e32 vcc, 0, v[11:12]
	v_not_b32_e32 v4, v12
	v_ashrrev_i32_e32 v4, 31, v4
	v_xor_b32_e32 v12, vcc_hi, v4
	v_xor_b32_e32 v4, vcc_lo, v4
	v_and_b32_e32 v2, v2, v12
	v_lshlrev_b32_e32 v12, 25, v1
	v_and_b32_e32 v3, v3, v4
	v_cmp_gt_i64_e32 vcc, 0, v[11:12]
	v_not_b32_e32 v4, v12
	v_ashrrev_i32_e32 v4, 31, v4
	v_xor_b32_e32 v12, vcc_hi, v4
	v_and_b32_e32 v2, v2, v12
	v_lshlrev_b32_e32 v12, 24, v1
	v_xor_b32_e32 v4, vcc_lo, v4
	v_cmp_gt_i64_e32 vcc, 0, v[11:12]
	v_not_b32_e32 v1, v12
	v_ashrrev_i32_e32 v1, 31, v1
	v_and_b32_e32 v3, v3, v4
	v_xor_b32_e32 v4, vcc_hi, v1
	v_xor_b32_e32 v1, vcc_lo, v1
	; wave barrier
	ds_read_b32 v10, v13 offset:8
	v_and_b32_e32 v1, v3, v1
	v_and_b32_e32 v2, v2, v4
	v_mbcnt_lo_u32_b32 v3, v1, 0
	v_mbcnt_hi_u32_b32 v14, v2, v3
	v_cmp_ne_u64_e32 vcc, 0, v[1:2]
	v_cmp_eq_u32_e64 s[24:25], 0, v14
	s_and_b64 s[36:37], vcc, s[24:25]
	; wave barrier
	s_and_saveexec_b64 s[24:25], s[36:37]
	s_cbranch_execz .LBB207_10
; %bb.9:                                ;   in Loop: Header=BB207_4 Depth=2
	v_bcnt_u32_b32 v1, v1, 0
	v_bcnt_u32_b32 v1, v2, v1
	s_waitcnt lgkmcnt(0)
	v_add_u32_e32 v1, v10, v1
	ds_write_b32 v13, v1 offset:8
.LBB207_10:                             ;   in Loop: Header=BB207_4 Depth=2
	s_or_b64 exec, exec, s[24:25]
	v_lshrrev_b32_e32 v1, v35, v40
	v_lshlrev_b32_sdwa v2, v20, v1 dst_sel:DWORD dst_unused:UNUSED_PAD src0_sel:DWORD src1_sel:BYTE_0
	v_add_u32_e32 v16, v28, v2
	v_and_b32_e32 v2, 1, v1
	v_add_co_u32_e32 v3, vcc, -1, v2
	v_addc_co_u32_e64 v4, s[24:25], 0, -1, vcc
	v_cmp_ne_u32_e32 vcc, 0, v2
	v_lshlrev_b32_e32 v12, 30, v1
	v_xor_b32_e32 v2, vcc_hi, v4
	v_xor_b32_e32 v3, vcc_lo, v3
	v_cmp_gt_i64_e32 vcc, 0, v[11:12]
	v_not_b32_e32 v4, v12
	v_ashrrev_i32_e32 v4, 31, v4
	v_and_b32_e32 v2, exec_hi, v2
	v_xor_b32_e32 v12, vcc_hi, v4
	v_and_b32_e32 v3, exec_lo, v3
	v_xor_b32_e32 v4, vcc_lo, v4
	v_and_b32_e32 v2, v2, v12
	v_lshlrev_b32_e32 v12, 29, v1
	v_and_b32_e32 v3, v3, v4
	v_cmp_gt_i64_e32 vcc, 0, v[11:12]
	v_not_b32_e32 v4, v12
	v_ashrrev_i32_e32 v4, 31, v4
	v_xor_b32_e32 v12, vcc_hi, v4
	v_xor_b32_e32 v4, vcc_lo, v4
	v_and_b32_e32 v2, v2, v12
	v_lshlrev_b32_e32 v12, 28, v1
	v_and_b32_e32 v3, v3, v4
	v_cmp_gt_i64_e32 vcc, 0, v[11:12]
	v_not_b32_e32 v4, v12
	v_ashrrev_i32_e32 v4, 31, v4
	v_xor_b32_e32 v12, vcc_hi, v4
	;; [unrolled: 8-line block ×5, first 2 shown]
	v_and_b32_e32 v2, v2, v12
	v_lshlrev_b32_e32 v12, 24, v1
	v_xor_b32_e32 v4, vcc_lo, v4
	v_cmp_gt_i64_e32 vcc, 0, v[11:12]
	v_not_b32_e32 v1, v12
	v_ashrrev_i32_e32 v1, 31, v1
	v_and_b32_e32 v3, v3, v4
	v_xor_b32_e32 v4, vcc_hi, v1
	v_xor_b32_e32 v1, vcc_lo, v1
	; wave barrier
	ds_read_b32 v15, v16 offset:8
	v_and_b32_e32 v1, v3, v1
	v_and_b32_e32 v2, v2, v4
	v_mbcnt_lo_u32_b32 v3, v1, 0
	v_mbcnt_hi_u32_b32 v17, v2, v3
	v_cmp_ne_u64_e32 vcc, 0, v[1:2]
	v_cmp_eq_u32_e64 s[24:25], 0, v17
	s_and_b64 s[36:37], vcc, s[24:25]
	; wave barrier
	s_and_saveexec_b64 s[24:25], s[36:37]
	s_cbranch_execz .LBB207_12
; %bb.11:                               ;   in Loop: Header=BB207_4 Depth=2
	v_bcnt_u32_b32 v1, v1, 0
	v_bcnt_u32_b32 v1, v2, v1
	s_waitcnt lgkmcnt(0)
	v_add_u32_e32 v1, v15, v1
	ds_write_b32 v16, v1 offset:8
.LBB207_12:                             ;   in Loop: Header=BB207_4 Depth=2
	s_or_b64 exec, exec, s[24:25]
	v_lshrrev_b32_e32 v1, v35, v39
	v_lshlrev_b32_sdwa v2, v20, v1 dst_sel:DWORD dst_unused:UNUSED_PAD src0_sel:DWORD src1_sel:BYTE_0
	v_add_u32_e32 v45, v28, v2
	v_and_b32_e32 v2, 1, v1
	v_add_co_u32_e32 v3, vcc, -1, v2
	v_addc_co_u32_e64 v4, s[24:25], 0, -1, vcc
	v_cmp_ne_u32_e32 vcc, 0, v2
	v_lshlrev_b32_e32 v12, 30, v1
	v_xor_b32_e32 v2, vcc_hi, v4
	v_xor_b32_e32 v3, vcc_lo, v3
	v_cmp_gt_i64_e32 vcc, 0, v[11:12]
	v_not_b32_e32 v4, v12
	v_ashrrev_i32_e32 v4, 31, v4
	v_and_b32_e32 v2, exec_hi, v2
	v_xor_b32_e32 v12, vcc_hi, v4
	v_and_b32_e32 v3, exec_lo, v3
	v_xor_b32_e32 v4, vcc_lo, v4
	v_and_b32_e32 v2, v2, v12
	v_lshlrev_b32_e32 v12, 29, v1
	v_and_b32_e32 v3, v3, v4
	v_cmp_gt_i64_e32 vcc, 0, v[11:12]
	v_not_b32_e32 v4, v12
	v_ashrrev_i32_e32 v4, 31, v4
	v_xor_b32_e32 v12, vcc_hi, v4
	v_xor_b32_e32 v4, vcc_lo, v4
	v_and_b32_e32 v2, v2, v12
	v_lshlrev_b32_e32 v12, 28, v1
	v_and_b32_e32 v3, v3, v4
	v_cmp_gt_i64_e32 vcc, 0, v[11:12]
	v_not_b32_e32 v4, v12
	v_ashrrev_i32_e32 v4, 31, v4
	v_xor_b32_e32 v12, vcc_hi, v4
	v_xor_b32_e32 v4, vcc_lo, v4
	v_and_b32_e32 v2, v2, v12
	v_lshlrev_b32_e32 v12, 27, v1
	v_and_b32_e32 v3, v3, v4
	v_cmp_gt_i64_e32 vcc, 0, v[11:12]
	v_not_b32_e32 v4, v12
	v_ashrrev_i32_e32 v4, 31, v4
	v_xor_b32_e32 v12, vcc_hi, v4
	v_xor_b32_e32 v4, vcc_lo, v4
	v_and_b32_e32 v2, v2, v12
	v_lshlrev_b32_e32 v12, 26, v1
	v_and_b32_e32 v3, v3, v4
	v_cmp_gt_i64_e32 vcc, 0, v[11:12]
	v_not_b32_e32 v4, v12
	v_ashrrev_i32_e32 v4, 31, v4
	v_xor_b32_e32 v12, vcc_hi, v4
	v_xor_b32_e32 v4, vcc_lo, v4
	v_and_b32_e32 v2, v2, v12
	v_lshlrev_b32_e32 v12, 25, v1
	v_and_b32_e32 v3, v3, v4
	v_cmp_gt_i64_e32 vcc, 0, v[11:12]
	v_not_b32_e32 v4, v12
	v_ashrrev_i32_e32 v4, 31, v4
	v_xor_b32_e32 v12, vcc_hi, v4
	v_and_b32_e32 v2, v2, v12
	v_lshlrev_b32_e32 v12, 24, v1
	v_xor_b32_e32 v4, vcc_lo, v4
	v_cmp_gt_i64_e32 vcc, 0, v[11:12]
	v_not_b32_e32 v1, v12
	v_ashrrev_i32_e32 v1, 31, v1
	v_and_b32_e32 v3, v3, v4
	v_xor_b32_e32 v4, vcc_hi, v1
	v_xor_b32_e32 v1, vcc_lo, v1
	; wave barrier
	ds_read_b32 v44, v45 offset:8
	v_and_b32_e32 v1, v3, v1
	v_and_b32_e32 v2, v2, v4
	v_mbcnt_lo_u32_b32 v3, v1, 0
	v_mbcnt_hi_u32_b32 v46, v2, v3
	v_cmp_ne_u64_e32 vcc, 0, v[1:2]
	v_cmp_eq_u32_e64 s[24:25], 0, v46
	s_and_b64 s[36:37], vcc, s[24:25]
	; wave barrier
	s_and_saveexec_b64 s[24:25], s[36:37]
	s_cbranch_execz .LBB207_14
; %bb.13:                               ;   in Loop: Header=BB207_4 Depth=2
	v_bcnt_u32_b32 v1, v1, 0
	v_bcnt_u32_b32 v1, v2, v1
	s_waitcnt lgkmcnt(0)
	v_add_u32_e32 v1, v44, v1
	ds_write_b32 v45, v1 offset:8
.LBB207_14:                             ;   in Loop: Header=BB207_4 Depth=2
	s_or_b64 exec, exec, s[24:25]
	v_lshrrev_b32_e32 v1, v35, v38
	v_lshlrev_b32_sdwa v2, v20, v1 dst_sel:DWORD dst_unused:UNUSED_PAD src0_sel:DWORD src1_sel:BYTE_0
	v_add_u32_e32 v48, v28, v2
	v_and_b32_e32 v2, 1, v1
	v_add_co_u32_e32 v3, vcc, -1, v2
	v_addc_co_u32_e64 v4, s[24:25], 0, -1, vcc
	v_cmp_ne_u32_e32 vcc, 0, v2
	v_lshlrev_b32_e32 v12, 30, v1
	v_xor_b32_e32 v2, vcc_hi, v4
	v_xor_b32_e32 v3, vcc_lo, v3
	v_cmp_gt_i64_e32 vcc, 0, v[11:12]
	v_not_b32_e32 v4, v12
	v_ashrrev_i32_e32 v4, 31, v4
	v_and_b32_e32 v2, exec_hi, v2
	v_xor_b32_e32 v12, vcc_hi, v4
	v_and_b32_e32 v3, exec_lo, v3
	v_xor_b32_e32 v4, vcc_lo, v4
	v_and_b32_e32 v2, v2, v12
	v_lshlrev_b32_e32 v12, 29, v1
	v_and_b32_e32 v3, v3, v4
	v_cmp_gt_i64_e32 vcc, 0, v[11:12]
	v_not_b32_e32 v4, v12
	v_ashrrev_i32_e32 v4, 31, v4
	v_xor_b32_e32 v12, vcc_hi, v4
	v_xor_b32_e32 v4, vcc_lo, v4
	v_and_b32_e32 v2, v2, v12
	v_lshlrev_b32_e32 v12, 28, v1
	v_and_b32_e32 v3, v3, v4
	v_cmp_gt_i64_e32 vcc, 0, v[11:12]
	v_not_b32_e32 v4, v12
	v_ashrrev_i32_e32 v4, 31, v4
	v_xor_b32_e32 v12, vcc_hi, v4
	;; [unrolled: 8-line block ×5, first 2 shown]
	v_and_b32_e32 v2, v2, v12
	v_lshlrev_b32_e32 v12, 24, v1
	v_xor_b32_e32 v4, vcc_lo, v4
	v_cmp_gt_i64_e32 vcc, 0, v[11:12]
	v_not_b32_e32 v1, v12
	v_ashrrev_i32_e32 v1, 31, v1
	v_and_b32_e32 v3, v3, v4
	v_xor_b32_e32 v4, vcc_hi, v1
	v_xor_b32_e32 v1, vcc_lo, v1
	; wave barrier
	ds_read_b32 v47, v48 offset:8
	v_and_b32_e32 v1, v3, v1
	v_and_b32_e32 v2, v2, v4
	v_mbcnt_lo_u32_b32 v3, v1, 0
	v_mbcnt_hi_u32_b32 v49, v2, v3
	v_cmp_ne_u64_e32 vcc, 0, v[1:2]
	v_cmp_eq_u32_e64 s[24:25], 0, v49
	s_and_b64 s[36:37], vcc, s[24:25]
	; wave barrier
	s_and_saveexec_b64 s[24:25], s[36:37]
	s_cbranch_execz .LBB207_16
; %bb.15:                               ;   in Loop: Header=BB207_4 Depth=2
	v_bcnt_u32_b32 v1, v1, 0
	v_bcnt_u32_b32 v1, v2, v1
	s_waitcnt lgkmcnt(0)
	v_add_u32_e32 v1, v47, v1
	ds_write_b32 v48, v1 offset:8
.LBB207_16:                             ;   in Loop: Header=BB207_4 Depth=2
	s_or_b64 exec, exec, s[24:25]
	v_lshrrev_b32_e32 v1, v35, v37
	v_lshlrev_b32_sdwa v2, v20, v1 dst_sel:DWORD dst_unused:UNUSED_PAD src0_sel:DWORD src1_sel:BYTE_0
	v_add_u32_e32 v51, v28, v2
	v_and_b32_e32 v2, 1, v1
	v_add_co_u32_e32 v3, vcc, -1, v2
	v_addc_co_u32_e64 v4, s[24:25], 0, -1, vcc
	v_cmp_ne_u32_e32 vcc, 0, v2
	v_lshlrev_b32_e32 v12, 30, v1
	v_xor_b32_e32 v2, vcc_hi, v4
	v_xor_b32_e32 v3, vcc_lo, v3
	v_cmp_gt_i64_e32 vcc, 0, v[11:12]
	v_not_b32_e32 v4, v12
	v_ashrrev_i32_e32 v4, 31, v4
	v_and_b32_e32 v2, exec_hi, v2
	v_xor_b32_e32 v12, vcc_hi, v4
	v_and_b32_e32 v3, exec_lo, v3
	v_xor_b32_e32 v4, vcc_lo, v4
	v_and_b32_e32 v2, v2, v12
	v_lshlrev_b32_e32 v12, 29, v1
	v_and_b32_e32 v3, v3, v4
	v_cmp_gt_i64_e32 vcc, 0, v[11:12]
	v_not_b32_e32 v4, v12
	v_ashrrev_i32_e32 v4, 31, v4
	v_xor_b32_e32 v12, vcc_hi, v4
	v_xor_b32_e32 v4, vcc_lo, v4
	v_and_b32_e32 v2, v2, v12
	v_lshlrev_b32_e32 v12, 28, v1
	v_and_b32_e32 v3, v3, v4
	v_cmp_gt_i64_e32 vcc, 0, v[11:12]
	v_not_b32_e32 v4, v12
	v_ashrrev_i32_e32 v4, 31, v4
	v_xor_b32_e32 v12, vcc_hi, v4
	;; [unrolled: 8-line block ×5, first 2 shown]
	v_and_b32_e32 v2, v2, v12
	v_lshlrev_b32_e32 v12, 24, v1
	v_xor_b32_e32 v4, vcc_lo, v4
	v_cmp_gt_i64_e32 vcc, 0, v[11:12]
	v_not_b32_e32 v1, v12
	v_ashrrev_i32_e32 v1, 31, v1
	v_and_b32_e32 v3, v3, v4
	v_xor_b32_e32 v4, vcc_hi, v1
	v_xor_b32_e32 v1, vcc_lo, v1
	; wave barrier
	ds_read_b32 v50, v51 offset:8
	v_and_b32_e32 v1, v3, v1
	v_and_b32_e32 v2, v2, v4
	v_mbcnt_lo_u32_b32 v3, v1, 0
	v_mbcnt_hi_u32_b32 v52, v2, v3
	v_cmp_ne_u64_e32 vcc, 0, v[1:2]
	v_cmp_eq_u32_e64 s[24:25], 0, v52
	s_and_b64 s[36:37], vcc, s[24:25]
	; wave barrier
	s_and_saveexec_b64 s[24:25], s[36:37]
	s_cbranch_execz .LBB207_18
; %bb.17:                               ;   in Loop: Header=BB207_4 Depth=2
	v_bcnt_u32_b32 v1, v1, 0
	v_bcnt_u32_b32 v1, v2, v1
	s_waitcnt lgkmcnt(0)
	v_add_u32_e32 v1, v50, v1
	ds_write_b32 v51, v1 offset:8
.LBB207_18:                             ;   in Loop: Header=BB207_4 Depth=2
	s_or_b64 exec, exec, s[24:25]
	v_lshrrev_b32_e32 v1, v35, v33
	v_lshlrev_b32_sdwa v2, v20, v1 dst_sel:DWORD dst_unused:UNUSED_PAD src0_sel:DWORD src1_sel:BYTE_0
	v_add_u32_e32 v54, v28, v2
	v_and_b32_e32 v2, 1, v1
	v_add_co_u32_e32 v3, vcc, -1, v2
	v_addc_co_u32_e64 v4, s[24:25], 0, -1, vcc
	v_cmp_ne_u32_e32 vcc, 0, v2
	v_lshlrev_b32_e32 v12, 30, v1
	v_xor_b32_e32 v2, vcc_hi, v4
	v_xor_b32_e32 v3, vcc_lo, v3
	v_cmp_gt_i64_e32 vcc, 0, v[11:12]
	v_not_b32_e32 v4, v12
	v_ashrrev_i32_e32 v4, 31, v4
	v_and_b32_e32 v2, exec_hi, v2
	v_xor_b32_e32 v12, vcc_hi, v4
	v_and_b32_e32 v3, exec_lo, v3
	v_xor_b32_e32 v4, vcc_lo, v4
	v_and_b32_e32 v2, v2, v12
	v_lshlrev_b32_e32 v12, 29, v1
	v_and_b32_e32 v3, v3, v4
	v_cmp_gt_i64_e32 vcc, 0, v[11:12]
	v_not_b32_e32 v4, v12
	v_ashrrev_i32_e32 v4, 31, v4
	v_xor_b32_e32 v12, vcc_hi, v4
	v_xor_b32_e32 v4, vcc_lo, v4
	v_and_b32_e32 v2, v2, v12
	v_lshlrev_b32_e32 v12, 28, v1
	v_and_b32_e32 v3, v3, v4
	v_cmp_gt_i64_e32 vcc, 0, v[11:12]
	v_not_b32_e32 v4, v12
	v_ashrrev_i32_e32 v4, 31, v4
	v_xor_b32_e32 v12, vcc_hi, v4
	v_xor_b32_e32 v4, vcc_lo, v4
	v_and_b32_e32 v2, v2, v12
	v_lshlrev_b32_e32 v12, 27, v1
	v_and_b32_e32 v3, v3, v4
	v_cmp_gt_i64_e32 vcc, 0, v[11:12]
	v_not_b32_e32 v4, v12
	v_ashrrev_i32_e32 v4, 31, v4
	v_xor_b32_e32 v12, vcc_hi, v4
	v_xor_b32_e32 v4, vcc_lo, v4
	v_and_b32_e32 v2, v2, v12
	v_lshlrev_b32_e32 v12, 26, v1
	v_and_b32_e32 v3, v3, v4
	v_cmp_gt_i64_e32 vcc, 0, v[11:12]
	v_not_b32_e32 v4, v12
	v_ashrrev_i32_e32 v4, 31, v4
	v_xor_b32_e32 v12, vcc_hi, v4
	v_xor_b32_e32 v4, vcc_lo, v4
	v_and_b32_e32 v2, v2, v12
	v_lshlrev_b32_e32 v12, 25, v1
	v_and_b32_e32 v3, v3, v4
	v_cmp_gt_i64_e32 vcc, 0, v[11:12]
	v_not_b32_e32 v4, v12
	v_ashrrev_i32_e32 v4, 31, v4
	v_xor_b32_e32 v12, vcc_hi, v4
	v_and_b32_e32 v2, v2, v12
	v_lshlrev_b32_e32 v12, 24, v1
	v_xor_b32_e32 v4, vcc_lo, v4
	v_cmp_gt_i64_e32 vcc, 0, v[11:12]
	v_not_b32_e32 v1, v12
	v_ashrrev_i32_e32 v1, 31, v1
	v_and_b32_e32 v3, v3, v4
	v_xor_b32_e32 v4, vcc_hi, v1
	v_xor_b32_e32 v1, vcc_lo, v1
	; wave barrier
	ds_read_b32 v53, v54 offset:8
	v_and_b32_e32 v1, v3, v1
	v_and_b32_e32 v2, v2, v4
	v_mbcnt_lo_u32_b32 v3, v1, 0
	v_mbcnt_hi_u32_b32 v12, v2, v3
	v_cmp_ne_u64_e32 vcc, 0, v[1:2]
	v_cmp_eq_u32_e64 s[24:25], 0, v12
	s_and_b64 s[36:37], vcc, s[24:25]
	; wave barrier
	s_and_saveexec_b64 s[24:25], s[36:37]
	s_cbranch_execz .LBB207_20
; %bb.19:                               ;   in Loop: Header=BB207_4 Depth=2
	v_bcnt_u32_b32 v1, v1, 0
	v_bcnt_u32_b32 v1, v2, v1
	s_waitcnt lgkmcnt(0)
	v_add_u32_e32 v1, v53, v1
	ds_write_b32 v54, v1 offset:8
.LBB207_20:                             ;   in Loop: Header=BB207_4 Depth=2
	s_or_b64 exec, exec, s[24:25]
	; wave barrier
	s_waitcnt lgkmcnt(0)
	s_barrier
	ds_read2_b64 v[1:4], v21 offset0:1 offset1:2
	s_waitcnt lgkmcnt(0)
	v_add_u32_e32 v55, v2, v1
	v_add3_u32 v4, v55, v3, v4
	s_nop 1
	v_mov_b32_dpp v55, v4 row_shr:1 row_mask:0xf bank_mask:0xf
	v_cndmask_b32_e64 v55, v55, 0, s[10:11]
	v_add_u32_e32 v4, v55, v4
	s_nop 1
	v_mov_b32_dpp v55, v4 row_shr:2 row_mask:0xf bank_mask:0xf
	v_cndmask_b32_e64 v55, 0, v55, s[12:13]
	v_add_u32_e32 v4, v4, v55
	;; [unrolled: 4-line block ×4, first 2 shown]
	s_nop 1
	v_mov_b32_dpp v55, v4 row_bcast:15 row_mask:0xf bank_mask:0xf
	v_cndmask_b32_e64 v55, v55, 0, s[18:19]
	v_add_u32_e32 v4, v4, v55
	s_nop 1
	v_mov_b32_dpp v55, v4 row_bcast:31 row_mask:0xf bank_mask:0xf
	v_cndmask_b32_e64 v55, 0, v55, s[6:7]
	v_add_u32_e32 v4, v4, v55
	s_and_saveexec_b64 s[24:25], s[20:21]
; %bb.21:                               ;   in Loop: Header=BB207_4 Depth=2
	ds_write_b32 v24, v4
; %bb.22:                               ;   in Loop: Header=BB207_4 Depth=2
	s_or_b64 exec, exec, s[24:25]
	s_waitcnt lgkmcnt(0)
	s_barrier
	s_and_saveexec_b64 s[24:25], s[0:1]
	s_cbranch_execz .LBB207_24
; %bb.23:                               ;   in Loop: Header=BB207_4 Depth=2
	v_add_u32_e32 v55, v21, v22
	ds_read_b32 v56, v55
	s_waitcnt lgkmcnt(0)
	s_nop 0
	v_mov_b32_dpp v57, v56 row_shr:1 row_mask:0xf bank_mask:0xf
	v_cndmask_b32_e64 v57, v57, 0, s[22:23]
	v_add_u32_e32 v56, v57, v56
	ds_write_b32 v55, v56
.LBB207_24:                             ;   in Loop: Header=BB207_4 Depth=2
	s_or_b64 exec, exec, s[24:25]
	v_mov_b32_e32 v55, 0
	s_waitcnt lgkmcnt(0)
	s_barrier
	s_and_saveexec_b64 s[24:25], s[2:3]
; %bb.25:                               ;   in Loop: Header=BB207_4 Depth=2
	ds_read_b32 v55, v26
; %bb.26:                               ;   in Loop: Header=BB207_4 Depth=2
	s_or_b64 exec, exec, s[24:25]
	s_waitcnt lgkmcnt(0)
	v_add_u32_e32 v4, v55, v4
	ds_bpermute_b32 v4, v27, v4
	v_cmp_lt_u32_e32 vcc, 23, v35
	s_and_b64 vcc, exec, vcc
	s_mov_b64 s[24:25], -1
	s_waitcnt lgkmcnt(0)
	v_cndmask_b32_e64 v4, v4, v55, s[8:9]
	v_cndmask_b32_e64 v55, v4, 0, s[4:5]
	v_add_u32_e32 v56, v55, v1
	v_add_u32_e32 v1, v56, v2
	;; [unrolled: 1-line block ×3, first 2 shown]
	ds_write2_b64 v21, v[55:56], v[1:2] offset0:1 offset1:2
	s_waitcnt lgkmcnt(0)
	s_barrier
	ds_read_b32 v1, v6 offset:8
	ds_read_b32 v2, v8 offset:8
	;; [unrolled: 1-line block ×8, first 2 shown]
	s_waitcnt lgkmcnt(7)
	v_add_u32_e32 v56, v1, v5
	s_waitcnt lgkmcnt(6)
	v_add3_u32 v55, v9, v7, v2
	s_waitcnt lgkmcnt(5)
	v_add3_u32 v54, v14, v10, v3
	;; [unrolled: 2-line block ×7, first 2 shown]
                                        ; implicit-def: $vgpr8
                                        ; implicit-def: $vgpr6
                                        ; implicit-def: $vgpr4
                                        ; implicit-def: $vgpr2
                                        ; implicit-def: $vgpr17
                                        ; implicit-def: $vgpr15
                                        ; implicit-def: $vgpr13
                                        ; implicit-def: $vgpr10
	s_cbranch_vccnz .LBB207_3
; %bb.27:                               ;   in Loop: Header=BB207_4 Depth=2
	v_lshlrev_b32_e32 v9, 2, v56
	v_lshlrev_b32_e32 v10, 2, v55
	;; [unrolled: 1-line block ×8, first 2 shown]
	s_barrier
	ds_write_b32 v9, v43
	ds_write_b32 v10, v42
	ds_write_b32 v12, v41
	ds_write_b32 v13, v40
	ds_write_b32 v14, v39
	ds_write_b32 v15, v38
	ds_write_b32 v16, v37
	ds_write_b32 v17, v33
	s_waitcnt lgkmcnt(0)
	s_barrier
	ds_read2st64_b32 v[1:2], v25 offset1:1
	ds_read2st64_b32 v[3:4], v25 offset0:2 offset1:3
	ds_read2st64_b32 v[5:6], v25 offset0:4 offset1:5
	;; [unrolled: 1-line block ×3, first 2 shown]
	s_waitcnt lgkmcnt(0)
	s_barrier
	ds_write_b32 v9, v36
	ds_write_b32 v10, v34
	;; [unrolled: 1-line block ×8, first 2 shown]
	s_waitcnt lgkmcnt(0)
	s_barrier
	ds_read2st64_b32 v[9:10], v25 offset1:1
	ds_read2st64_b32 v[12:13], v25 offset0:2 offset1:3
	ds_read2st64_b32 v[14:15], v25 offset0:4 offset1:5
	;; [unrolled: 1-line block ×3, first 2 shown]
	v_add_u32_e32 v35, 8, v35
	s_mov_b64 s[24:25], 0
	s_waitcnt lgkmcnt(0)
	s_barrier
	s_branch .LBB207_3
.LBB207_28:
	s_add_u32 s0, s26, s28
	s_waitcnt lgkmcnt(3)
	v_add_u32_e32 v1, v7, v14
	s_addc_u32 s1, s27, s29
	v_lshlrev_b32_e32 v0, 2, v0
	v_add_u32_e32 v2, v8, v15
	s_waitcnt lgkmcnt(2)
	v_add_u32_e32 v7, v9, v18
	v_add_u32_e32 v8, v10, v19
	s_waitcnt lgkmcnt(1)
	v_add_u32_e32 v3, v3, v12
	;; [unrolled: 3-line block ×3, first 2 shown]
	v_add_u32_e32 v6, v6, v17
	global_store_dword v0, v1, s[0:1]
	global_store_dword v0, v2, s[0:1] offset:512
	global_store_dword v0, v7, s[0:1] offset:1024
	;; [unrolled: 1-line block ×7, first 2 shown]
	s_endpgm
	.section	.rodata,"a",@progbits
	.p2align	6, 0x0
	.amdhsa_kernel _Z17sort_pairs_kernelI22helper_blocked_stripediLj128ELj8ELj10EEvPKT0_PS1_
		.amdhsa_group_segment_fixed_size 4096
		.amdhsa_private_segment_fixed_size 0
		.amdhsa_kernarg_size 272
		.amdhsa_user_sgpr_count 6
		.amdhsa_user_sgpr_private_segment_buffer 1
		.amdhsa_user_sgpr_dispatch_ptr 0
		.amdhsa_user_sgpr_queue_ptr 0
		.amdhsa_user_sgpr_kernarg_segment_ptr 1
		.amdhsa_user_sgpr_dispatch_id 0
		.amdhsa_user_sgpr_flat_scratch_init 0
		.amdhsa_user_sgpr_private_segment_size 0
		.amdhsa_uses_dynamic_stack 0
		.amdhsa_system_sgpr_private_segment_wavefront_offset 0
		.amdhsa_system_sgpr_workgroup_id_x 1
		.amdhsa_system_sgpr_workgroup_id_y 0
		.amdhsa_system_sgpr_workgroup_id_z 0
		.amdhsa_system_sgpr_workgroup_info 0
		.amdhsa_system_vgpr_workitem_id 2
		.amdhsa_next_free_vgpr 58
		.amdhsa_next_free_sgpr 61
		.amdhsa_reserve_vcc 1
		.amdhsa_reserve_flat_scratch 0
		.amdhsa_float_round_mode_32 0
		.amdhsa_float_round_mode_16_64 0
		.amdhsa_float_denorm_mode_32 3
		.amdhsa_float_denorm_mode_16_64 3
		.amdhsa_dx10_clamp 1
		.amdhsa_ieee_mode 1
		.amdhsa_fp16_overflow 0
		.amdhsa_exception_fp_ieee_invalid_op 0
		.amdhsa_exception_fp_denorm_src 0
		.amdhsa_exception_fp_ieee_div_zero 0
		.amdhsa_exception_fp_ieee_overflow 0
		.amdhsa_exception_fp_ieee_underflow 0
		.amdhsa_exception_fp_ieee_inexact 0
		.amdhsa_exception_int_div_zero 0
	.end_amdhsa_kernel
	.section	.text._Z17sort_pairs_kernelI22helper_blocked_stripediLj128ELj8ELj10EEvPKT0_PS1_,"axG",@progbits,_Z17sort_pairs_kernelI22helper_blocked_stripediLj128ELj8ELj10EEvPKT0_PS1_,comdat
.Lfunc_end207:
	.size	_Z17sort_pairs_kernelI22helper_blocked_stripediLj128ELj8ELj10EEvPKT0_PS1_, .Lfunc_end207-_Z17sort_pairs_kernelI22helper_blocked_stripediLj128ELj8ELj10EEvPKT0_PS1_
                                        ; -- End function
	.set _Z17sort_pairs_kernelI22helper_blocked_stripediLj128ELj8ELj10EEvPKT0_PS1_.num_vgpr, 58
	.set _Z17sort_pairs_kernelI22helper_blocked_stripediLj128ELj8ELj10EEvPKT0_PS1_.num_agpr, 0
	.set _Z17sort_pairs_kernelI22helper_blocked_stripediLj128ELj8ELj10EEvPKT0_PS1_.numbered_sgpr, 38
	.set _Z17sort_pairs_kernelI22helper_blocked_stripediLj128ELj8ELj10EEvPKT0_PS1_.num_named_barrier, 0
	.set _Z17sort_pairs_kernelI22helper_blocked_stripediLj128ELj8ELj10EEvPKT0_PS1_.private_seg_size, 0
	.set _Z17sort_pairs_kernelI22helper_blocked_stripediLj128ELj8ELj10EEvPKT0_PS1_.uses_vcc, 1
	.set _Z17sort_pairs_kernelI22helper_blocked_stripediLj128ELj8ELj10EEvPKT0_PS1_.uses_flat_scratch, 0
	.set _Z17sort_pairs_kernelI22helper_blocked_stripediLj128ELj8ELj10EEvPKT0_PS1_.has_dyn_sized_stack, 0
	.set _Z17sort_pairs_kernelI22helper_blocked_stripediLj128ELj8ELj10EEvPKT0_PS1_.has_recursion, 0
	.set _Z17sort_pairs_kernelI22helper_blocked_stripediLj128ELj8ELj10EEvPKT0_PS1_.has_indirect_call, 0
	.section	.AMDGPU.csdata,"",@progbits
; Kernel info:
; codeLenInByte = 4764
; TotalNumSgprs: 42
; NumVgprs: 58
; ScratchSize: 0
; MemoryBound: 0
; FloatMode: 240
; IeeeMode: 1
; LDSByteSize: 4096 bytes/workgroup (compile time only)
; SGPRBlocks: 8
; VGPRBlocks: 14
; NumSGPRsForWavesPerEU: 65
; NumVGPRsForWavesPerEU: 58
; Occupancy: 4
; WaveLimiterHint : 1
; COMPUTE_PGM_RSRC2:SCRATCH_EN: 0
; COMPUTE_PGM_RSRC2:USER_SGPR: 6
; COMPUTE_PGM_RSRC2:TRAP_HANDLER: 0
; COMPUTE_PGM_RSRC2:TGID_X_EN: 1
; COMPUTE_PGM_RSRC2:TGID_Y_EN: 0
; COMPUTE_PGM_RSRC2:TGID_Z_EN: 0
; COMPUTE_PGM_RSRC2:TIDIG_COMP_CNT: 2
	.section	.text._Z16sort_keys_kernelI22helper_blocked_stripediLj192ELj1ELj10EEvPKT0_PS1_,"axG",@progbits,_Z16sort_keys_kernelI22helper_blocked_stripediLj192ELj1ELj10EEvPKT0_PS1_,comdat
	.protected	_Z16sort_keys_kernelI22helper_blocked_stripediLj192ELj1ELj10EEvPKT0_PS1_ ; -- Begin function _Z16sort_keys_kernelI22helper_blocked_stripediLj192ELj1ELj10EEvPKT0_PS1_
	.globl	_Z16sort_keys_kernelI22helper_blocked_stripediLj192ELj1ELj10EEvPKT0_PS1_
	.p2align	8
	.type	_Z16sort_keys_kernelI22helper_blocked_stripediLj192ELj1ELj10EEvPKT0_PS1_,@function
_Z16sort_keys_kernelI22helper_blocked_stripediLj192ELj1ELj10EEvPKT0_PS1_: ; @_Z16sort_keys_kernelI22helper_blocked_stripediLj192ELj1ELj10EEvPKT0_PS1_
; %bb.0:
	s_load_dwordx4 s[28:31], s[4:5], 0x0
	s_load_dword s24, s[4:5], 0x1c
	s_mul_i32 s0, s6, 0xc0
	s_mov_b32 s1, 0
	s_lshl_b64 s[34:35], s[0:1], 2
	s_waitcnt lgkmcnt(0)
	s_add_u32 s0, s28, s34
	s_addc_u32 s1, s29, s35
	v_lshlrev_b32_e32 v3, 2, v0
	global_load_dword v4, v3, s[0:1]
	v_mbcnt_lo_u32_b32 v5, -1, 0
	v_mbcnt_hi_u32_b32 v5, -1, v5
	v_subrev_co_u32_e64 v20, s[6:7], 1, v5
	v_and_b32_e32 v21, 64, v5
	v_cmp_lt_i32_e64 s[22:23], v20, v21
	v_cndmask_b32_e64 v20, v20, v5, s[22:23]
	s_lshr_b32 s22, s24, 16
	s_and_b32 s23, s24, 0xffff
	v_mad_u32_u24 v1, v2, s22, v1
	v_mad_u64_u32 v[1:2], s[22:23], v1, s23, v[0:1]
	v_and_b32_e32 v15, 0xc0, v0
	v_and_b32_e32 v19, 16, v5
	v_lshlrev_b32_e32 v14, 4, v0
	v_lshrrev_b32_e32 v16, 4, v0
	v_mul_i32_i24_e32 v17, -12, v0
	v_and_b32_e32 v18, 15, v5
	v_cmp_eq_u32_e64 s[16:17], 0, v19
	v_lshlrev_b32_e32 v19, 2, v15
	v_min_u32_e32 v22, 0x80, v15
	v_cmp_lt_u32_e64 s[4:5], 31, v5
	v_cmp_eq_u32_e64 s[8:9], 0, v18
	v_cmp_lt_u32_e64 s[10:11], 1, v18
	v_cmp_lt_u32_e64 s[12:13], 3, v18
	;; [unrolled: 1-line block ×3, first 2 shown]
	v_and_b32_e32 v18, 3, v5
	v_and_b32_e32 v15, 12, v16
	v_add_u32_e32 v16, v14, v17
	v_lshl_add_u32 v17, v5, 2, v19
	v_or_b32_e32 v5, 63, v22
	v_lshrrev_b32_e32 v1, 4, v1
	v_mov_b32_e32 v3, 0
	s_mov_b32 s28, 10
	s_movk_i32 s29, 0xff
	v_mov_b32_e32 v6, 12
	v_mov_b32_e32 v7, 1
	;; [unrolled: 1-line block ×8, first 2 shown]
	v_cmp_gt_u32_e32 vcc, 3, v0
	v_cmp_lt_u32_e64 s[0:1], 63, v0
	v_cmp_eq_u32_e64 s[2:3], 0, v0
	v_cmp_eq_u32_e64 s[18:19], 0, v18
	v_cmp_lt_u32_e64 s[20:21], 1, v18
	v_add_u32_e32 v18, -4, v15
	v_cmp_eq_u32_e64 s[22:23], v0, v5
	v_lshlrev_b32_e32 v19, 2, v20
	v_and_b32_e32 v20, 0xffffffc, v1
	v_mov_b32_e32 v21, 24
	s_waitcnt vmcnt(0)
	v_xor_b32_e32 v22, 0x80000000, v4
	s_branch .LBB208_2
.LBB208_1:                              ;   in Loop: Header=BB208_2 Depth=1
	s_or_b64 exec, exec, s[24:25]
	s_waitcnt lgkmcnt(0)
	v_add_u32_e32 v2, v25, v2
	ds_bpermute_b32 v2, v19, v2
	s_add_i32 s28, s28, -1
	s_cmp_eq_u32 s28, 0
	s_waitcnt lgkmcnt(0)
	v_cndmask_b32_e64 v2, v2, v25, s[6:7]
	v_cndmask_b32_e64 v2, v2, 0, s[2:3]
	v_add_u32_e32 v4, v2, v4
	v_add_u32_e32 v5, v4, v5
	;; [unrolled: 1-line block ×3, first 2 shown]
	ds_write2_b32 v14, v2, v4 offset0:3 offset1:4
	ds_write2_b32 v14, v5, v1 offset0:5 offset1:6
	s_waitcnt lgkmcnt(0)
	s_barrier
	ds_read_b32 v1, v24 offset:12
	v_lshlrev_b32_e32 v2, 2, v23
	s_waitcnt lgkmcnt(0)
	s_barrier
	v_lshl_add_u32 v1, v1, 2, v2
	ds_write_b32 v1, v22
	s_waitcnt lgkmcnt(0)
	s_barrier
	ds_read_b32 v22, v16
	s_cbranch_scc1 .LBB208_34
.LBB208_2:                              ; =>This Inner Loop Header: Depth=1
	s_waitcnt lgkmcnt(0)
	v_and_b32_e32 v1, 1, v22
	v_add_co_u32_e64 v2, s[24:25], -1, v1
	v_addc_co_u32_e64 v4, s[24:25], 0, -1, s[24:25]
	v_cmp_ne_u32_e64 s[24:25], 0, v1
	v_xor_b32_e32 v1, s25, v4
	v_lshlrev_b32_e32 v4, 30, v22
	v_xor_b32_e32 v2, s24, v2
	v_cmp_gt_i64_e64 s[24:25], 0, v[3:4]
	v_not_b32_e32 v4, v4
	v_ashrrev_i32_e32 v4, 31, v4
	v_and_b32_e32 v2, exec_lo, v2
	v_xor_b32_e32 v23, s25, v4
	v_xor_b32_e32 v4, s24, v4
	v_and_b32_e32 v2, v2, v4
	v_lshlrev_b32_e32 v4, 29, v22
	v_cmp_gt_i64_e64 s[24:25], 0, v[3:4]
	v_not_b32_e32 v4, v4
	v_and_b32_e32 v1, exec_hi, v1
	v_ashrrev_i32_e32 v4, 31, v4
	v_and_b32_e32 v1, v1, v23
	v_xor_b32_e32 v23, s25, v4
	v_xor_b32_e32 v4, s24, v4
	v_and_b32_e32 v2, v2, v4
	v_lshlrev_b32_e32 v4, 28, v22
	v_cmp_gt_i64_e64 s[24:25], 0, v[3:4]
	v_not_b32_e32 v4, v4
	v_ashrrev_i32_e32 v4, 31, v4
	v_and_b32_e32 v1, v1, v23
	v_xor_b32_e32 v23, s25, v4
	v_xor_b32_e32 v4, s24, v4
	v_and_b32_e32 v2, v2, v4
	v_lshlrev_b32_e32 v4, 27, v22
	v_cmp_gt_i64_e64 s[24:25], 0, v[3:4]
	v_not_b32_e32 v4, v4
	;; [unrolled: 8-line block ×4, first 2 shown]
	v_ashrrev_i32_e32 v4, 31, v4
	v_and_b32_e32 v1, v1, v23
	v_xor_b32_e32 v23, s25, v4
	v_xor_b32_e32 v4, s24, v4
	v_and_b32_e32 v1, v1, v23
	v_and_b32_e32 v23, v2, v4
	v_lshlrev_b32_e32 v4, 24, v22
	v_cmp_gt_i64_e64 s[24:25], 0, v[3:4]
	v_not_b32_e32 v2, v4
	v_ashrrev_i32_e32 v2, 31, v2
	v_xor_b32_e32 v4, s25, v2
	v_xor_b32_e32 v24, s24, v2
	v_and_b32_e32 v2, v1, v4
	v_and_b32_e32 v1, v23, v24
	v_mbcnt_lo_u32_b32 v4, v1, 0
	v_mbcnt_hi_u32_b32 v23, v2, v4
	v_cmp_ne_u64_e64 s[24:25], 0, v[1:2]
	v_mul_u32_u24_sdwa v5, v22, v6 dst_sel:DWORD dst_unused:UNUSED_PAD src0_sel:BYTE_0 src1_sel:DWORD
	v_cmp_eq_u32_e64 s[26:27], 0, v23
	s_and_b64 s[26:27], s[24:25], s[26:27]
	v_add_u32_e32 v24, v20, v5
	ds_write2_b32 v14, v3, v3 offset0:3 offset1:4
	ds_write2_b32 v14, v3, v3 offset0:5 offset1:6
	s_waitcnt lgkmcnt(0)
	s_barrier
	; wave barrier
	s_and_saveexec_b64 s[24:25], s[26:27]
; %bb.3:                                ;   in Loop: Header=BB208_2 Depth=1
	v_bcnt_u32_b32 v1, v1, 0
	v_bcnt_u32_b32 v1, v2, v1
	ds_write_b32 v24, v1 offset:12
; %bb.4:                                ;   in Loop: Header=BB208_2 Depth=1
	s_or_b64 exec, exec, s[24:25]
	; wave barrier
	s_waitcnt lgkmcnt(0)
	s_barrier
	ds_read2_b32 v[4:5], v14 offset0:3 offset1:4
	ds_read2_b32 v[1:2], v14 offset0:5 offset1:6
	s_waitcnt lgkmcnt(1)
	v_add_u32_e32 v25, v5, v4
	s_waitcnt lgkmcnt(0)
	v_add3_u32 v2, v25, v1, v2
	s_nop 1
	v_mov_b32_dpp v25, v2 row_shr:1 row_mask:0xf bank_mask:0xf
	v_cndmask_b32_e64 v25, v25, 0, s[8:9]
	v_add_u32_e32 v2, v25, v2
	s_nop 1
	v_mov_b32_dpp v25, v2 row_shr:2 row_mask:0xf bank_mask:0xf
	v_cndmask_b32_e64 v25, 0, v25, s[10:11]
	v_add_u32_e32 v2, v2, v25
	;; [unrolled: 4-line block ×4, first 2 shown]
	s_nop 1
	v_mov_b32_dpp v25, v2 row_bcast:15 row_mask:0xf bank_mask:0xf
	v_cndmask_b32_e64 v25, v25, 0, s[16:17]
	v_add_u32_e32 v2, v2, v25
	s_nop 1
	v_mov_b32_dpp v25, v2 row_bcast:31 row_mask:0xf bank_mask:0xf
	v_cndmask_b32_e64 v25, 0, v25, s[4:5]
	v_add_u32_e32 v2, v2, v25
	s_and_saveexec_b64 s[24:25], s[22:23]
; %bb.5:                                ;   in Loop: Header=BB208_2 Depth=1
	ds_write_b32 v15, v2
; %bb.6:                                ;   in Loop: Header=BB208_2 Depth=1
	s_or_b64 exec, exec, s[24:25]
	s_waitcnt lgkmcnt(0)
	s_barrier
	s_and_saveexec_b64 s[24:25], vcc
	s_cbranch_execz .LBB208_8
; %bb.7:                                ;   in Loop: Header=BB208_2 Depth=1
	ds_read_b32 v25, v16
	s_waitcnt lgkmcnt(0)
	s_nop 0
	v_mov_b32_dpp v26, v25 row_shr:1 row_mask:0xf bank_mask:0xf
	v_cndmask_b32_e64 v26, v26, 0, s[18:19]
	v_add_u32_e32 v25, v26, v25
	s_nop 1
	v_mov_b32_dpp v26, v25 row_shr:2 row_mask:0xf bank_mask:0xf
	v_cndmask_b32_e64 v26, 0, v26, s[20:21]
	v_add_u32_e32 v25, v25, v26
	ds_write_b32 v16, v25
.LBB208_8:                              ;   in Loop: Header=BB208_2 Depth=1
	s_or_b64 exec, exec, s[24:25]
	v_mov_b32_e32 v25, 0
	s_waitcnt lgkmcnt(0)
	s_barrier
	s_and_saveexec_b64 s[24:25], s[0:1]
; %bb.9:                                ;   in Loop: Header=BB208_2 Depth=1
	ds_read_b32 v25, v18
; %bb.10:                               ;   in Loop: Header=BB208_2 Depth=1
	s_or_b64 exec, exec, s[24:25]
	s_waitcnt lgkmcnt(0)
	v_add_u32_e32 v2, v25, v2
	ds_bpermute_b32 v2, v19, v2
	s_waitcnt lgkmcnt(0)
	v_cndmask_b32_e64 v2, v2, v25, s[6:7]
	v_cndmask_b32_e64 v2, v2, 0, s[2:3]
	v_add_u32_e32 v4, v2, v4
	v_add_u32_e32 v5, v4, v5
	;; [unrolled: 1-line block ×3, first 2 shown]
	ds_write2_b32 v14, v2, v4 offset0:3 offset1:4
	ds_write2_b32 v14, v5, v1 offset0:5 offset1:6
	s_waitcnt lgkmcnt(0)
	s_barrier
	ds_read_b32 v1, v24 offset:12
	v_lshlrev_b32_e32 v2, 2, v23
	s_waitcnt lgkmcnt(0)
	s_barrier
	v_lshl_add_u32 v1, v1, 2, v2
	ds_write_b32 v1, v22
	s_waitcnt lgkmcnt(0)
	s_barrier
	ds_read_b32 v22, v17
	s_waitcnt lgkmcnt(0)
	s_barrier
	ds_write2_b32 v14, v3, v3 offset0:3 offset1:4
	ds_write2_b32 v14, v3, v3 offset0:5 offset1:6
	v_lshrrev_b32_e32 v1, 8, v22
	v_and_b32_e32 v2, 1, v1
	v_add_co_u32_e64 v4, s[24:25], -1, v2
	v_addc_co_u32_e64 v23, s[24:25], 0, -1, s[24:25]
	v_cmp_ne_u32_e64 s[24:25], 0, v2
	v_xor_b32_e32 v4, s24, v4
	v_xor_b32_e32 v2, s25, v23
	v_and_b32_e32 v23, exec_lo, v4
	v_lshlrev_b32_e32 v4, 30, v1
	v_cmp_gt_i64_e64 s[24:25], 0, v[3:4]
	v_not_b32_e32 v4, v4
	v_ashrrev_i32_e32 v4, 31, v4
	v_xor_b32_e32 v24, s25, v4
	v_xor_b32_e32 v4, s24, v4
	v_and_b32_e32 v23, v23, v4
	v_lshlrev_b32_e32 v4, 29, v1
	v_cmp_gt_i64_e64 s[24:25], 0, v[3:4]
	v_not_b32_e32 v4, v4
	v_and_b32_e32 v2, exec_hi, v2
	v_ashrrev_i32_e32 v4, 31, v4
	v_and_b32_e32 v2, v2, v24
	v_xor_b32_e32 v24, s25, v4
	v_xor_b32_e32 v4, s24, v4
	v_and_b32_e32 v23, v23, v4
	v_lshlrev_b32_e32 v4, 28, v1
	v_cmp_gt_i64_e64 s[24:25], 0, v[3:4]
	v_not_b32_e32 v4, v4
	v_ashrrev_i32_e32 v4, 31, v4
	v_and_b32_e32 v2, v2, v24
	v_xor_b32_e32 v24, s25, v4
	v_xor_b32_e32 v4, s24, v4
	v_and_b32_e32 v23, v23, v4
	v_lshlrev_b32_e32 v4, 27, v1
	v_cmp_gt_i64_e64 s[24:25], 0, v[3:4]
	v_not_b32_e32 v4, v4
	;; [unrolled: 8-line block ×4, first 2 shown]
	v_ashrrev_i32_e32 v4, 31, v4
	v_and_b32_e32 v2, v2, v24
	v_xor_b32_e32 v24, s25, v4
	v_xor_b32_e32 v4, s24, v4
	v_and_b32_e32 v23, v23, v4
	v_lshlrev_b32_e32 v4, 24, v1
	v_mul_u32_u24_sdwa v5, v1, v6 dst_sel:DWORD dst_unused:UNUSED_PAD src0_sel:BYTE_0 src1_sel:DWORD
	v_cmp_gt_i64_e64 s[24:25], 0, v[3:4]
	v_not_b32_e32 v1, v4
	v_ashrrev_i32_e32 v1, 31, v1
	v_xor_b32_e32 v4, s25, v1
	v_xor_b32_e32 v1, s24, v1
	v_and_b32_e32 v2, v2, v24
	v_and_b32_e32 v1, v23, v1
	v_and_b32_e32 v2, v2, v4
	v_mbcnt_lo_u32_b32 v4, v1, 0
	v_mbcnt_hi_u32_b32 v23, v2, v4
	v_cmp_ne_u64_e64 s[24:25], 0, v[1:2]
	v_cmp_eq_u32_e64 s[26:27], 0, v23
	s_and_b64 s[26:27], s[24:25], s[26:27]
	v_add_u32_e32 v24, v20, v5
	s_waitcnt lgkmcnt(0)
	s_barrier
	; wave barrier
	s_and_saveexec_b64 s[24:25], s[26:27]
; %bb.11:                               ;   in Loop: Header=BB208_2 Depth=1
	v_bcnt_u32_b32 v1, v1, 0
	v_bcnt_u32_b32 v1, v2, v1
	ds_write_b32 v24, v1 offset:12
; %bb.12:                               ;   in Loop: Header=BB208_2 Depth=1
	s_or_b64 exec, exec, s[24:25]
	; wave barrier
	s_waitcnt lgkmcnt(0)
	s_barrier
	ds_read2_b32 v[4:5], v14 offset0:3 offset1:4
	ds_read2_b32 v[1:2], v14 offset0:5 offset1:6
	s_waitcnt lgkmcnt(1)
	v_add_u32_e32 v25, v5, v4
	s_waitcnt lgkmcnt(0)
	v_add3_u32 v2, v25, v1, v2
	s_nop 1
	v_mov_b32_dpp v25, v2 row_shr:1 row_mask:0xf bank_mask:0xf
	v_cndmask_b32_e64 v25, v25, 0, s[8:9]
	v_add_u32_e32 v2, v25, v2
	s_nop 1
	v_mov_b32_dpp v25, v2 row_shr:2 row_mask:0xf bank_mask:0xf
	v_cndmask_b32_e64 v25, 0, v25, s[10:11]
	v_add_u32_e32 v2, v2, v25
	;; [unrolled: 4-line block ×4, first 2 shown]
	s_nop 1
	v_mov_b32_dpp v25, v2 row_bcast:15 row_mask:0xf bank_mask:0xf
	v_cndmask_b32_e64 v25, v25, 0, s[16:17]
	v_add_u32_e32 v2, v2, v25
	s_nop 1
	v_mov_b32_dpp v25, v2 row_bcast:31 row_mask:0xf bank_mask:0xf
	v_cndmask_b32_e64 v25, 0, v25, s[4:5]
	v_add_u32_e32 v2, v2, v25
	s_and_saveexec_b64 s[24:25], s[22:23]
; %bb.13:                               ;   in Loop: Header=BB208_2 Depth=1
	ds_write_b32 v15, v2
; %bb.14:                               ;   in Loop: Header=BB208_2 Depth=1
	s_or_b64 exec, exec, s[24:25]
	s_waitcnt lgkmcnt(0)
	s_barrier
	s_and_saveexec_b64 s[24:25], vcc
	s_cbranch_execz .LBB208_16
; %bb.15:                               ;   in Loop: Header=BB208_2 Depth=1
	ds_read_b32 v25, v16
	s_waitcnt lgkmcnt(0)
	s_nop 0
	v_mov_b32_dpp v26, v25 row_shr:1 row_mask:0xf bank_mask:0xf
	v_cndmask_b32_e64 v26, v26, 0, s[18:19]
	v_add_u32_e32 v25, v26, v25
	s_nop 1
	v_mov_b32_dpp v26, v25 row_shr:2 row_mask:0xf bank_mask:0xf
	v_cndmask_b32_e64 v26, 0, v26, s[20:21]
	v_add_u32_e32 v25, v25, v26
	ds_write_b32 v16, v25
.LBB208_16:                             ;   in Loop: Header=BB208_2 Depth=1
	s_or_b64 exec, exec, s[24:25]
	v_mov_b32_e32 v25, 0
	s_waitcnt lgkmcnt(0)
	s_barrier
	s_and_saveexec_b64 s[24:25], s[0:1]
; %bb.17:                               ;   in Loop: Header=BB208_2 Depth=1
	ds_read_b32 v25, v18
; %bb.18:                               ;   in Loop: Header=BB208_2 Depth=1
	s_or_b64 exec, exec, s[24:25]
	s_waitcnt lgkmcnt(0)
	v_add_u32_e32 v2, v25, v2
	ds_bpermute_b32 v2, v19, v2
	s_waitcnt lgkmcnt(0)
	v_cndmask_b32_e64 v2, v2, v25, s[6:7]
	v_cndmask_b32_e64 v2, v2, 0, s[2:3]
	v_add_u32_e32 v4, v2, v4
	v_add_u32_e32 v5, v4, v5
	;; [unrolled: 1-line block ×3, first 2 shown]
	ds_write2_b32 v14, v2, v4 offset0:3 offset1:4
	ds_write2_b32 v14, v5, v1 offset0:5 offset1:6
	s_waitcnt lgkmcnt(0)
	s_barrier
	ds_read_b32 v1, v24 offset:12
	v_lshlrev_b32_e32 v2, 2, v23
	s_waitcnt lgkmcnt(0)
	s_barrier
	v_lshl_add_u32 v1, v1, 2, v2
	ds_write_b32 v1, v22
	s_waitcnt lgkmcnt(0)
	s_barrier
	ds_read_b32 v22, v17
	s_waitcnt lgkmcnt(0)
	s_barrier
	ds_write2_b32 v14, v3, v3 offset0:3 offset1:4
	ds_write2_b32 v14, v3, v3 offset0:5 offset1:6
	v_and_b32_sdwa v1, v22, s29 dst_sel:DWORD dst_unused:UNUSED_PAD src0_sel:WORD_1 src1_sel:DWORD
	v_mul_u32_u24_e32 v5, 12, v1
	v_and_b32_sdwa v1, v22, v7 dst_sel:DWORD dst_unused:UNUSED_PAD src0_sel:WORD_1 src1_sel:DWORD
	v_add_co_u32_e64 v2, s[24:25], -1, v1
	v_addc_co_u32_e64 v4, s[24:25], 0, -1, s[24:25]
	v_cmp_ne_u32_e64 s[24:25], 0, v1
	v_xor_b32_e32 v1, s25, v4
	v_lshlrev_b32_sdwa v4, v8, v22 dst_sel:DWORD dst_unused:UNUSED_PAD src0_sel:DWORD src1_sel:WORD_1
	v_xor_b32_e32 v2, s24, v2
	v_cmp_gt_i64_e64 s[24:25], 0, v[3:4]
	v_not_b32_e32 v4, v4
	v_ashrrev_i32_e32 v4, 31, v4
	v_and_b32_e32 v2, exec_lo, v2
	v_xor_b32_e32 v23, s25, v4
	v_xor_b32_e32 v4, s24, v4
	v_and_b32_e32 v2, v2, v4
	v_lshlrev_b32_sdwa v4, v9, v22 dst_sel:DWORD dst_unused:UNUSED_PAD src0_sel:DWORD src1_sel:WORD_1
	v_cmp_gt_i64_e64 s[24:25], 0, v[3:4]
	v_not_b32_e32 v4, v4
	v_and_b32_e32 v1, exec_hi, v1
	v_ashrrev_i32_e32 v4, 31, v4
	v_and_b32_e32 v1, v1, v23
	v_xor_b32_e32 v23, s25, v4
	v_xor_b32_e32 v4, s24, v4
	v_and_b32_e32 v2, v2, v4
	v_lshlrev_b32_sdwa v4, v10, v22 dst_sel:DWORD dst_unused:UNUSED_PAD src0_sel:DWORD src1_sel:WORD_1
	v_cmp_gt_i64_e64 s[24:25], 0, v[3:4]
	v_not_b32_e32 v4, v4
	v_ashrrev_i32_e32 v4, 31, v4
	v_and_b32_e32 v1, v1, v23
	v_xor_b32_e32 v23, s25, v4
	v_xor_b32_e32 v4, s24, v4
	v_and_b32_e32 v2, v2, v4
	v_lshlrev_b32_sdwa v4, v11, v22 dst_sel:DWORD dst_unused:UNUSED_PAD src0_sel:DWORD src1_sel:WORD_1
	v_cmp_gt_i64_e64 s[24:25], 0, v[3:4]
	v_not_b32_e32 v4, v4
	;; [unrolled: 8-line block ×4, first 2 shown]
	v_ashrrev_i32_e32 v4, 31, v4
	v_and_b32_e32 v1, v1, v23
	v_xor_b32_e32 v23, s25, v4
	v_xor_b32_e32 v4, s24, v4
	v_and_b32_e32 v1, v1, v23
	v_and_b32_e32 v23, v2, v4
	v_lshlrev_b32_sdwa v4, v21, v22 dst_sel:DWORD dst_unused:UNUSED_PAD src0_sel:DWORD src1_sel:WORD_1
	v_cmp_gt_i64_e64 s[24:25], 0, v[3:4]
	v_not_b32_e32 v2, v4
	v_ashrrev_i32_e32 v2, 31, v2
	v_xor_b32_e32 v4, s25, v2
	v_xor_b32_e32 v24, s24, v2
	v_and_b32_e32 v2, v1, v4
	v_and_b32_e32 v1, v23, v24
	v_mbcnt_lo_u32_b32 v4, v1, 0
	v_mbcnt_hi_u32_b32 v23, v2, v4
	v_cmp_ne_u64_e64 s[24:25], 0, v[1:2]
	v_cmp_eq_u32_e64 s[26:27], 0, v23
	s_and_b64 s[26:27], s[24:25], s[26:27]
	v_add_u32_e32 v24, v20, v5
	s_waitcnt lgkmcnt(0)
	s_barrier
	; wave barrier
	s_and_saveexec_b64 s[24:25], s[26:27]
; %bb.19:                               ;   in Loop: Header=BB208_2 Depth=1
	v_bcnt_u32_b32 v1, v1, 0
	v_bcnt_u32_b32 v1, v2, v1
	ds_write_b32 v24, v1 offset:12
; %bb.20:                               ;   in Loop: Header=BB208_2 Depth=1
	s_or_b64 exec, exec, s[24:25]
	; wave barrier
	s_waitcnt lgkmcnt(0)
	s_barrier
	ds_read2_b32 v[4:5], v14 offset0:3 offset1:4
	ds_read2_b32 v[1:2], v14 offset0:5 offset1:6
	s_waitcnt lgkmcnt(1)
	v_add_u32_e32 v25, v5, v4
	s_waitcnt lgkmcnt(0)
	v_add3_u32 v2, v25, v1, v2
	s_nop 1
	v_mov_b32_dpp v25, v2 row_shr:1 row_mask:0xf bank_mask:0xf
	v_cndmask_b32_e64 v25, v25, 0, s[8:9]
	v_add_u32_e32 v2, v25, v2
	s_nop 1
	v_mov_b32_dpp v25, v2 row_shr:2 row_mask:0xf bank_mask:0xf
	v_cndmask_b32_e64 v25, 0, v25, s[10:11]
	v_add_u32_e32 v2, v2, v25
	;; [unrolled: 4-line block ×4, first 2 shown]
	s_nop 1
	v_mov_b32_dpp v25, v2 row_bcast:15 row_mask:0xf bank_mask:0xf
	v_cndmask_b32_e64 v25, v25, 0, s[16:17]
	v_add_u32_e32 v2, v2, v25
	s_nop 1
	v_mov_b32_dpp v25, v2 row_bcast:31 row_mask:0xf bank_mask:0xf
	v_cndmask_b32_e64 v25, 0, v25, s[4:5]
	v_add_u32_e32 v2, v2, v25
	s_and_saveexec_b64 s[24:25], s[22:23]
; %bb.21:                               ;   in Loop: Header=BB208_2 Depth=1
	ds_write_b32 v15, v2
; %bb.22:                               ;   in Loop: Header=BB208_2 Depth=1
	s_or_b64 exec, exec, s[24:25]
	s_waitcnt lgkmcnt(0)
	s_barrier
	s_and_saveexec_b64 s[24:25], vcc
	s_cbranch_execz .LBB208_24
; %bb.23:                               ;   in Loop: Header=BB208_2 Depth=1
	ds_read_b32 v25, v16
	s_waitcnt lgkmcnt(0)
	s_nop 0
	v_mov_b32_dpp v26, v25 row_shr:1 row_mask:0xf bank_mask:0xf
	v_cndmask_b32_e64 v26, v26, 0, s[18:19]
	v_add_u32_e32 v25, v26, v25
	s_nop 1
	v_mov_b32_dpp v26, v25 row_shr:2 row_mask:0xf bank_mask:0xf
	v_cndmask_b32_e64 v26, 0, v26, s[20:21]
	v_add_u32_e32 v25, v25, v26
	ds_write_b32 v16, v25
.LBB208_24:                             ;   in Loop: Header=BB208_2 Depth=1
	s_or_b64 exec, exec, s[24:25]
	v_mov_b32_e32 v25, 0
	s_waitcnt lgkmcnt(0)
	s_barrier
	s_and_saveexec_b64 s[24:25], s[0:1]
; %bb.25:                               ;   in Loop: Header=BB208_2 Depth=1
	ds_read_b32 v25, v18
; %bb.26:                               ;   in Loop: Header=BB208_2 Depth=1
	s_or_b64 exec, exec, s[24:25]
	s_waitcnt lgkmcnt(0)
	v_add_u32_e32 v2, v25, v2
	ds_bpermute_b32 v2, v19, v2
	s_waitcnt lgkmcnt(0)
	v_cndmask_b32_e64 v2, v2, v25, s[6:7]
	v_cndmask_b32_e64 v2, v2, 0, s[2:3]
	v_add_u32_e32 v4, v2, v4
	v_add_u32_e32 v5, v4, v5
	;; [unrolled: 1-line block ×3, first 2 shown]
	ds_write2_b32 v14, v2, v4 offset0:3 offset1:4
	ds_write2_b32 v14, v5, v1 offset0:5 offset1:6
	s_waitcnt lgkmcnt(0)
	s_barrier
	ds_read_b32 v1, v24 offset:12
	v_lshlrev_b32_e32 v2, 2, v23
	s_waitcnt lgkmcnt(0)
	s_barrier
	v_lshl_add_u32 v1, v1, 2, v2
	ds_write_b32 v1, v22
	s_waitcnt lgkmcnt(0)
	s_barrier
	ds_read_b32 v22, v17
	s_waitcnt lgkmcnt(0)
	s_barrier
	ds_write2_b32 v14, v3, v3 offset0:3 offset1:4
	ds_write2_b32 v14, v3, v3 offset0:5 offset1:6
	v_and_b32_sdwa v1, v22, v7 dst_sel:DWORD dst_unused:UNUSED_PAD src0_sel:BYTE_3 src1_sel:DWORD
	v_add_co_u32_e64 v2, s[24:25], -1, v1
	v_addc_co_u32_e64 v4, s[24:25], 0, -1, s[24:25]
	v_cmp_ne_u32_e64 s[24:25], 0, v1
	v_xor_b32_e32 v1, s25, v4
	v_lshlrev_b32_sdwa v4, v8, v22 dst_sel:DWORD dst_unused:UNUSED_PAD src0_sel:DWORD src1_sel:BYTE_3
	v_xor_b32_e32 v2, s24, v2
	v_cmp_gt_i64_e64 s[24:25], 0, v[3:4]
	v_not_b32_e32 v4, v4
	v_ashrrev_i32_e32 v4, 31, v4
	v_and_b32_e32 v2, exec_lo, v2
	v_xor_b32_e32 v23, s25, v4
	v_xor_b32_e32 v4, s24, v4
	v_and_b32_e32 v2, v2, v4
	v_lshlrev_b32_sdwa v4, v9, v22 dst_sel:DWORD dst_unused:UNUSED_PAD src0_sel:DWORD src1_sel:BYTE_3
	v_cmp_gt_i64_e64 s[24:25], 0, v[3:4]
	v_not_b32_e32 v4, v4
	v_and_b32_e32 v1, exec_hi, v1
	v_ashrrev_i32_e32 v4, 31, v4
	v_and_b32_e32 v1, v1, v23
	v_xor_b32_e32 v23, s25, v4
	v_xor_b32_e32 v4, s24, v4
	v_and_b32_e32 v2, v2, v4
	v_lshlrev_b32_sdwa v4, v10, v22 dst_sel:DWORD dst_unused:UNUSED_PAD src0_sel:DWORD src1_sel:BYTE_3
	v_cmp_gt_i64_e64 s[24:25], 0, v[3:4]
	v_not_b32_e32 v4, v4
	v_ashrrev_i32_e32 v4, 31, v4
	v_and_b32_e32 v1, v1, v23
	v_xor_b32_e32 v23, s25, v4
	v_xor_b32_e32 v4, s24, v4
	v_and_b32_e32 v2, v2, v4
	v_lshlrev_b32_sdwa v4, v11, v22 dst_sel:DWORD dst_unused:UNUSED_PAD src0_sel:DWORD src1_sel:BYTE_3
	v_cmp_gt_i64_e64 s[24:25], 0, v[3:4]
	v_not_b32_e32 v4, v4
	;; [unrolled: 8-line block ×4, first 2 shown]
	v_ashrrev_i32_e32 v4, 31, v4
	v_and_b32_e32 v1, v1, v23
	v_xor_b32_e32 v23, s25, v4
	v_xor_b32_e32 v4, s24, v4
	v_and_b32_e32 v1, v1, v23
	v_and_b32_e32 v23, v2, v4
	v_lshlrev_b32_sdwa v4, v21, v22 dst_sel:DWORD dst_unused:UNUSED_PAD src0_sel:DWORD src1_sel:BYTE_3
	v_cmp_gt_i64_e64 s[24:25], 0, v[3:4]
	v_not_b32_e32 v2, v4
	v_ashrrev_i32_e32 v2, 31, v2
	v_xor_b32_e32 v4, s25, v2
	v_xor_b32_e32 v24, s24, v2
	v_and_b32_e32 v2, v1, v4
	v_and_b32_e32 v1, v23, v24
	v_mbcnt_lo_u32_b32 v4, v1, 0
	v_mbcnt_hi_u32_b32 v23, v2, v4
	v_cmp_ne_u64_e64 s[24:25], 0, v[1:2]
	v_mul_u32_u24_sdwa v5, v22, v6 dst_sel:DWORD dst_unused:UNUSED_PAD src0_sel:BYTE_3 src1_sel:DWORD
	v_cmp_eq_u32_e64 s[26:27], 0, v23
	s_and_b64 s[26:27], s[24:25], s[26:27]
	v_add_u32_e32 v24, v20, v5
	s_waitcnt lgkmcnt(0)
	s_barrier
	; wave barrier
	s_and_saveexec_b64 s[24:25], s[26:27]
; %bb.27:                               ;   in Loop: Header=BB208_2 Depth=1
	v_bcnt_u32_b32 v1, v1, 0
	v_bcnt_u32_b32 v1, v2, v1
	ds_write_b32 v24, v1 offset:12
; %bb.28:                               ;   in Loop: Header=BB208_2 Depth=1
	s_or_b64 exec, exec, s[24:25]
	; wave barrier
	s_waitcnt lgkmcnt(0)
	s_barrier
	ds_read2_b32 v[4:5], v14 offset0:3 offset1:4
	ds_read2_b32 v[1:2], v14 offset0:5 offset1:6
	s_waitcnt lgkmcnt(1)
	v_add_u32_e32 v25, v5, v4
	s_waitcnt lgkmcnt(0)
	v_add3_u32 v2, v25, v1, v2
	s_nop 1
	v_mov_b32_dpp v25, v2 row_shr:1 row_mask:0xf bank_mask:0xf
	v_cndmask_b32_e64 v25, v25, 0, s[8:9]
	v_add_u32_e32 v2, v25, v2
	s_nop 1
	v_mov_b32_dpp v25, v2 row_shr:2 row_mask:0xf bank_mask:0xf
	v_cndmask_b32_e64 v25, 0, v25, s[10:11]
	v_add_u32_e32 v2, v2, v25
	;; [unrolled: 4-line block ×4, first 2 shown]
	s_nop 1
	v_mov_b32_dpp v25, v2 row_bcast:15 row_mask:0xf bank_mask:0xf
	v_cndmask_b32_e64 v25, v25, 0, s[16:17]
	v_add_u32_e32 v2, v2, v25
	s_nop 1
	v_mov_b32_dpp v25, v2 row_bcast:31 row_mask:0xf bank_mask:0xf
	v_cndmask_b32_e64 v25, 0, v25, s[4:5]
	v_add_u32_e32 v2, v2, v25
	s_and_saveexec_b64 s[24:25], s[22:23]
; %bb.29:                               ;   in Loop: Header=BB208_2 Depth=1
	ds_write_b32 v15, v2
; %bb.30:                               ;   in Loop: Header=BB208_2 Depth=1
	s_or_b64 exec, exec, s[24:25]
	s_waitcnt lgkmcnt(0)
	s_barrier
	s_and_saveexec_b64 s[24:25], vcc
	s_cbranch_execz .LBB208_32
; %bb.31:                               ;   in Loop: Header=BB208_2 Depth=1
	ds_read_b32 v25, v16
	s_waitcnt lgkmcnt(0)
	s_nop 0
	v_mov_b32_dpp v26, v25 row_shr:1 row_mask:0xf bank_mask:0xf
	v_cndmask_b32_e64 v26, v26, 0, s[18:19]
	v_add_u32_e32 v25, v26, v25
	s_nop 1
	v_mov_b32_dpp v26, v25 row_shr:2 row_mask:0xf bank_mask:0xf
	v_cndmask_b32_e64 v26, 0, v26, s[20:21]
	v_add_u32_e32 v25, v25, v26
	ds_write_b32 v16, v25
.LBB208_32:                             ;   in Loop: Header=BB208_2 Depth=1
	s_or_b64 exec, exec, s[24:25]
	v_mov_b32_e32 v25, 0
	s_waitcnt lgkmcnt(0)
	s_barrier
	s_and_saveexec_b64 s[24:25], s[0:1]
	s_cbranch_execz .LBB208_1
; %bb.33:                               ;   in Loop: Header=BB208_2 Depth=1
	ds_read_b32 v25, v18
	s_branch .LBB208_1
.LBB208_34:
	s_add_u32 s0, s30, s34
	s_waitcnt lgkmcnt(0)
	v_xor_b32_e32 v1, 0x80000000, v22
	s_addc_u32 s1, s31, s35
	v_lshlrev_b32_e32 v0, 2, v0
	global_store_dword v0, v1, s[0:1]
	s_endpgm
	.section	.rodata,"a",@progbits
	.p2align	6, 0x0
	.amdhsa_kernel _Z16sort_keys_kernelI22helper_blocked_stripediLj192ELj1ELj10EEvPKT0_PS1_
		.amdhsa_group_segment_fixed_size 3088
		.amdhsa_private_segment_fixed_size 0
		.amdhsa_kernarg_size 272
		.amdhsa_user_sgpr_count 6
		.amdhsa_user_sgpr_private_segment_buffer 1
		.amdhsa_user_sgpr_dispatch_ptr 0
		.amdhsa_user_sgpr_queue_ptr 0
		.amdhsa_user_sgpr_kernarg_segment_ptr 1
		.amdhsa_user_sgpr_dispatch_id 0
		.amdhsa_user_sgpr_flat_scratch_init 0
		.amdhsa_user_sgpr_private_segment_size 0
		.amdhsa_uses_dynamic_stack 0
		.amdhsa_system_sgpr_private_segment_wavefront_offset 0
		.amdhsa_system_sgpr_workgroup_id_x 1
		.amdhsa_system_sgpr_workgroup_id_y 0
		.amdhsa_system_sgpr_workgroup_id_z 0
		.amdhsa_system_sgpr_workgroup_info 0
		.amdhsa_system_vgpr_workitem_id 2
		.amdhsa_next_free_vgpr 27
		.amdhsa_next_free_sgpr 36
		.amdhsa_reserve_vcc 1
		.amdhsa_reserve_flat_scratch 0
		.amdhsa_float_round_mode_32 0
		.amdhsa_float_round_mode_16_64 0
		.amdhsa_float_denorm_mode_32 3
		.amdhsa_float_denorm_mode_16_64 3
		.amdhsa_dx10_clamp 1
		.amdhsa_ieee_mode 1
		.amdhsa_fp16_overflow 0
		.amdhsa_exception_fp_ieee_invalid_op 0
		.amdhsa_exception_fp_denorm_src 0
		.amdhsa_exception_fp_ieee_div_zero 0
		.amdhsa_exception_fp_ieee_overflow 0
		.amdhsa_exception_fp_ieee_underflow 0
		.amdhsa_exception_fp_ieee_inexact 0
		.amdhsa_exception_int_div_zero 0
	.end_amdhsa_kernel
	.section	.text._Z16sort_keys_kernelI22helper_blocked_stripediLj192ELj1ELj10EEvPKT0_PS1_,"axG",@progbits,_Z16sort_keys_kernelI22helper_blocked_stripediLj192ELj1ELj10EEvPKT0_PS1_,comdat
.Lfunc_end208:
	.size	_Z16sort_keys_kernelI22helper_blocked_stripediLj192ELj1ELj10EEvPKT0_PS1_, .Lfunc_end208-_Z16sort_keys_kernelI22helper_blocked_stripediLj192ELj1ELj10EEvPKT0_PS1_
                                        ; -- End function
	.set _Z16sort_keys_kernelI22helper_blocked_stripediLj192ELj1ELj10EEvPKT0_PS1_.num_vgpr, 27
	.set _Z16sort_keys_kernelI22helper_blocked_stripediLj192ELj1ELj10EEvPKT0_PS1_.num_agpr, 0
	.set _Z16sort_keys_kernelI22helper_blocked_stripediLj192ELj1ELj10EEvPKT0_PS1_.numbered_sgpr, 36
	.set _Z16sort_keys_kernelI22helper_blocked_stripediLj192ELj1ELj10EEvPKT0_PS1_.num_named_barrier, 0
	.set _Z16sort_keys_kernelI22helper_blocked_stripediLj192ELj1ELj10EEvPKT0_PS1_.private_seg_size, 0
	.set _Z16sort_keys_kernelI22helper_blocked_stripediLj192ELj1ELj10EEvPKT0_PS1_.uses_vcc, 1
	.set _Z16sort_keys_kernelI22helper_blocked_stripediLj192ELj1ELj10EEvPKT0_PS1_.uses_flat_scratch, 0
	.set _Z16sort_keys_kernelI22helper_blocked_stripediLj192ELj1ELj10EEvPKT0_PS1_.has_dyn_sized_stack, 0
	.set _Z16sort_keys_kernelI22helper_blocked_stripediLj192ELj1ELj10EEvPKT0_PS1_.has_recursion, 0
	.set _Z16sort_keys_kernelI22helper_blocked_stripediLj192ELj1ELj10EEvPKT0_PS1_.has_indirect_call, 0
	.section	.AMDGPU.csdata,"",@progbits
; Kernel info:
; codeLenInByte = 3900
; TotalNumSgprs: 40
; NumVgprs: 27
; ScratchSize: 0
; MemoryBound: 0
; FloatMode: 240
; IeeeMode: 1
; LDSByteSize: 3088 bytes/workgroup (compile time only)
; SGPRBlocks: 4
; VGPRBlocks: 6
; NumSGPRsForWavesPerEU: 40
; NumVGPRsForWavesPerEU: 27
; Occupancy: 9
; WaveLimiterHint : 0
; COMPUTE_PGM_RSRC2:SCRATCH_EN: 0
; COMPUTE_PGM_RSRC2:USER_SGPR: 6
; COMPUTE_PGM_RSRC2:TRAP_HANDLER: 0
; COMPUTE_PGM_RSRC2:TGID_X_EN: 1
; COMPUTE_PGM_RSRC2:TGID_Y_EN: 0
; COMPUTE_PGM_RSRC2:TGID_Z_EN: 0
; COMPUTE_PGM_RSRC2:TIDIG_COMP_CNT: 2
	.section	.text._Z17sort_pairs_kernelI22helper_blocked_stripediLj192ELj1ELj10EEvPKT0_PS1_,"axG",@progbits,_Z17sort_pairs_kernelI22helper_blocked_stripediLj192ELj1ELj10EEvPKT0_PS1_,comdat
	.protected	_Z17sort_pairs_kernelI22helper_blocked_stripediLj192ELj1ELj10EEvPKT0_PS1_ ; -- Begin function _Z17sort_pairs_kernelI22helper_blocked_stripediLj192ELj1ELj10EEvPKT0_PS1_
	.globl	_Z17sort_pairs_kernelI22helper_blocked_stripediLj192ELj1ELj10EEvPKT0_PS1_
	.p2align	8
	.type	_Z17sort_pairs_kernelI22helper_blocked_stripediLj192ELj1ELj10EEvPKT0_PS1_,@function
_Z17sort_pairs_kernelI22helper_blocked_stripediLj192ELj1ELj10EEvPKT0_PS1_: ; @_Z17sort_pairs_kernelI22helper_blocked_stripediLj192ELj1ELj10EEvPKT0_PS1_
; %bb.0:
	s_load_dwordx4 s[28:31], s[4:5], 0x0
	s_load_dword s24, s[4:5], 0x1c
	s_mul_i32 s0, s6, 0xc0
	s_mov_b32 s1, 0
	s_lshl_b64 s[34:35], s[0:1], 2
	s_waitcnt lgkmcnt(0)
	s_add_u32 s0, s28, s34
	s_addc_u32 s1, s29, s35
	v_lshlrev_b32_e32 v3, 2, v0
	global_load_dword v3, v3, s[0:1]
	v_mbcnt_lo_u32_b32 v4, -1, 0
	v_mbcnt_hi_u32_b32 v4, -1, v4
	v_subrev_co_u32_e64 v20, s[6:7], 1, v4
	v_and_b32_e32 v21, 64, v4
	v_cmp_lt_i32_e64 s[22:23], v20, v21
	v_cndmask_b32_e64 v20, v20, v4, s[22:23]
	s_lshr_b32 s22, s24, 16
	s_and_b32 s23, s24, 0xffff
	v_mad_u32_u24 v1, v2, s22, v1
	v_mad_u64_u32 v[1:2], s[22:23], v1, s23, v[0:1]
	v_and_b32_e32 v5, 0xc0, v0
	v_lshrrev_b32_e32 v16, 4, v0
	v_and_b32_e32 v18, 15, v4
	v_lshlrev_b32_e32 v23, 2, v5
	v_min_u32_e32 v5, 0x80, v5
	v_lshlrev_b32_e32 v15, 4, v0
	v_mul_i32_i24_e32 v17, -12, v0
	v_and_b32_e32 v19, 16, v4
	v_cmp_lt_u32_e64 s[4:5], 31, v4
	v_and_b32_e32 v22, 3, v4
	v_and_b32_e32 v16, 12, v16
	v_cmp_eq_u32_e64 s[8:9], 0, v18
	v_cmp_lt_u32_e64 s[10:11], 1, v18
	v_cmp_lt_u32_e64 s[12:13], 3, v18
	;; [unrolled: 1-line block ×3, first 2 shown]
	v_lshl_add_u32 v18, v4, 2, v23
	v_or_b32_e32 v4, 63, v5
	v_lshrrev_b32_e32 v1, 4, v1
	s_mov_b32 s28, 10
	s_movk_i32 s29, 0xff
	v_mov_b32_e32 v6, 12
	v_mov_b32_e32 v7, 1
	;; [unrolled: 1-line block ×9, first 2 shown]
	v_cmp_gt_u32_e32 vcc, 3, v0
	v_cmp_lt_u32_e64 s[0:1], 63, v0
	v_cmp_eq_u32_e64 s[2:3], 0, v0
	v_add_u32_e32 v17, v15, v17
	v_cmp_eq_u32_e64 s[16:17], 0, v19
	v_cmp_eq_u32_e64 s[18:19], 0, v22
	v_cmp_lt_u32_e64 s[20:21], 1, v22
	v_add_u32_e32 v19, -4, v16
	v_cmp_eq_u32_e64 s[22:23], v0, v4
	v_lshlrev_b32_e32 v20, 2, v20
	v_and_b32_e32 v21, 0xffffffc, v1
	v_mov_b32_e32 v1, 0
	s_waitcnt vmcnt(0)
	v_add_u32_e32 v22, 1, v3
	v_xor_b32_e32 v23, 0x80000000, v3
	s_branch .LBB209_2
.LBB209_1:                              ;   in Loop: Header=BB209_2 Depth=1
	s_or_b64 exec, exec, s[24:25]
	s_waitcnt lgkmcnt(0)
	v_add_u32_e32 v3, v26, v3
	ds_bpermute_b32 v3, v20, v3
	s_add_i32 s28, s28, -1
	s_cmp_eq_u32 s28, 0
	s_waitcnt lgkmcnt(0)
	v_cndmask_b32_e64 v3, v3, v26, s[6:7]
	v_cndmask_b32_e64 v3, v3, 0, s[2:3]
	v_add_u32_e32 v4, v3, v4
	v_add_u32_e32 v5, v4, v5
	;; [unrolled: 1-line block ×3, first 2 shown]
	ds_write2_b32 v15, v3, v4 offset0:3 offset1:4
	ds_write2_b32 v15, v5, v2 offset0:5 offset1:6
	s_waitcnt lgkmcnt(0)
	s_barrier
	ds_read_b32 v2, v25 offset:12
	v_lshlrev_b32_e32 v3, 2, v24
	s_waitcnt lgkmcnt(0)
	s_barrier
	v_lshl_add_u32 v2, v2, 2, v3
	ds_write_b32 v2, v23
	s_waitcnt lgkmcnt(0)
	s_barrier
	ds_read_b32 v23, v17
	s_waitcnt lgkmcnt(0)
	s_barrier
	ds_write_b32 v2, v22
	s_waitcnt lgkmcnt(0)
	s_barrier
	ds_read_b32 v22, v17
	s_cbranch_scc1 .LBB209_34
.LBB209_2:                              ; =>This Inner Loop Header: Depth=1
	v_and_b32_e32 v2, 1, v23
	v_add_co_u32_e64 v3, s[24:25], -1, v2
	v_addc_co_u32_e64 v5, s[24:25], 0, -1, s[24:25]
	v_cmp_ne_u32_e64 s[24:25], 0, v2
	v_xor_b32_e32 v2, s25, v5
	v_and_b32_e32 v5, exec_hi, v2
	v_lshlrev_b32_e32 v2, 30, v23
	v_xor_b32_e32 v3, s24, v3
	v_cmp_gt_i64_e64 s[24:25], 0, v[1:2]
	v_not_b32_e32 v2, v2
	v_ashrrev_i32_e32 v2, 31, v2
	v_and_b32_e32 v3, exec_lo, v3
	v_xor_b32_e32 v24, s25, v2
	v_xor_b32_e32 v2, s24, v2
	v_and_b32_e32 v3, v3, v2
	v_lshlrev_b32_e32 v2, 29, v23
	v_cmp_gt_i64_e64 s[24:25], 0, v[1:2]
	v_not_b32_e32 v2, v2
	v_ashrrev_i32_e32 v2, 31, v2
	v_and_b32_e32 v5, v5, v24
	v_xor_b32_e32 v24, s25, v2
	v_xor_b32_e32 v2, s24, v2
	v_and_b32_e32 v3, v3, v2
	v_lshlrev_b32_e32 v2, 28, v23
	v_cmp_gt_i64_e64 s[24:25], 0, v[1:2]
	v_not_b32_e32 v2, v2
	v_ashrrev_i32_e32 v2, 31, v2
	v_and_b32_e32 v5, v5, v24
	;; [unrolled: 8-line block ×5, first 2 shown]
	v_xor_b32_e32 v24, s25, v2
	v_xor_b32_e32 v2, s24, v2
	v_and_b32_e32 v5, v5, v24
	v_and_b32_e32 v24, v3, v2
	v_lshlrev_b32_e32 v2, 24, v23
	v_cmp_gt_i64_e64 s[24:25], 0, v[1:2]
	v_not_b32_e32 v2, v2
	v_ashrrev_i32_e32 v2, 31, v2
	v_xor_b32_e32 v3, s25, v2
	v_xor_b32_e32 v2, s24, v2
	v_and_b32_e32 v2, v24, v2
	v_and_b32_e32 v3, v5, v3
	v_mbcnt_lo_u32_b32 v5, v2, 0
	v_mbcnt_hi_u32_b32 v24, v3, v5
	v_cmp_ne_u64_e64 s[24:25], 0, v[2:3]
	v_mul_u32_u24_sdwa v4, v23, v6 dst_sel:DWORD dst_unused:UNUSED_PAD src0_sel:BYTE_0 src1_sel:DWORD
	v_cmp_eq_u32_e64 s[26:27], 0, v24
	s_and_b64 s[26:27], s[24:25], s[26:27]
	v_add_u32_e32 v25, v21, v4
	ds_write2_b32 v15, v1, v1 offset0:3 offset1:4
	ds_write2_b32 v15, v1, v1 offset0:5 offset1:6
	s_waitcnt lgkmcnt(0)
	s_barrier
	; wave barrier
	s_and_saveexec_b64 s[24:25], s[26:27]
; %bb.3:                                ;   in Loop: Header=BB209_2 Depth=1
	v_bcnt_u32_b32 v2, v2, 0
	v_bcnt_u32_b32 v2, v3, v2
	ds_write_b32 v25, v2 offset:12
; %bb.4:                                ;   in Loop: Header=BB209_2 Depth=1
	s_or_b64 exec, exec, s[24:25]
	; wave barrier
	s_waitcnt lgkmcnt(0)
	s_barrier
	ds_read2_b32 v[4:5], v15 offset0:3 offset1:4
	ds_read2_b32 v[2:3], v15 offset0:5 offset1:6
	s_waitcnt lgkmcnt(1)
	v_add_u32_e32 v26, v5, v4
	s_waitcnt lgkmcnt(0)
	v_add3_u32 v3, v26, v2, v3
	s_nop 1
	v_mov_b32_dpp v26, v3 row_shr:1 row_mask:0xf bank_mask:0xf
	v_cndmask_b32_e64 v26, v26, 0, s[8:9]
	v_add_u32_e32 v3, v26, v3
	s_nop 1
	v_mov_b32_dpp v26, v3 row_shr:2 row_mask:0xf bank_mask:0xf
	v_cndmask_b32_e64 v26, 0, v26, s[10:11]
	v_add_u32_e32 v3, v3, v26
	;; [unrolled: 4-line block ×4, first 2 shown]
	s_nop 1
	v_mov_b32_dpp v26, v3 row_bcast:15 row_mask:0xf bank_mask:0xf
	v_cndmask_b32_e64 v26, v26, 0, s[16:17]
	v_add_u32_e32 v3, v3, v26
	s_nop 1
	v_mov_b32_dpp v26, v3 row_bcast:31 row_mask:0xf bank_mask:0xf
	v_cndmask_b32_e64 v26, 0, v26, s[4:5]
	v_add_u32_e32 v3, v3, v26
	s_and_saveexec_b64 s[24:25], s[22:23]
; %bb.5:                                ;   in Loop: Header=BB209_2 Depth=1
	ds_write_b32 v16, v3
; %bb.6:                                ;   in Loop: Header=BB209_2 Depth=1
	s_or_b64 exec, exec, s[24:25]
	s_waitcnt lgkmcnt(0)
	s_barrier
	s_and_saveexec_b64 s[24:25], vcc
	s_cbranch_execz .LBB209_8
; %bb.7:                                ;   in Loop: Header=BB209_2 Depth=1
	ds_read_b32 v26, v17
	s_waitcnt lgkmcnt(0)
	s_nop 0
	v_mov_b32_dpp v27, v26 row_shr:1 row_mask:0xf bank_mask:0xf
	v_cndmask_b32_e64 v27, v27, 0, s[18:19]
	v_add_u32_e32 v26, v27, v26
	s_nop 1
	v_mov_b32_dpp v27, v26 row_shr:2 row_mask:0xf bank_mask:0xf
	v_cndmask_b32_e64 v27, 0, v27, s[20:21]
	v_add_u32_e32 v26, v26, v27
	ds_write_b32 v17, v26
.LBB209_8:                              ;   in Loop: Header=BB209_2 Depth=1
	s_or_b64 exec, exec, s[24:25]
	v_mov_b32_e32 v26, 0
	s_waitcnt lgkmcnt(0)
	s_barrier
	s_and_saveexec_b64 s[24:25], s[0:1]
; %bb.9:                                ;   in Loop: Header=BB209_2 Depth=1
	ds_read_b32 v26, v19
; %bb.10:                               ;   in Loop: Header=BB209_2 Depth=1
	s_or_b64 exec, exec, s[24:25]
	s_waitcnt lgkmcnt(0)
	v_add_u32_e32 v3, v26, v3
	ds_bpermute_b32 v3, v20, v3
	s_waitcnt lgkmcnt(0)
	v_cndmask_b32_e64 v3, v3, v26, s[6:7]
	v_cndmask_b32_e64 v3, v3, 0, s[2:3]
	v_add_u32_e32 v4, v3, v4
	v_add_u32_e32 v5, v4, v5
	;; [unrolled: 1-line block ×3, first 2 shown]
	ds_write2_b32 v15, v3, v4 offset0:3 offset1:4
	ds_write2_b32 v15, v5, v2 offset0:5 offset1:6
	s_waitcnt lgkmcnt(0)
	s_barrier
	ds_read_b32 v2, v25 offset:12
	v_lshlrev_b32_e32 v3, 2, v24
	s_waitcnt lgkmcnt(0)
	s_barrier
	v_lshl_add_u32 v2, v2, 2, v3
	ds_write_b32 v2, v23
	s_waitcnt lgkmcnt(0)
	s_barrier
	ds_read_b32 v23, v18
	s_waitcnt lgkmcnt(0)
	s_barrier
	ds_write_b32 v2, v22
	v_lshrrev_b32_e32 v3, 8, v23
	v_and_b32_e32 v2, 1, v3
	v_add_co_u32_e64 v5, s[24:25], -1, v2
	v_addc_co_u32_e64 v24, s[24:25], 0, -1, s[24:25]
	v_cmp_ne_u32_e64 s[24:25], 0, v2
	v_xor_b32_e32 v2, s25, v24
	v_and_b32_e32 v24, exec_hi, v2
	v_lshlrev_b32_e32 v2, 30, v3
	v_xor_b32_e32 v5, s24, v5
	v_cmp_gt_i64_e64 s[24:25], 0, v[1:2]
	v_not_b32_e32 v2, v2
	v_ashrrev_i32_e32 v2, 31, v2
	v_and_b32_e32 v5, exec_lo, v5
	v_xor_b32_e32 v25, s25, v2
	v_xor_b32_e32 v2, s24, v2
	v_and_b32_e32 v5, v5, v2
	v_lshlrev_b32_e32 v2, 29, v3
	v_cmp_gt_i64_e64 s[24:25], 0, v[1:2]
	v_not_b32_e32 v2, v2
	v_ashrrev_i32_e32 v2, 31, v2
	v_and_b32_e32 v24, v24, v25
	v_xor_b32_e32 v25, s25, v2
	v_xor_b32_e32 v2, s24, v2
	v_and_b32_e32 v5, v5, v2
	v_lshlrev_b32_e32 v2, 28, v3
	v_cmp_gt_i64_e64 s[24:25], 0, v[1:2]
	v_not_b32_e32 v2, v2
	v_ashrrev_i32_e32 v2, 31, v2
	v_and_b32_e32 v24, v24, v25
	;; [unrolled: 8-line block ×5, first 2 shown]
	v_xor_b32_e32 v25, s25, v2
	v_xor_b32_e32 v2, s24, v2
	v_and_b32_e32 v5, v5, v2
	v_lshlrev_b32_e32 v2, 24, v3
	v_cmp_gt_i64_e64 s[24:25], 0, v[1:2]
	v_not_b32_e32 v2, v2
	v_ashrrev_i32_e32 v2, 31, v2
	v_mul_u32_u24_sdwa v4, v3, v6 dst_sel:DWORD dst_unused:UNUSED_PAD src0_sel:BYTE_0 src1_sel:DWORD
	v_xor_b32_e32 v3, s25, v2
	v_xor_b32_e32 v2, s24, v2
	s_waitcnt lgkmcnt(0)
	s_barrier
	ds_read_b32 v22, v18
	v_and_b32_e32 v24, v24, v25
	v_and_b32_e32 v2, v5, v2
	;; [unrolled: 1-line block ×3, first 2 shown]
	v_mbcnt_lo_u32_b32 v5, v2, 0
	v_mbcnt_hi_u32_b32 v24, v3, v5
	v_cmp_ne_u64_e64 s[24:25], 0, v[2:3]
	v_cmp_eq_u32_e64 s[26:27], 0, v24
	s_and_b64 s[26:27], s[24:25], s[26:27]
	v_add_u32_e32 v25, v21, v4
	s_waitcnt lgkmcnt(0)
	s_barrier
	ds_write2_b32 v15, v1, v1 offset0:3 offset1:4
	ds_write2_b32 v15, v1, v1 offset0:5 offset1:6
	s_waitcnt lgkmcnt(0)
	s_barrier
	; wave barrier
	s_and_saveexec_b64 s[24:25], s[26:27]
; %bb.11:                               ;   in Loop: Header=BB209_2 Depth=1
	v_bcnt_u32_b32 v2, v2, 0
	v_bcnt_u32_b32 v2, v3, v2
	ds_write_b32 v25, v2 offset:12
; %bb.12:                               ;   in Loop: Header=BB209_2 Depth=1
	s_or_b64 exec, exec, s[24:25]
	; wave barrier
	s_waitcnt lgkmcnt(0)
	s_barrier
	ds_read2_b32 v[4:5], v15 offset0:3 offset1:4
	ds_read2_b32 v[2:3], v15 offset0:5 offset1:6
	s_waitcnt lgkmcnt(1)
	v_add_u32_e32 v26, v5, v4
	s_waitcnt lgkmcnt(0)
	v_add3_u32 v3, v26, v2, v3
	s_nop 1
	v_mov_b32_dpp v26, v3 row_shr:1 row_mask:0xf bank_mask:0xf
	v_cndmask_b32_e64 v26, v26, 0, s[8:9]
	v_add_u32_e32 v3, v26, v3
	s_nop 1
	v_mov_b32_dpp v26, v3 row_shr:2 row_mask:0xf bank_mask:0xf
	v_cndmask_b32_e64 v26, 0, v26, s[10:11]
	v_add_u32_e32 v3, v3, v26
	;; [unrolled: 4-line block ×4, first 2 shown]
	s_nop 1
	v_mov_b32_dpp v26, v3 row_bcast:15 row_mask:0xf bank_mask:0xf
	v_cndmask_b32_e64 v26, v26, 0, s[16:17]
	v_add_u32_e32 v3, v3, v26
	s_nop 1
	v_mov_b32_dpp v26, v3 row_bcast:31 row_mask:0xf bank_mask:0xf
	v_cndmask_b32_e64 v26, 0, v26, s[4:5]
	v_add_u32_e32 v3, v3, v26
	s_and_saveexec_b64 s[24:25], s[22:23]
; %bb.13:                               ;   in Loop: Header=BB209_2 Depth=1
	ds_write_b32 v16, v3
; %bb.14:                               ;   in Loop: Header=BB209_2 Depth=1
	s_or_b64 exec, exec, s[24:25]
	s_waitcnt lgkmcnt(0)
	s_barrier
	s_and_saveexec_b64 s[24:25], vcc
	s_cbranch_execz .LBB209_16
; %bb.15:                               ;   in Loop: Header=BB209_2 Depth=1
	ds_read_b32 v26, v17
	s_waitcnt lgkmcnt(0)
	s_nop 0
	v_mov_b32_dpp v27, v26 row_shr:1 row_mask:0xf bank_mask:0xf
	v_cndmask_b32_e64 v27, v27, 0, s[18:19]
	v_add_u32_e32 v26, v27, v26
	s_nop 1
	v_mov_b32_dpp v27, v26 row_shr:2 row_mask:0xf bank_mask:0xf
	v_cndmask_b32_e64 v27, 0, v27, s[20:21]
	v_add_u32_e32 v26, v26, v27
	ds_write_b32 v17, v26
.LBB209_16:                             ;   in Loop: Header=BB209_2 Depth=1
	s_or_b64 exec, exec, s[24:25]
	v_mov_b32_e32 v26, 0
	s_waitcnt lgkmcnt(0)
	s_barrier
	s_and_saveexec_b64 s[24:25], s[0:1]
; %bb.17:                               ;   in Loop: Header=BB209_2 Depth=1
	ds_read_b32 v26, v19
; %bb.18:                               ;   in Loop: Header=BB209_2 Depth=1
	s_or_b64 exec, exec, s[24:25]
	s_waitcnt lgkmcnt(0)
	v_add_u32_e32 v3, v26, v3
	ds_bpermute_b32 v3, v20, v3
	s_waitcnt lgkmcnt(0)
	v_cndmask_b32_e64 v3, v3, v26, s[6:7]
	v_cndmask_b32_e64 v3, v3, 0, s[2:3]
	v_add_u32_e32 v4, v3, v4
	v_add_u32_e32 v5, v4, v5
	;; [unrolled: 1-line block ×3, first 2 shown]
	ds_write2_b32 v15, v3, v4 offset0:3 offset1:4
	ds_write2_b32 v15, v5, v2 offset0:5 offset1:6
	s_waitcnt lgkmcnt(0)
	s_barrier
	ds_read_b32 v2, v25 offset:12
	v_lshlrev_b32_e32 v3, 2, v24
	s_waitcnt lgkmcnt(0)
	s_barrier
	v_lshl_add_u32 v2, v2, 2, v3
	ds_write_b32 v2, v23
	s_waitcnt lgkmcnt(0)
	s_barrier
	ds_read_b32 v23, v18
	s_waitcnt lgkmcnt(0)
	s_barrier
	ds_write_b32 v2, v22
	v_and_b32_sdwa v2, v23, s29 dst_sel:DWORD dst_unused:UNUSED_PAD src0_sel:WORD_1 src1_sel:DWORD
	v_mul_u32_u24_e32 v4, 12, v2
	v_and_b32_sdwa v2, v23, v7 dst_sel:DWORD dst_unused:UNUSED_PAD src0_sel:WORD_1 src1_sel:DWORD
	v_add_co_u32_e64 v3, s[24:25], -1, v2
	v_addc_co_u32_e64 v5, s[24:25], 0, -1, s[24:25]
	v_cmp_ne_u32_e64 s[24:25], 0, v2
	v_xor_b32_e32 v2, s25, v5
	v_and_b32_e32 v5, exec_hi, v2
	v_lshlrev_b32_sdwa v2, v8, v23 dst_sel:DWORD dst_unused:UNUSED_PAD src0_sel:DWORD src1_sel:WORD_1
	v_xor_b32_e32 v3, s24, v3
	v_cmp_gt_i64_e64 s[24:25], 0, v[1:2]
	v_not_b32_e32 v2, v2
	v_ashrrev_i32_e32 v2, 31, v2
	v_and_b32_e32 v3, exec_lo, v3
	v_xor_b32_e32 v24, s25, v2
	v_xor_b32_e32 v2, s24, v2
	v_and_b32_e32 v3, v3, v2
	v_lshlrev_b32_sdwa v2, v9, v23 dst_sel:DWORD dst_unused:UNUSED_PAD src0_sel:DWORD src1_sel:WORD_1
	v_cmp_gt_i64_e64 s[24:25], 0, v[1:2]
	v_not_b32_e32 v2, v2
	v_ashrrev_i32_e32 v2, 31, v2
	v_and_b32_e32 v5, v5, v24
	v_xor_b32_e32 v24, s25, v2
	v_xor_b32_e32 v2, s24, v2
	v_and_b32_e32 v3, v3, v2
	v_lshlrev_b32_sdwa v2, v10, v23 dst_sel:DWORD dst_unused:UNUSED_PAD src0_sel:DWORD src1_sel:WORD_1
	v_cmp_gt_i64_e64 s[24:25], 0, v[1:2]
	v_not_b32_e32 v2, v2
	v_ashrrev_i32_e32 v2, 31, v2
	v_and_b32_e32 v5, v5, v24
	;; [unrolled: 8-line block ×5, first 2 shown]
	v_xor_b32_e32 v24, s25, v2
	v_xor_b32_e32 v2, s24, v2
	v_and_b32_e32 v5, v5, v24
	v_and_b32_e32 v24, v3, v2
	v_lshlrev_b32_sdwa v2, v14, v23 dst_sel:DWORD dst_unused:UNUSED_PAD src0_sel:DWORD src1_sel:WORD_1
	v_cmp_gt_i64_e64 s[24:25], 0, v[1:2]
	v_not_b32_e32 v2, v2
	v_ashrrev_i32_e32 v2, 31, v2
	v_xor_b32_e32 v3, s25, v2
	v_xor_b32_e32 v2, s24, v2
	s_waitcnt lgkmcnt(0)
	s_barrier
	ds_read_b32 v22, v18
	v_and_b32_e32 v2, v24, v2
	v_and_b32_e32 v3, v5, v3
	v_mbcnt_lo_u32_b32 v5, v2, 0
	v_mbcnt_hi_u32_b32 v24, v3, v5
	v_cmp_ne_u64_e64 s[24:25], 0, v[2:3]
	v_cmp_eq_u32_e64 s[26:27], 0, v24
	s_and_b64 s[26:27], s[24:25], s[26:27]
	v_add_u32_e32 v25, v21, v4
	s_waitcnt lgkmcnt(0)
	s_barrier
	ds_write2_b32 v15, v1, v1 offset0:3 offset1:4
	ds_write2_b32 v15, v1, v1 offset0:5 offset1:6
	s_waitcnt lgkmcnt(0)
	s_barrier
	; wave barrier
	s_and_saveexec_b64 s[24:25], s[26:27]
; %bb.19:                               ;   in Loop: Header=BB209_2 Depth=1
	v_bcnt_u32_b32 v2, v2, 0
	v_bcnt_u32_b32 v2, v3, v2
	ds_write_b32 v25, v2 offset:12
; %bb.20:                               ;   in Loop: Header=BB209_2 Depth=1
	s_or_b64 exec, exec, s[24:25]
	; wave barrier
	s_waitcnt lgkmcnt(0)
	s_barrier
	ds_read2_b32 v[4:5], v15 offset0:3 offset1:4
	ds_read2_b32 v[2:3], v15 offset0:5 offset1:6
	s_waitcnt lgkmcnt(1)
	v_add_u32_e32 v26, v5, v4
	s_waitcnt lgkmcnt(0)
	v_add3_u32 v3, v26, v2, v3
	s_nop 1
	v_mov_b32_dpp v26, v3 row_shr:1 row_mask:0xf bank_mask:0xf
	v_cndmask_b32_e64 v26, v26, 0, s[8:9]
	v_add_u32_e32 v3, v26, v3
	s_nop 1
	v_mov_b32_dpp v26, v3 row_shr:2 row_mask:0xf bank_mask:0xf
	v_cndmask_b32_e64 v26, 0, v26, s[10:11]
	v_add_u32_e32 v3, v3, v26
	;; [unrolled: 4-line block ×4, first 2 shown]
	s_nop 1
	v_mov_b32_dpp v26, v3 row_bcast:15 row_mask:0xf bank_mask:0xf
	v_cndmask_b32_e64 v26, v26, 0, s[16:17]
	v_add_u32_e32 v3, v3, v26
	s_nop 1
	v_mov_b32_dpp v26, v3 row_bcast:31 row_mask:0xf bank_mask:0xf
	v_cndmask_b32_e64 v26, 0, v26, s[4:5]
	v_add_u32_e32 v3, v3, v26
	s_and_saveexec_b64 s[24:25], s[22:23]
; %bb.21:                               ;   in Loop: Header=BB209_2 Depth=1
	ds_write_b32 v16, v3
; %bb.22:                               ;   in Loop: Header=BB209_2 Depth=1
	s_or_b64 exec, exec, s[24:25]
	s_waitcnt lgkmcnt(0)
	s_barrier
	s_and_saveexec_b64 s[24:25], vcc
	s_cbranch_execz .LBB209_24
; %bb.23:                               ;   in Loop: Header=BB209_2 Depth=1
	ds_read_b32 v26, v17
	s_waitcnt lgkmcnt(0)
	s_nop 0
	v_mov_b32_dpp v27, v26 row_shr:1 row_mask:0xf bank_mask:0xf
	v_cndmask_b32_e64 v27, v27, 0, s[18:19]
	v_add_u32_e32 v26, v27, v26
	s_nop 1
	v_mov_b32_dpp v27, v26 row_shr:2 row_mask:0xf bank_mask:0xf
	v_cndmask_b32_e64 v27, 0, v27, s[20:21]
	v_add_u32_e32 v26, v26, v27
	ds_write_b32 v17, v26
.LBB209_24:                             ;   in Loop: Header=BB209_2 Depth=1
	s_or_b64 exec, exec, s[24:25]
	v_mov_b32_e32 v26, 0
	s_waitcnt lgkmcnt(0)
	s_barrier
	s_and_saveexec_b64 s[24:25], s[0:1]
; %bb.25:                               ;   in Loop: Header=BB209_2 Depth=1
	ds_read_b32 v26, v19
; %bb.26:                               ;   in Loop: Header=BB209_2 Depth=1
	s_or_b64 exec, exec, s[24:25]
	s_waitcnt lgkmcnt(0)
	v_add_u32_e32 v3, v26, v3
	ds_bpermute_b32 v3, v20, v3
	s_waitcnt lgkmcnt(0)
	v_cndmask_b32_e64 v3, v3, v26, s[6:7]
	v_cndmask_b32_e64 v3, v3, 0, s[2:3]
	v_add_u32_e32 v4, v3, v4
	v_add_u32_e32 v5, v4, v5
	;; [unrolled: 1-line block ×3, first 2 shown]
	ds_write2_b32 v15, v3, v4 offset0:3 offset1:4
	ds_write2_b32 v15, v5, v2 offset0:5 offset1:6
	s_waitcnt lgkmcnt(0)
	s_barrier
	ds_read_b32 v2, v25 offset:12
	v_lshlrev_b32_e32 v3, 2, v24
	s_waitcnt lgkmcnt(0)
	s_barrier
	v_lshl_add_u32 v2, v2, 2, v3
	ds_write_b32 v2, v23
	s_waitcnt lgkmcnt(0)
	s_barrier
	ds_read_b32 v23, v18
	s_waitcnt lgkmcnt(0)
	s_barrier
	ds_write_b32 v2, v22
	v_and_b32_sdwa v2, v23, v7 dst_sel:DWORD dst_unused:UNUSED_PAD src0_sel:BYTE_3 src1_sel:DWORD
	v_add_co_u32_e64 v3, s[24:25], -1, v2
	v_addc_co_u32_e64 v5, s[24:25], 0, -1, s[24:25]
	v_cmp_ne_u32_e64 s[24:25], 0, v2
	v_xor_b32_e32 v2, s25, v5
	v_and_b32_e32 v5, exec_hi, v2
	v_lshlrev_b32_sdwa v2, v8, v23 dst_sel:DWORD dst_unused:UNUSED_PAD src0_sel:DWORD src1_sel:BYTE_3
	v_xor_b32_e32 v3, s24, v3
	v_cmp_gt_i64_e64 s[24:25], 0, v[1:2]
	v_not_b32_e32 v2, v2
	v_ashrrev_i32_e32 v2, 31, v2
	v_and_b32_e32 v3, exec_lo, v3
	v_xor_b32_e32 v24, s25, v2
	v_xor_b32_e32 v2, s24, v2
	v_and_b32_e32 v3, v3, v2
	v_lshlrev_b32_sdwa v2, v9, v23 dst_sel:DWORD dst_unused:UNUSED_PAD src0_sel:DWORD src1_sel:BYTE_3
	v_cmp_gt_i64_e64 s[24:25], 0, v[1:2]
	v_not_b32_e32 v2, v2
	v_ashrrev_i32_e32 v2, 31, v2
	v_and_b32_e32 v5, v5, v24
	v_xor_b32_e32 v24, s25, v2
	v_xor_b32_e32 v2, s24, v2
	v_and_b32_e32 v3, v3, v2
	v_lshlrev_b32_sdwa v2, v10, v23 dst_sel:DWORD dst_unused:UNUSED_PAD src0_sel:DWORD src1_sel:BYTE_3
	v_cmp_gt_i64_e64 s[24:25], 0, v[1:2]
	v_not_b32_e32 v2, v2
	v_ashrrev_i32_e32 v2, 31, v2
	v_and_b32_e32 v5, v5, v24
	;; [unrolled: 8-line block ×5, first 2 shown]
	v_xor_b32_e32 v24, s25, v2
	v_xor_b32_e32 v2, s24, v2
	v_and_b32_e32 v5, v5, v24
	v_and_b32_e32 v24, v3, v2
	v_lshlrev_b32_sdwa v2, v14, v23 dst_sel:DWORD dst_unused:UNUSED_PAD src0_sel:DWORD src1_sel:BYTE_3
	v_cmp_gt_i64_e64 s[24:25], 0, v[1:2]
	v_not_b32_e32 v2, v2
	v_ashrrev_i32_e32 v2, 31, v2
	v_xor_b32_e32 v3, s25, v2
	v_xor_b32_e32 v2, s24, v2
	s_waitcnt lgkmcnt(0)
	s_barrier
	ds_read_b32 v22, v18
	v_and_b32_e32 v2, v24, v2
	v_and_b32_e32 v3, v5, v3
	v_mbcnt_lo_u32_b32 v5, v2, 0
	v_mbcnt_hi_u32_b32 v24, v3, v5
	v_cmp_ne_u64_e64 s[24:25], 0, v[2:3]
	v_mul_u32_u24_sdwa v4, v23, v6 dst_sel:DWORD dst_unused:UNUSED_PAD src0_sel:BYTE_3 src1_sel:DWORD
	v_cmp_eq_u32_e64 s[26:27], 0, v24
	s_and_b64 s[26:27], s[24:25], s[26:27]
	v_add_u32_e32 v25, v21, v4
	s_waitcnt lgkmcnt(0)
	s_barrier
	ds_write2_b32 v15, v1, v1 offset0:3 offset1:4
	ds_write2_b32 v15, v1, v1 offset0:5 offset1:6
	s_waitcnt lgkmcnt(0)
	s_barrier
	; wave barrier
	s_and_saveexec_b64 s[24:25], s[26:27]
; %bb.27:                               ;   in Loop: Header=BB209_2 Depth=1
	v_bcnt_u32_b32 v2, v2, 0
	v_bcnt_u32_b32 v2, v3, v2
	ds_write_b32 v25, v2 offset:12
; %bb.28:                               ;   in Loop: Header=BB209_2 Depth=1
	s_or_b64 exec, exec, s[24:25]
	; wave barrier
	s_waitcnt lgkmcnt(0)
	s_barrier
	ds_read2_b32 v[4:5], v15 offset0:3 offset1:4
	ds_read2_b32 v[2:3], v15 offset0:5 offset1:6
	s_waitcnt lgkmcnt(1)
	v_add_u32_e32 v26, v5, v4
	s_waitcnt lgkmcnt(0)
	v_add3_u32 v3, v26, v2, v3
	s_nop 1
	v_mov_b32_dpp v26, v3 row_shr:1 row_mask:0xf bank_mask:0xf
	v_cndmask_b32_e64 v26, v26, 0, s[8:9]
	v_add_u32_e32 v3, v26, v3
	s_nop 1
	v_mov_b32_dpp v26, v3 row_shr:2 row_mask:0xf bank_mask:0xf
	v_cndmask_b32_e64 v26, 0, v26, s[10:11]
	v_add_u32_e32 v3, v3, v26
	;; [unrolled: 4-line block ×4, first 2 shown]
	s_nop 1
	v_mov_b32_dpp v26, v3 row_bcast:15 row_mask:0xf bank_mask:0xf
	v_cndmask_b32_e64 v26, v26, 0, s[16:17]
	v_add_u32_e32 v3, v3, v26
	s_nop 1
	v_mov_b32_dpp v26, v3 row_bcast:31 row_mask:0xf bank_mask:0xf
	v_cndmask_b32_e64 v26, 0, v26, s[4:5]
	v_add_u32_e32 v3, v3, v26
	s_and_saveexec_b64 s[24:25], s[22:23]
; %bb.29:                               ;   in Loop: Header=BB209_2 Depth=1
	ds_write_b32 v16, v3
; %bb.30:                               ;   in Loop: Header=BB209_2 Depth=1
	s_or_b64 exec, exec, s[24:25]
	s_waitcnt lgkmcnt(0)
	s_barrier
	s_and_saveexec_b64 s[24:25], vcc
	s_cbranch_execz .LBB209_32
; %bb.31:                               ;   in Loop: Header=BB209_2 Depth=1
	ds_read_b32 v26, v17
	s_waitcnt lgkmcnt(0)
	s_nop 0
	v_mov_b32_dpp v27, v26 row_shr:1 row_mask:0xf bank_mask:0xf
	v_cndmask_b32_e64 v27, v27, 0, s[18:19]
	v_add_u32_e32 v26, v27, v26
	s_nop 1
	v_mov_b32_dpp v27, v26 row_shr:2 row_mask:0xf bank_mask:0xf
	v_cndmask_b32_e64 v27, 0, v27, s[20:21]
	v_add_u32_e32 v26, v26, v27
	ds_write_b32 v17, v26
.LBB209_32:                             ;   in Loop: Header=BB209_2 Depth=1
	s_or_b64 exec, exec, s[24:25]
	v_mov_b32_e32 v26, 0
	s_waitcnt lgkmcnt(0)
	s_barrier
	s_and_saveexec_b64 s[24:25], s[0:1]
	s_cbranch_execz .LBB209_1
; %bb.33:                               ;   in Loop: Header=BB209_2 Depth=1
	ds_read_b32 v26, v19
	s_branch .LBB209_1
.LBB209_34:
	s_brev_b32 s0, 1
	s_waitcnt lgkmcnt(0)
	v_add3_u32 v1, v22, v23, s0
	s_add_u32 s0, s30, s34
	s_addc_u32 s1, s31, s35
	v_lshlrev_b32_e32 v0, 2, v0
	global_store_dword v0, v1, s[0:1]
	s_endpgm
	.section	.rodata,"a",@progbits
	.p2align	6, 0x0
	.amdhsa_kernel _Z17sort_pairs_kernelI22helper_blocked_stripediLj192ELj1ELj10EEvPKT0_PS1_
		.amdhsa_group_segment_fixed_size 3088
		.amdhsa_private_segment_fixed_size 0
		.amdhsa_kernarg_size 272
		.amdhsa_user_sgpr_count 6
		.amdhsa_user_sgpr_private_segment_buffer 1
		.amdhsa_user_sgpr_dispatch_ptr 0
		.amdhsa_user_sgpr_queue_ptr 0
		.amdhsa_user_sgpr_kernarg_segment_ptr 1
		.amdhsa_user_sgpr_dispatch_id 0
		.amdhsa_user_sgpr_flat_scratch_init 0
		.amdhsa_user_sgpr_private_segment_size 0
		.amdhsa_uses_dynamic_stack 0
		.amdhsa_system_sgpr_private_segment_wavefront_offset 0
		.amdhsa_system_sgpr_workgroup_id_x 1
		.amdhsa_system_sgpr_workgroup_id_y 0
		.amdhsa_system_sgpr_workgroup_id_z 0
		.amdhsa_system_sgpr_workgroup_info 0
		.amdhsa_system_vgpr_workitem_id 2
		.amdhsa_next_free_vgpr 28
		.amdhsa_next_free_sgpr 36
		.amdhsa_reserve_vcc 1
		.amdhsa_reserve_flat_scratch 0
		.amdhsa_float_round_mode_32 0
		.amdhsa_float_round_mode_16_64 0
		.amdhsa_float_denorm_mode_32 3
		.amdhsa_float_denorm_mode_16_64 3
		.amdhsa_dx10_clamp 1
		.amdhsa_ieee_mode 1
		.amdhsa_fp16_overflow 0
		.amdhsa_exception_fp_ieee_invalid_op 0
		.amdhsa_exception_fp_denorm_src 0
		.amdhsa_exception_fp_ieee_div_zero 0
		.amdhsa_exception_fp_ieee_overflow 0
		.amdhsa_exception_fp_ieee_underflow 0
		.amdhsa_exception_fp_ieee_inexact 0
		.amdhsa_exception_int_div_zero 0
	.end_amdhsa_kernel
	.section	.text._Z17sort_pairs_kernelI22helper_blocked_stripediLj192ELj1ELj10EEvPKT0_PS1_,"axG",@progbits,_Z17sort_pairs_kernelI22helper_blocked_stripediLj192ELj1ELj10EEvPKT0_PS1_,comdat
.Lfunc_end209:
	.size	_Z17sort_pairs_kernelI22helper_blocked_stripediLj192ELj1ELj10EEvPKT0_PS1_, .Lfunc_end209-_Z17sort_pairs_kernelI22helper_blocked_stripediLj192ELj1ELj10EEvPKT0_PS1_
                                        ; -- End function
	.set _Z17sort_pairs_kernelI22helper_blocked_stripediLj192ELj1ELj10EEvPKT0_PS1_.num_vgpr, 28
	.set _Z17sort_pairs_kernelI22helper_blocked_stripediLj192ELj1ELj10EEvPKT0_PS1_.num_agpr, 0
	.set _Z17sort_pairs_kernelI22helper_blocked_stripediLj192ELj1ELj10EEvPKT0_PS1_.numbered_sgpr, 36
	.set _Z17sort_pairs_kernelI22helper_blocked_stripediLj192ELj1ELj10EEvPKT0_PS1_.num_named_barrier, 0
	.set _Z17sort_pairs_kernelI22helper_blocked_stripediLj192ELj1ELj10EEvPKT0_PS1_.private_seg_size, 0
	.set _Z17sort_pairs_kernelI22helper_blocked_stripediLj192ELj1ELj10EEvPKT0_PS1_.uses_vcc, 1
	.set _Z17sort_pairs_kernelI22helper_blocked_stripediLj192ELj1ELj10EEvPKT0_PS1_.uses_flat_scratch, 0
	.set _Z17sort_pairs_kernelI22helper_blocked_stripediLj192ELj1ELj10EEvPKT0_PS1_.has_dyn_sized_stack, 0
	.set _Z17sort_pairs_kernelI22helper_blocked_stripediLj192ELj1ELj10EEvPKT0_PS1_.has_recursion, 0
	.set _Z17sort_pairs_kernelI22helper_blocked_stripediLj192ELj1ELj10EEvPKT0_PS1_.has_indirect_call, 0
	.section	.AMDGPU.csdata,"",@progbits
; Kernel info:
; codeLenInByte = 4032
; TotalNumSgprs: 40
; NumVgprs: 28
; ScratchSize: 0
; MemoryBound: 0
; FloatMode: 240
; IeeeMode: 1
; LDSByteSize: 3088 bytes/workgroup (compile time only)
; SGPRBlocks: 4
; VGPRBlocks: 6
; NumSGPRsForWavesPerEU: 40
; NumVGPRsForWavesPerEU: 28
; Occupancy: 9
; WaveLimiterHint : 0
; COMPUTE_PGM_RSRC2:SCRATCH_EN: 0
; COMPUTE_PGM_RSRC2:USER_SGPR: 6
; COMPUTE_PGM_RSRC2:TRAP_HANDLER: 0
; COMPUTE_PGM_RSRC2:TGID_X_EN: 1
; COMPUTE_PGM_RSRC2:TGID_Y_EN: 0
; COMPUTE_PGM_RSRC2:TGID_Z_EN: 0
; COMPUTE_PGM_RSRC2:TIDIG_COMP_CNT: 2
	.section	.text._Z16sort_keys_kernelI22helper_blocked_stripediLj192ELj3ELj10EEvPKT0_PS1_,"axG",@progbits,_Z16sort_keys_kernelI22helper_blocked_stripediLj192ELj3ELj10EEvPKT0_PS1_,comdat
	.protected	_Z16sort_keys_kernelI22helper_blocked_stripediLj192ELj3ELj10EEvPKT0_PS1_ ; -- Begin function _Z16sort_keys_kernelI22helper_blocked_stripediLj192ELj3ELj10EEvPKT0_PS1_
	.globl	_Z16sort_keys_kernelI22helper_blocked_stripediLj192ELj3ELj10EEvPKT0_PS1_
	.p2align	8
	.type	_Z16sort_keys_kernelI22helper_blocked_stripediLj192ELj3ELj10EEvPKT0_PS1_,@function
_Z16sort_keys_kernelI22helper_blocked_stripediLj192ELj3ELj10EEvPKT0_PS1_: ; @_Z16sort_keys_kernelI22helper_blocked_stripediLj192ELj3ELj10EEvPKT0_PS1_
; %bb.0:
	s_load_dwordx4 s[28:31], s[4:5], 0x0
	s_load_dword s2, s[4:5], 0x1c
	s_mul_i32 s34, s6, 0x240
	s_mov_b32 s35, 0
	s_lshl_b64 s[36:37], s[34:35], 2
	s_waitcnt lgkmcnt(0)
	s_add_u32 s0, s28, s36
	v_mul_u32_u24_e32 v3, 3, v0
	s_addc_u32 s1, s29, s37
	v_lshlrev_b32_e32 v3, 2, v3
	global_load_dwordx3 v[3:5], v3, s[0:1]
	s_lshr_b32 s0, s2, 16
	v_mbcnt_lo_u32_b32 v6, -1, 0
	s_and_b32 s1, s2, 0xffff
	v_mad_u32_u24 v1, v2, s0, v1
	v_mbcnt_hi_u32_b32 v12, -1, v6
	v_mad_u64_u32 v[1:2], s[0:1], v1, s1, v[0:1]
	v_and_b32_e32 v2, 15, v12
	v_cmp_eq_u32_e64 s[0:1], 0, v2
	v_cmp_lt_u32_e64 s[2:3], 1, v2
	v_cmp_lt_u32_e64 s[4:5], 3, v2
	;; [unrolled: 1-line block ×3, first 2 shown]
	v_and_b32_e32 v2, 16, v12
	v_cmp_eq_u32_e64 s[8:9], 0, v2
	v_and_b32_e32 v2, 0xc0, v0
	v_min_u32_e32 v9, 0x80, v2
	v_lshrrev_b32_e32 v10, 6, v0
	v_or_b32_e32 v9, 63, v9
	v_mul_u32_u24_e32 v6, 0xc0, v10
	v_cmp_eq_u32_e64 s[12:13], v0, v9
	v_subrev_co_u32_e64 v9, s[18:19], 1, v12
	v_and_b32_e32 v11, 64, v12
	v_lshlrev_b32_e32 v7, 2, v6
	v_cmp_lt_i32_e32 vcc, v9, v11
	v_mad_u32_u24 v6, v12, 12, v7
	v_lshlrev_b32_e32 v14, 2, v12
	v_cmp_lt_u32_e64 s[10:11], 31, v12
	v_cndmask_b32_e32 v9, v9, v12, vcc
	v_lshlrev_b32_e32 v10, 2, v10
	v_and_b32_e32 v12, 3, v12
	v_mul_u32_u24_e32 v2, 12, v2
	v_lshrrev_b32_e32 v1, 4, v1
	v_add_u32_e32 v7, v14, v7
	v_lshlrev_b32_e32 v8, 4, v0
	v_cmp_gt_u32_e64 s[14:15], 3, v0
	v_cmp_lt_u32_e64 s[16:17], 63, v0
	v_lshlrev_b32_e32 v9, 2, v9
	v_cmp_eq_u32_e64 s[20:21], 0, v0
	v_mul_i32_i24_e32 v11, -12, v0
	v_cmp_eq_u32_e64 s[22:23], 0, v12
	v_cmp_lt_u32_e64 s[24:25], 1, v12
	v_add_u32_e32 v12, -4, v10
	v_and_b32_e32 v13, 0xffffffc, v1
	v_mov_b32_e32 v1, 0
	v_add_u32_e32 v14, v14, v2
	v_mov_b32_e32 v15, 12
	s_branch .LBB210_2
.LBB210_1:                              ;   in Loop: Header=BB210_2 Depth=1
	v_lshlrev_b32_e32 v2, 2, v20
	s_barrier
	ds_write_b32 v2, v19
	v_lshlrev_b32_e32 v2, 2, v5
	ds_write_b32 v2, v17
	v_lshlrev_b32_e32 v2, 2, v4
	ds_write_b32 v2, v16
	v_add_u32_e32 v2, v8, v11
	s_waitcnt lgkmcnt(0)
	s_barrier
	ds_read2st64_b32 v[3:4], v2 offset1:3
	ds_read_b32 v2, v2 offset:1536
	s_add_i32 s35, s35, 1
	s_cmp_eq_u32 s35, 10
	s_waitcnt lgkmcnt(1)
	v_xor_b32_e32 v3, 0x80000000, v3
	v_xor_b32_e32 v4, 0x80000000, v4
	s_waitcnt lgkmcnt(0)
	v_xor_b32_e32 v5, 0x80000000, v2
	s_cbranch_scc1 .LBB210_18
.LBB210_2:                              ; =>This Loop Header: Depth=1
                                        ;     Child Loop BB210_4 Depth 2
	s_waitcnt vmcnt(0)
	v_xor_b32_e32 v2, 0x80000000, v3
	v_xor_b32_e32 v3, 0x80000000, v4
	;; [unrolled: 1-line block ×3, first 2 shown]
	ds_write2_b32 v6, v2, v3 offset1:1
	ds_write_b32 v6, v4 offset:8
	; wave barrier
	ds_read2st64_b32 v[2:3], v7 offset1:1
	ds_read_b32 v21, v7 offset:512
	v_mov_b32_e32 v18, v1
	s_waitcnt lgkmcnt(0)
	s_barrier
	; wave barrier
	s_barrier
	s_branch .LBB210_4
.LBB210_3:                              ;   in Loop: Header=BB210_4 Depth=2
	s_andn2_b64 vcc, exec, s[26:27]
	s_cbranch_vccz .LBB210_1
.LBB210_4:                              ;   Parent Loop BB210_2 Depth=1
                                        ; =>  This Inner Loop Header: Depth=2
	v_mov_b32_e32 v19, v2
	v_mov_b32_e32 v17, v3
	v_lshrrev_b32_e32 v3, v18, v19
	v_and_b32_e32 v2, 1, v3
	v_add_co_u32_e32 v5, vcc, -1, v2
	v_addc_co_u32_e64 v20, s[26:27], 0, -1, vcc
	v_cmp_ne_u32_e32 vcc, 0, v2
	v_xor_b32_e32 v2, vcc_hi, v20
	v_and_b32_e32 v20, exec_hi, v2
	v_lshlrev_b32_e32 v2, 30, v3
	v_xor_b32_e32 v5, vcc_lo, v5
	v_cmp_gt_i64_e32 vcc, 0, v[1:2]
	v_not_b32_e32 v2, v2
	v_ashrrev_i32_e32 v2, 31, v2
	v_mov_b32_e32 v16, v21
	v_and_b32_e32 v5, exec_lo, v5
	v_xor_b32_e32 v21, vcc_hi, v2
	v_xor_b32_e32 v2, vcc_lo, v2
	v_and_b32_e32 v5, v5, v2
	v_lshlrev_b32_e32 v2, 29, v3
	v_cmp_gt_i64_e32 vcc, 0, v[1:2]
	v_not_b32_e32 v2, v2
	v_ashrrev_i32_e32 v2, 31, v2
	v_and_b32_e32 v20, v20, v21
	v_xor_b32_e32 v21, vcc_hi, v2
	v_xor_b32_e32 v2, vcc_lo, v2
	v_and_b32_e32 v5, v5, v2
	v_lshlrev_b32_e32 v2, 28, v3
	v_cmp_gt_i64_e32 vcc, 0, v[1:2]
	v_not_b32_e32 v2, v2
	v_ashrrev_i32_e32 v2, 31, v2
	v_and_b32_e32 v20, v20, v21
	;; [unrolled: 8-line block ×5, first 2 shown]
	v_xor_b32_e32 v21, vcc_hi, v2
	v_xor_b32_e32 v2, vcc_lo, v2
	v_and_b32_e32 v5, v5, v2
	v_lshlrev_b32_e32 v2, 24, v3
	v_cmp_gt_i64_e32 vcc, 0, v[1:2]
	v_not_b32_e32 v2, v2
	v_ashrrev_i32_e32 v2, 31, v2
	v_mul_u32_u24_sdwa v4, v3, v15 dst_sel:DWORD dst_unused:UNUSED_PAD src0_sel:BYTE_0 src1_sel:DWORD
	v_xor_b32_e32 v3, vcc_hi, v2
	v_xor_b32_e32 v2, vcc_lo, v2
	v_and_b32_e32 v20, v20, v21
	v_and_b32_e32 v2, v5, v2
	;; [unrolled: 1-line block ×3, first 2 shown]
	v_mbcnt_lo_u32_b32 v5, v2, 0
	v_mbcnt_hi_u32_b32 v20, v3, v5
	v_cmp_ne_u64_e32 vcc, 0, v[2:3]
	v_cmp_eq_u32_e64 s[26:27], 0, v20
	s_and_b64 s[28:29], vcc, s[26:27]
	v_add_u32_e32 v21, v13, v4
	ds_write2_b32 v8, v1, v1 offset0:3 offset1:4
	ds_write2_b32 v8, v1, v1 offset0:5 offset1:6
	s_waitcnt lgkmcnt(0)
	s_barrier
	; wave barrier
	s_and_saveexec_b64 s[26:27], s[28:29]
; %bb.5:                                ;   in Loop: Header=BB210_4 Depth=2
	v_bcnt_u32_b32 v2, v2, 0
	v_bcnt_u32_b32 v2, v3, v2
	ds_write_b32 v21, v2 offset:12
; %bb.6:                                ;   in Loop: Header=BB210_4 Depth=2
	s_or_b64 exec, exec, s[26:27]
	v_lshrrev_b32_e32 v3, v18, v17
	v_and_b32_e32 v2, 0xff, v3
	v_mul_u32_u24_e32 v4, 12, v2
	v_mad_u32_u24 v2, v2, 12, v13
	; wave barrier
	ds_read_b32 v22, v2 offset:12
	v_and_b32_e32 v2, 1, v3
	v_add_co_u32_e32 v5, vcc, -1, v2
	v_addc_co_u32_e64 v23, s[26:27], 0, -1, vcc
	v_cmp_ne_u32_e32 vcc, 0, v2
	v_xor_b32_e32 v2, vcc_hi, v23
	v_and_b32_e32 v23, exec_hi, v2
	v_lshlrev_b32_e32 v2, 30, v3
	v_xor_b32_e32 v5, vcc_lo, v5
	v_cmp_gt_i64_e32 vcc, 0, v[1:2]
	v_not_b32_e32 v2, v2
	v_ashrrev_i32_e32 v2, 31, v2
	v_and_b32_e32 v5, exec_lo, v5
	v_xor_b32_e32 v24, vcc_hi, v2
	v_xor_b32_e32 v2, vcc_lo, v2
	v_and_b32_e32 v5, v5, v2
	v_lshlrev_b32_e32 v2, 29, v3
	v_cmp_gt_i64_e32 vcc, 0, v[1:2]
	v_not_b32_e32 v2, v2
	v_ashrrev_i32_e32 v2, 31, v2
	v_and_b32_e32 v23, v23, v24
	v_xor_b32_e32 v24, vcc_hi, v2
	v_xor_b32_e32 v2, vcc_lo, v2
	v_and_b32_e32 v5, v5, v2
	v_lshlrev_b32_e32 v2, 28, v3
	v_cmp_gt_i64_e32 vcc, 0, v[1:2]
	v_not_b32_e32 v2, v2
	v_ashrrev_i32_e32 v2, 31, v2
	v_and_b32_e32 v23, v23, v24
	;; [unrolled: 8-line block ×5, first 2 shown]
	v_xor_b32_e32 v24, vcc_hi, v2
	v_xor_b32_e32 v2, vcc_lo, v2
	v_and_b32_e32 v5, v5, v2
	v_lshlrev_b32_e32 v2, 24, v3
	v_cmp_gt_i64_e32 vcc, 0, v[1:2]
	v_not_b32_e32 v2, v2
	v_ashrrev_i32_e32 v2, 31, v2
	v_xor_b32_e32 v3, vcc_hi, v2
	v_xor_b32_e32 v2, vcc_lo, v2
	v_and_b32_e32 v23, v23, v24
	v_and_b32_e32 v2, v5, v2
	;; [unrolled: 1-line block ×3, first 2 shown]
	v_mbcnt_lo_u32_b32 v5, v2, 0
	v_mbcnt_hi_u32_b32 v23, v3, v5
	v_cmp_ne_u64_e32 vcc, 0, v[2:3]
	v_cmp_eq_u32_e64 s[26:27], 0, v23
	s_and_b64 s[28:29], vcc, s[26:27]
	v_add_u32_e32 v24, v13, v4
	; wave barrier
	s_and_saveexec_b64 s[26:27], s[28:29]
	s_cbranch_execz .LBB210_8
; %bb.7:                                ;   in Loop: Header=BB210_4 Depth=2
	v_bcnt_u32_b32 v2, v2, 0
	v_bcnt_u32_b32 v2, v3, v2
	s_waitcnt lgkmcnt(0)
	v_add_u32_e32 v2, v22, v2
	ds_write_b32 v24, v2 offset:12
.LBB210_8:                              ;   in Loop: Header=BB210_4 Depth=2
	s_or_b64 exec, exec, s[26:27]
	v_lshrrev_b32_e32 v3, v18, v16
	v_and_b32_e32 v2, 0xff, v3
	v_mul_u32_u24_e32 v4, 12, v2
	v_mad_u32_u24 v2, v2, 12, v13
	; wave barrier
	ds_read_b32 v25, v2 offset:12
	v_and_b32_e32 v2, 1, v3
	v_add_co_u32_e32 v5, vcc, -1, v2
	v_addc_co_u32_e64 v26, s[26:27], 0, -1, vcc
	v_cmp_ne_u32_e32 vcc, 0, v2
	v_xor_b32_e32 v2, vcc_hi, v26
	v_and_b32_e32 v26, exec_hi, v2
	v_lshlrev_b32_e32 v2, 30, v3
	v_xor_b32_e32 v5, vcc_lo, v5
	v_cmp_gt_i64_e32 vcc, 0, v[1:2]
	v_not_b32_e32 v2, v2
	v_ashrrev_i32_e32 v2, 31, v2
	v_and_b32_e32 v5, exec_lo, v5
	v_xor_b32_e32 v27, vcc_hi, v2
	v_xor_b32_e32 v2, vcc_lo, v2
	v_and_b32_e32 v5, v5, v2
	v_lshlrev_b32_e32 v2, 29, v3
	v_cmp_gt_i64_e32 vcc, 0, v[1:2]
	v_not_b32_e32 v2, v2
	v_ashrrev_i32_e32 v2, 31, v2
	v_and_b32_e32 v26, v26, v27
	v_xor_b32_e32 v27, vcc_hi, v2
	v_xor_b32_e32 v2, vcc_lo, v2
	v_and_b32_e32 v5, v5, v2
	v_lshlrev_b32_e32 v2, 28, v3
	v_cmp_gt_i64_e32 vcc, 0, v[1:2]
	v_not_b32_e32 v2, v2
	v_ashrrev_i32_e32 v2, 31, v2
	v_and_b32_e32 v26, v26, v27
	;; [unrolled: 8-line block ×5, first 2 shown]
	v_xor_b32_e32 v27, vcc_hi, v2
	v_xor_b32_e32 v2, vcc_lo, v2
	v_and_b32_e32 v5, v5, v2
	v_lshlrev_b32_e32 v2, 24, v3
	v_cmp_gt_i64_e32 vcc, 0, v[1:2]
	v_not_b32_e32 v2, v2
	v_ashrrev_i32_e32 v2, 31, v2
	v_xor_b32_e32 v3, vcc_hi, v2
	v_xor_b32_e32 v2, vcc_lo, v2
	v_and_b32_e32 v26, v26, v27
	v_and_b32_e32 v2, v5, v2
	;; [unrolled: 1-line block ×3, first 2 shown]
	v_mbcnt_lo_u32_b32 v5, v2, 0
	v_mbcnt_hi_u32_b32 v26, v3, v5
	v_cmp_ne_u64_e32 vcc, 0, v[2:3]
	v_cmp_eq_u32_e64 s[26:27], 0, v26
	s_and_b64 s[28:29], vcc, s[26:27]
	v_add_u32_e32 v27, v13, v4
	; wave barrier
	s_and_saveexec_b64 s[26:27], s[28:29]
	s_cbranch_execz .LBB210_10
; %bb.9:                                ;   in Loop: Header=BB210_4 Depth=2
	v_bcnt_u32_b32 v2, v2, 0
	v_bcnt_u32_b32 v2, v3, v2
	s_waitcnt lgkmcnt(0)
	v_add_u32_e32 v2, v25, v2
	ds_write_b32 v27, v2 offset:12
.LBB210_10:                             ;   in Loop: Header=BB210_4 Depth=2
	s_or_b64 exec, exec, s[26:27]
	; wave barrier
	s_waitcnt lgkmcnt(0)
	s_barrier
	ds_read2_b32 v[4:5], v8 offset0:3 offset1:4
	ds_read2_b32 v[2:3], v8 offset0:5 offset1:6
	s_waitcnt lgkmcnt(1)
	v_add_u32_e32 v28, v5, v4
	s_waitcnt lgkmcnt(0)
	v_add3_u32 v3, v28, v2, v3
	s_nop 1
	v_mov_b32_dpp v28, v3 row_shr:1 row_mask:0xf bank_mask:0xf
	v_cndmask_b32_e64 v28, v28, 0, s[0:1]
	v_add_u32_e32 v3, v28, v3
	s_nop 1
	v_mov_b32_dpp v28, v3 row_shr:2 row_mask:0xf bank_mask:0xf
	v_cndmask_b32_e64 v28, 0, v28, s[2:3]
	v_add_u32_e32 v3, v3, v28
	;; [unrolled: 4-line block ×4, first 2 shown]
	s_nop 1
	v_mov_b32_dpp v28, v3 row_bcast:15 row_mask:0xf bank_mask:0xf
	v_cndmask_b32_e64 v28, v28, 0, s[8:9]
	v_add_u32_e32 v3, v3, v28
	s_nop 1
	v_mov_b32_dpp v28, v3 row_bcast:31 row_mask:0xf bank_mask:0xf
	v_cndmask_b32_e64 v28, 0, v28, s[10:11]
	v_add_u32_e32 v3, v3, v28
	s_and_saveexec_b64 s[26:27], s[12:13]
; %bb.11:                               ;   in Loop: Header=BB210_4 Depth=2
	ds_write_b32 v10, v3
; %bb.12:                               ;   in Loop: Header=BB210_4 Depth=2
	s_or_b64 exec, exec, s[26:27]
	s_waitcnt lgkmcnt(0)
	s_barrier
	s_and_saveexec_b64 s[26:27], s[14:15]
	s_cbranch_execz .LBB210_14
; %bb.13:                               ;   in Loop: Header=BB210_4 Depth=2
	v_add_u32_e32 v28, v8, v11
	ds_read_b32 v29, v28
	s_waitcnt lgkmcnt(0)
	s_nop 0
	v_mov_b32_dpp v30, v29 row_shr:1 row_mask:0xf bank_mask:0xf
	v_cndmask_b32_e64 v30, v30, 0, s[22:23]
	v_add_u32_e32 v29, v30, v29
	s_nop 1
	v_mov_b32_dpp v30, v29 row_shr:2 row_mask:0xf bank_mask:0xf
	v_cndmask_b32_e64 v30, 0, v30, s[24:25]
	v_add_u32_e32 v29, v29, v30
	ds_write_b32 v28, v29
.LBB210_14:                             ;   in Loop: Header=BB210_4 Depth=2
	s_or_b64 exec, exec, s[26:27]
	v_mov_b32_e32 v28, 0
	s_waitcnt lgkmcnt(0)
	s_barrier
	s_and_saveexec_b64 s[26:27], s[16:17]
; %bb.15:                               ;   in Loop: Header=BB210_4 Depth=2
	ds_read_b32 v28, v12
; %bb.16:                               ;   in Loop: Header=BB210_4 Depth=2
	s_or_b64 exec, exec, s[26:27]
	s_waitcnt lgkmcnt(0)
	v_add_u32_e32 v3, v28, v3
	ds_bpermute_b32 v3, v9, v3
	v_cmp_lt_u32_e32 vcc, 23, v18
	s_and_b64 vcc, exec, vcc
	s_mov_b64 s[26:27], -1
	s_waitcnt lgkmcnt(0)
	v_cndmask_b32_e64 v3, v3, v28, s[18:19]
	v_cndmask_b32_e64 v3, v3, 0, s[20:21]
	v_add_u32_e32 v4, v3, v4
	v_add_u32_e32 v5, v4, v5
	;; [unrolled: 1-line block ×3, first 2 shown]
	ds_write2_b32 v8, v3, v4 offset0:3 offset1:4
	ds_write2_b32 v8, v5, v2 offset0:5 offset1:6
	s_waitcnt lgkmcnt(0)
	s_barrier
	ds_read_b32 v2, v21 offset:12
	ds_read_b32 v3, v24 offset:12
	;; [unrolled: 1-line block ×3, first 2 shown]
                                        ; implicit-def: $vgpr21
	s_waitcnt lgkmcnt(2)
	v_add_u32_e32 v20, v2, v20
	s_waitcnt lgkmcnt(1)
	v_add3_u32 v5, v23, v22, v3
	s_waitcnt lgkmcnt(0)
	v_add3_u32 v4, v26, v25, v4
                                        ; implicit-def: $vgpr3
	s_cbranch_vccnz .LBB210_3
; %bb.17:                               ;   in Loop: Header=BB210_4 Depth=2
	v_lshlrev_b32_e32 v2, 2, v20
	s_barrier
	ds_write_b32 v2, v19
	v_lshlrev_b32_e32 v2, 2, v5
	ds_write_b32 v2, v17
	v_lshlrev_b32_e32 v2, 2, v4
	ds_write_b32 v2, v16
	s_waitcnt lgkmcnt(0)
	s_barrier
	ds_read2st64_b32 v[2:3], v14 offset1:1
	ds_read_b32 v21, v14 offset:512
	v_add_u32_e32 v18, 8, v18
	s_mov_b64 s[26:27], 0
	s_waitcnt lgkmcnt(0)
	s_barrier
	s_branch .LBB210_3
.LBB210_18:
	s_add_u32 s0, s30, s36
	s_addc_u32 s1, s31, s37
	v_lshlrev_b32_e32 v0, 2, v0
	global_store_dword v0, v3, s[0:1]
	global_store_dword v0, v4, s[0:1] offset:768
	global_store_dword v0, v5, s[0:1] offset:1536
	s_endpgm
	.section	.rodata,"a",@progbits
	.p2align	6, 0x0
	.amdhsa_kernel _Z16sort_keys_kernelI22helper_blocked_stripediLj192ELj3ELj10EEvPKT0_PS1_
		.amdhsa_group_segment_fixed_size 3088
		.amdhsa_private_segment_fixed_size 0
		.amdhsa_kernarg_size 272
		.amdhsa_user_sgpr_count 6
		.amdhsa_user_sgpr_private_segment_buffer 1
		.amdhsa_user_sgpr_dispatch_ptr 0
		.amdhsa_user_sgpr_queue_ptr 0
		.amdhsa_user_sgpr_kernarg_segment_ptr 1
		.amdhsa_user_sgpr_dispatch_id 0
		.amdhsa_user_sgpr_flat_scratch_init 0
		.amdhsa_user_sgpr_private_segment_size 0
		.amdhsa_uses_dynamic_stack 0
		.amdhsa_system_sgpr_private_segment_wavefront_offset 0
		.amdhsa_system_sgpr_workgroup_id_x 1
		.amdhsa_system_sgpr_workgroup_id_y 0
		.amdhsa_system_sgpr_workgroup_id_z 0
		.amdhsa_system_sgpr_workgroup_info 0
		.amdhsa_system_vgpr_workitem_id 2
		.amdhsa_next_free_vgpr 31
		.amdhsa_next_free_sgpr 38
		.amdhsa_reserve_vcc 1
		.amdhsa_reserve_flat_scratch 0
		.amdhsa_float_round_mode_32 0
		.amdhsa_float_round_mode_16_64 0
		.amdhsa_float_denorm_mode_32 3
		.amdhsa_float_denorm_mode_16_64 3
		.amdhsa_dx10_clamp 1
		.amdhsa_ieee_mode 1
		.amdhsa_fp16_overflow 0
		.amdhsa_exception_fp_ieee_invalid_op 0
		.amdhsa_exception_fp_denorm_src 0
		.amdhsa_exception_fp_ieee_div_zero 0
		.amdhsa_exception_fp_ieee_overflow 0
		.amdhsa_exception_fp_ieee_underflow 0
		.amdhsa_exception_fp_ieee_inexact 0
		.amdhsa_exception_int_div_zero 0
	.end_amdhsa_kernel
	.section	.text._Z16sort_keys_kernelI22helper_blocked_stripediLj192ELj3ELj10EEvPKT0_PS1_,"axG",@progbits,_Z16sort_keys_kernelI22helper_blocked_stripediLj192ELj3ELj10EEvPKT0_PS1_,comdat
.Lfunc_end210:
	.size	_Z16sort_keys_kernelI22helper_blocked_stripediLj192ELj3ELj10EEvPKT0_PS1_, .Lfunc_end210-_Z16sort_keys_kernelI22helper_blocked_stripediLj192ELj3ELj10EEvPKT0_PS1_
                                        ; -- End function
	.set _Z16sort_keys_kernelI22helper_blocked_stripediLj192ELj3ELj10EEvPKT0_PS1_.num_vgpr, 31
	.set _Z16sort_keys_kernelI22helper_blocked_stripediLj192ELj3ELj10EEvPKT0_PS1_.num_agpr, 0
	.set _Z16sort_keys_kernelI22helper_blocked_stripediLj192ELj3ELj10EEvPKT0_PS1_.numbered_sgpr, 38
	.set _Z16sort_keys_kernelI22helper_blocked_stripediLj192ELj3ELj10EEvPKT0_PS1_.num_named_barrier, 0
	.set _Z16sort_keys_kernelI22helper_blocked_stripediLj192ELj3ELj10EEvPKT0_PS1_.private_seg_size, 0
	.set _Z16sort_keys_kernelI22helper_blocked_stripediLj192ELj3ELj10EEvPKT0_PS1_.uses_vcc, 1
	.set _Z16sort_keys_kernelI22helper_blocked_stripediLj192ELj3ELj10EEvPKT0_PS1_.uses_flat_scratch, 0
	.set _Z16sort_keys_kernelI22helper_blocked_stripediLj192ELj3ELj10EEvPKT0_PS1_.has_dyn_sized_stack, 0
	.set _Z16sort_keys_kernelI22helper_blocked_stripediLj192ELj3ELj10EEvPKT0_PS1_.has_recursion, 0
	.set _Z16sort_keys_kernelI22helper_blocked_stripediLj192ELj3ELj10EEvPKT0_PS1_.has_indirect_call, 0
	.section	.AMDGPU.csdata,"",@progbits
; Kernel info:
; codeLenInByte = 2248
; TotalNumSgprs: 42
; NumVgprs: 31
; ScratchSize: 0
; MemoryBound: 0
; FloatMode: 240
; IeeeMode: 1
; LDSByteSize: 3088 bytes/workgroup (compile time only)
; SGPRBlocks: 5
; VGPRBlocks: 7
; NumSGPRsForWavesPerEU: 42
; NumVGPRsForWavesPerEU: 31
; Occupancy: 8
; WaveLimiterHint : 1
; COMPUTE_PGM_RSRC2:SCRATCH_EN: 0
; COMPUTE_PGM_RSRC2:USER_SGPR: 6
; COMPUTE_PGM_RSRC2:TRAP_HANDLER: 0
; COMPUTE_PGM_RSRC2:TGID_X_EN: 1
; COMPUTE_PGM_RSRC2:TGID_Y_EN: 0
; COMPUTE_PGM_RSRC2:TGID_Z_EN: 0
; COMPUTE_PGM_RSRC2:TIDIG_COMP_CNT: 2
	.section	.text._Z17sort_pairs_kernelI22helper_blocked_stripediLj192ELj3ELj10EEvPKT0_PS1_,"axG",@progbits,_Z17sort_pairs_kernelI22helper_blocked_stripediLj192ELj3ELj10EEvPKT0_PS1_,comdat
	.protected	_Z17sort_pairs_kernelI22helper_blocked_stripediLj192ELj3ELj10EEvPKT0_PS1_ ; -- Begin function _Z17sort_pairs_kernelI22helper_blocked_stripediLj192ELj3ELj10EEvPKT0_PS1_
	.globl	_Z17sort_pairs_kernelI22helper_blocked_stripediLj192ELj3ELj10EEvPKT0_PS1_
	.p2align	8
	.type	_Z17sort_pairs_kernelI22helper_blocked_stripediLj192ELj3ELj10EEvPKT0_PS1_,@function
_Z17sort_pairs_kernelI22helper_blocked_stripediLj192ELj3ELj10EEvPKT0_PS1_: ; @_Z17sort_pairs_kernelI22helper_blocked_stripediLj192ELj3ELj10EEvPKT0_PS1_
; %bb.0:
	s_load_dwordx4 s[28:31], s[4:5], 0x0
	s_load_dword s24, s[4:5], 0x1c
	s_mul_i32 s36, s6, 0x240
	s_mov_b32 s37, 0
	s_lshl_b64 s[34:35], s[36:37], 2
	s_waitcnt lgkmcnt(0)
	s_add_u32 s0, s28, s34
	v_mul_u32_u24_e32 v3, 3, v0
	s_addc_u32 s1, s29, s35
	v_lshlrev_b32_e32 v3, 2, v3
	global_load_dwordx3 v[3:5], v3, s[0:1]
	s_lshr_b32 s25, s24, 16
	s_and_b32 s24, s24, 0xffff
	v_mad_u32_u24 v1, v2, s25, v1
	v_mbcnt_lo_u32_b32 v7, -1, 0
	v_mad_u64_u32 v[1:2], s[24:25], v1, s24, v[0:1]
	v_mbcnt_hi_u32_b32 v7, -1, v7
	v_lshrrev_b32_e32 v8, 6, v0
	v_and_b32_e32 v12, 0xc0, v0
	v_subrev_co_u32_e64 v18, s[8:9], 1, v7
	v_and_b32_e32 v19, 64, v7
	v_mul_u32_u24_e32 v13, 0xc0, v8
	v_and_b32_e32 v16, 16, v7
	v_min_u32_e32 v17, 0x80, v12
	v_cmp_lt_i32_e32 vcc, v18, v19
	v_lshlrev_b32_e32 v15, 2, v7
	v_and_b32_e32 v14, 15, v7
	v_lshlrev_b32_e32 v11, 2, v8
	v_and_b32_e32 v8, 3, v7
	v_mul_u32_u24_e32 v20, 12, v12
	v_cmp_eq_u32_e64 s[18:19], 0, v16
	v_lshlrev_b32_e32 v16, 2, v13
	v_or_b32_e32 v17, 63, v17
	v_cndmask_b32_e32 v18, v18, v7, vcc
	v_lshrrev_b32_e32 v1, 4, v1
	v_mov_b32_e32 v6, 0
	v_lshlrev_b32_e32 v9, 4, v0
	v_cmp_gt_u32_e64 s[0:1], 3, v0
	v_cmp_lt_u32_e64 s[2:3], 63, v0
	v_cmp_eq_u32_e64 s[4:5], 0, v0
	v_mul_i32_i24_e32 v10, -12, v0
	v_cmp_lt_u32_e64 s[6:7], 31, v7
	v_cmp_eq_u32_e64 s[10:11], 0, v14
	v_cmp_lt_u32_e64 s[12:13], 1, v14
	v_cmp_lt_u32_e64 s[14:15], 3, v14
	;; [unrolled: 1-line block ×3, first 2 shown]
	v_cmp_eq_u32_e64 s[20:21], 0, v8
	v_cmp_lt_u32_e64 s[22:23], 1, v8
	v_add_u32_e32 v12, -4, v11
	v_add_u32_e32 v13, v15, v20
	v_mad_u32_u24 v14, v7, 12, v16
	v_add_u32_e32 v15, v15, v16
	v_cmp_eq_u32_e64 s[24:25], v0, v17
	v_lshlrev_b32_e32 v16, 2, v18
	v_and_b32_e32 v17, 0xffffffc, v1
	v_mov_b32_e32 v18, 12
	s_waitcnt vmcnt(0)
	v_add_u32_e32 v7, 1, v3
	v_add_u32_e32 v8, 1, v4
	;; [unrolled: 1-line block ×3, first 2 shown]
	s_branch .LBB211_2
.LBB211_1:                              ;   in Loop: Header=BB211_2 Depth=1
	v_lshlrev_b32_e32 v3, 2, v25
	v_lshlrev_b32_e32 v4, 2, v24
	;; [unrolled: 1-line block ×3, first 2 shown]
	s_barrier
	ds_write_b32 v3, v23
	ds_write_b32 v4, v22
	;; [unrolled: 1-line block ×3, first 2 shown]
	v_add_u32_e32 v20, v9, v10
	s_waitcnt lgkmcnt(0)
	s_barrier
	ds_read2st64_b32 v[1:2], v20 offset1:3
	ds_read_b32 v21, v20 offset:1536
	s_waitcnt lgkmcnt(0)
	s_barrier
	ds_write_b32 v3, v19
	ds_write_b32 v4, v8
	;; [unrolled: 1-line block ×3, first 2 shown]
	s_waitcnt lgkmcnt(0)
	s_barrier
	ds_read2st64_b32 v[7:8], v20 offset1:3
	ds_read_b32 v19, v20 offset:1536
	s_add_i32 s37, s37, 1
	v_xor_b32_e32 v3, 0x80000000, v1
	v_xor_b32_e32 v4, 0x80000000, v2
	s_cmp_eq_u32 s37, 10
	v_xor_b32_e32 v5, 0x80000000, v21
	s_cbranch_scc1 .LBB211_18
.LBB211_2:                              ; =>This Loop Header: Depth=1
                                        ;     Child Loop BB211_4 Depth 2
	v_xor_b32_e32 v1, 0x80000000, v3
	v_xor_b32_e32 v2, 0x80000000, v4
	;; [unrolled: 1-line block ×3, first 2 shown]
	ds_write2_b32 v14, v1, v2 offset1:1
	ds_write_b32 v14, v3 offset:8
	; wave barrier
	ds_read2st64_b32 v[1:2], v15 offset1:1
	ds_read_b32 v26, v15 offset:512
	; wave barrier
	s_waitcnt lgkmcnt(5)
	ds_write2_b32 v14, v7, v8 offset1:1
	s_waitcnt lgkmcnt(5)
	ds_write_b32 v14, v19 offset:8
	; wave barrier
	ds_read2st64_b32 v[3:4], v15 offset1:1
	ds_read_b32 v27, v15 offset:512
	v_mov_b32_e32 v21, v6
	s_waitcnt lgkmcnt(0)
	s_barrier
	s_branch .LBB211_4
.LBB211_3:                              ;   in Loop: Header=BB211_4 Depth=2
	s_andn2_b64 vcc, exec, s[26:27]
	s_cbranch_vccz .LBB211_1
.LBB211_4:                              ;   Parent Loop BB211_2 Depth=1
                                        ; =>  This Inner Loop Header: Depth=2
	v_mov_b32_e32 v23, v1
	v_lshrrev_b32_e32 v1, v21, v23
	v_mov_b32_e32 v22, v2
	v_and_b32_e32 v2, 1, v1
	v_mov_b32_e32 v8, v4
	v_add_co_u32_e32 v4, vcc, -1, v2
	v_addc_co_u32_e64 v7, s[26:27], 0, -1, vcc
	v_cmp_ne_u32_e32 vcc, 0, v2
	v_xor_b32_e32 v2, vcc_hi, v7
	v_lshlrev_b32_e32 v7, 30, v1
	v_xor_b32_e32 v4, vcc_lo, v4
	v_cmp_gt_i64_e32 vcc, 0, v[6:7]
	v_not_b32_e32 v7, v7
	v_ashrrev_i32_e32 v7, 31, v7
	v_and_b32_e32 v4, exec_lo, v4
	v_xor_b32_e32 v24, vcc_hi, v7
	v_xor_b32_e32 v7, vcc_lo, v7
	v_and_b32_e32 v4, v4, v7
	v_lshlrev_b32_e32 v7, 29, v1
	v_cmp_gt_i64_e32 vcc, 0, v[6:7]
	v_not_b32_e32 v7, v7
	v_and_b32_e32 v2, exec_hi, v2
	v_ashrrev_i32_e32 v7, 31, v7
	v_and_b32_e32 v2, v2, v24
	v_xor_b32_e32 v24, vcc_hi, v7
	v_xor_b32_e32 v7, vcc_lo, v7
	v_and_b32_e32 v4, v4, v7
	v_lshlrev_b32_e32 v7, 28, v1
	v_cmp_gt_i64_e32 vcc, 0, v[6:7]
	v_not_b32_e32 v7, v7
	v_ashrrev_i32_e32 v7, 31, v7
	v_and_b32_e32 v2, v2, v24
	v_xor_b32_e32 v24, vcc_hi, v7
	v_xor_b32_e32 v7, vcc_lo, v7
	v_and_b32_e32 v4, v4, v7
	v_lshlrev_b32_e32 v7, 27, v1
	v_cmp_gt_i64_e32 vcc, 0, v[6:7]
	v_not_b32_e32 v7, v7
	;; [unrolled: 8-line block ×4, first 2 shown]
	v_ashrrev_i32_e32 v7, 31, v7
	v_and_b32_e32 v2, v2, v24
	v_xor_b32_e32 v24, vcc_hi, v7
	v_xor_b32_e32 v7, vcc_lo, v7
	v_and_b32_e32 v4, v4, v7
	v_lshlrev_b32_e32 v7, 24, v1
	v_mov_b32_e32 v19, v3
	v_mul_u32_u24_sdwa v3, v1, v18 dst_sel:DWORD dst_unused:UNUSED_PAD src0_sel:BYTE_0 src1_sel:DWORD
	v_cmp_gt_i64_e32 vcc, 0, v[6:7]
	v_not_b32_e32 v1, v7
	v_ashrrev_i32_e32 v1, 31, v1
	v_xor_b32_e32 v7, vcc_hi, v1
	v_xor_b32_e32 v1, vcc_lo, v1
	v_and_b32_e32 v2, v2, v24
	v_and_b32_e32 v1, v4, v1
	;; [unrolled: 1-line block ×3, first 2 shown]
	v_mbcnt_lo_u32_b32 v4, v1, 0
	v_mbcnt_hi_u32_b32 v24, v2, v4
	v_cmp_ne_u64_e32 vcc, 0, v[1:2]
	v_cmp_eq_u32_e64 s[26:27], 0, v24
	v_mov_b32_e32 v20, v26
	v_mov_b32_e32 v5, v27
	s_and_b64 s[28:29], vcc, s[26:27]
	v_add_u32_e32 v25, v17, v3
	ds_write2_b32 v9, v6, v6 offset0:3 offset1:4
	ds_write2_b32 v9, v6, v6 offset0:5 offset1:6
	s_waitcnt lgkmcnt(0)
	s_barrier
	; wave barrier
	s_and_saveexec_b64 s[26:27], s[28:29]
; %bb.5:                                ;   in Loop: Header=BB211_4 Depth=2
	v_bcnt_u32_b32 v1, v1, 0
	v_bcnt_u32_b32 v1, v2, v1
	ds_write_b32 v25, v1 offset:12
; %bb.6:                                ;   in Loop: Header=BB211_4 Depth=2
	s_or_b64 exec, exec, s[26:27]
	v_lshrrev_b32_e32 v1, v21, v22
	v_and_b32_e32 v2, 0xff, v1
	v_mul_u32_u24_e32 v3, 12, v2
	v_mad_u32_u24 v2, v2, 12, v17
	; wave barrier
	ds_read_b32 v26, v2 offset:12
	v_and_b32_e32 v2, 1, v1
	v_add_co_u32_e32 v4, vcc, -1, v2
	v_addc_co_u32_e64 v7, s[26:27], 0, -1, vcc
	v_cmp_ne_u32_e32 vcc, 0, v2
	v_xor_b32_e32 v2, vcc_hi, v7
	v_lshlrev_b32_e32 v7, 30, v1
	v_xor_b32_e32 v4, vcc_lo, v4
	v_cmp_gt_i64_e32 vcc, 0, v[6:7]
	v_not_b32_e32 v7, v7
	v_ashrrev_i32_e32 v7, 31, v7
	v_and_b32_e32 v4, exec_lo, v4
	v_xor_b32_e32 v27, vcc_hi, v7
	v_xor_b32_e32 v7, vcc_lo, v7
	v_and_b32_e32 v4, v4, v7
	v_lshlrev_b32_e32 v7, 29, v1
	v_cmp_gt_i64_e32 vcc, 0, v[6:7]
	v_not_b32_e32 v7, v7
	v_and_b32_e32 v2, exec_hi, v2
	v_ashrrev_i32_e32 v7, 31, v7
	v_and_b32_e32 v2, v2, v27
	v_xor_b32_e32 v27, vcc_hi, v7
	v_xor_b32_e32 v7, vcc_lo, v7
	v_and_b32_e32 v4, v4, v7
	v_lshlrev_b32_e32 v7, 28, v1
	v_cmp_gt_i64_e32 vcc, 0, v[6:7]
	v_not_b32_e32 v7, v7
	v_ashrrev_i32_e32 v7, 31, v7
	v_and_b32_e32 v2, v2, v27
	v_xor_b32_e32 v27, vcc_hi, v7
	v_xor_b32_e32 v7, vcc_lo, v7
	v_and_b32_e32 v4, v4, v7
	v_lshlrev_b32_e32 v7, 27, v1
	v_cmp_gt_i64_e32 vcc, 0, v[6:7]
	v_not_b32_e32 v7, v7
	;; [unrolled: 8-line block ×5, first 2 shown]
	v_ashrrev_i32_e32 v1, 31, v1
	v_xor_b32_e32 v7, vcc_hi, v1
	v_xor_b32_e32 v1, vcc_lo, v1
	v_and_b32_e32 v2, v2, v27
	v_and_b32_e32 v1, v4, v1
	;; [unrolled: 1-line block ×3, first 2 shown]
	v_mbcnt_lo_u32_b32 v4, v1, 0
	v_mbcnt_hi_u32_b32 v27, v2, v4
	v_cmp_ne_u64_e32 vcc, 0, v[1:2]
	v_cmp_eq_u32_e64 s[26:27], 0, v27
	s_and_b64 s[28:29], vcc, s[26:27]
	v_add_u32_e32 v28, v17, v3
	; wave barrier
	s_and_saveexec_b64 s[26:27], s[28:29]
	s_cbranch_execz .LBB211_8
; %bb.7:                                ;   in Loop: Header=BB211_4 Depth=2
	v_bcnt_u32_b32 v1, v1, 0
	v_bcnt_u32_b32 v1, v2, v1
	s_waitcnt lgkmcnt(0)
	v_add_u32_e32 v1, v26, v1
	ds_write_b32 v28, v1 offset:12
.LBB211_8:                              ;   in Loop: Header=BB211_4 Depth=2
	s_or_b64 exec, exec, s[26:27]
	v_lshrrev_b32_e32 v1, v21, v20
	v_and_b32_e32 v2, 0xff, v1
	v_mul_u32_u24_e32 v3, 12, v2
	v_mad_u32_u24 v2, v2, 12, v17
	; wave barrier
	ds_read_b32 v29, v2 offset:12
	v_and_b32_e32 v2, 1, v1
	v_add_co_u32_e32 v4, vcc, -1, v2
	v_addc_co_u32_e64 v7, s[26:27], 0, -1, vcc
	v_cmp_ne_u32_e32 vcc, 0, v2
	v_xor_b32_e32 v2, vcc_hi, v7
	v_lshlrev_b32_e32 v7, 30, v1
	v_xor_b32_e32 v4, vcc_lo, v4
	v_cmp_gt_i64_e32 vcc, 0, v[6:7]
	v_not_b32_e32 v7, v7
	v_ashrrev_i32_e32 v7, 31, v7
	v_and_b32_e32 v4, exec_lo, v4
	v_xor_b32_e32 v30, vcc_hi, v7
	v_xor_b32_e32 v7, vcc_lo, v7
	v_and_b32_e32 v4, v4, v7
	v_lshlrev_b32_e32 v7, 29, v1
	v_cmp_gt_i64_e32 vcc, 0, v[6:7]
	v_not_b32_e32 v7, v7
	v_and_b32_e32 v2, exec_hi, v2
	v_ashrrev_i32_e32 v7, 31, v7
	v_and_b32_e32 v2, v2, v30
	v_xor_b32_e32 v30, vcc_hi, v7
	v_xor_b32_e32 v7, vcc_lo, v7
	v_and_b32_e32 v4, v4, v7
	v_lshlrev_b32_e32 v7, 28, v1
	v_cmp_gt_i64_e32 vcc, 0, v[6:7]
	v_not_b32_e32 v7, v7
	v_ashrrev_i32_e32 v7, 31, v7
	v_and_b32_e32 v2, v2, v30
	v_xor_b32_e32 v30, vcc_hi, v7
	v_xor_b32_e32 v7, vcc_lo, v7
	v_and_b32_e32 v4, v4, v7
	v_lshlrev_b32_e32 v7, 27, v1
	v_cmp_gt_i64_e32 vcc, 0, v[6:7]
	v_not_b32_e32 v7, v7
	;; [unrolled: 8-line block ×5, first 2 shown]
	v_ashrrev_i32_e32 v1, 31, v1
	v_xor_b32_e32 v7, vcc_hi, v1
	v_xor_b32_e32 v1, vcc_lo, v1
	v_and_b32_e32 v2, v2, v30
	v_and_b32_e32 v1, v4, v1
	;; [unrolled: 1-line block ×3, first 2 shown]
	v_mbcnt_lo_u32_b32 v4, v1, 0
	v_mbcnt_hi_u32_b32 v7, v2, v4
	v_cmp_ne_u64_e32 vcc, 0, v[1:2]
	v_cmp_eq_u32_e64 s[26:27], 0, v7
	s_and_b64 s[28:29], vcc, s[26:27]
	v_add_u32_e32 v30, v17, v3
	; wave barrier
	s_and_saveexec_b64 s[26:27], s[28:29]
	s_cbranch_execz .LBB211_10
; %bb.9:                                ;   in Loop: Header=BB211_4 Depth=2
	v_bcnt_u32_b32 v1, v1, 0
	v_bcnt_u32_b32 v1, v2, v1
	s_waitcnt lgkmcnt(0)
	v_add_u32_e32 v1, v29, v1
	ds_write_b32 v30, v1 offset:12
.LBB211_10:                             ;   in Loop: Header=BB211_4 Depth=2
	s_or_b64 exec, exec, s[26:27]
	; wave barrier
	s_waitcnt lgkmcnt(0)
	s_barrier
	ds_read2_b32 v[3:4], v9 offset0:3 offset1:4
	ds_read2_b32 v[1:2], v9 offset0:5 offset1:6
	s_waitcnt lgkmcnt(1)
	v_add_u32_e32 v31, v4, v3
	s_waitcnt lgkmcnt(0)
	v_add3_u32 v2, v31, v1, v2
	s_nop 1
	v_mov_b32_dpp v31, v2 row_shr:1 row_mask:0xf bank_mask:0xf
	v_cndmask_b32_e64 v31, v31, 0, s[10:11]
	v_add_u32_e32 v2, v31, v2
	s_nop 1
	v_mov_b32_dpp v31, v2 row_shr:2 row_mask:0xf bank_mask:0xf
	v_cndmask_b32_e64 v31, 0, v31, s[12:13]
	v_add_u32_e32 v2, v2, v31
	;; [unrolled: 4-line block ×4, first 2 shown]
	s_nop 1
	v_mov_b32_dpp v31, v2 row_bcast:15 row_mask:0xf bank_mask:0xf
	v_cndmask_b32_e64 v31, v31, 0, s[18:19]
	v_add_u32_e32 v2, v2, v31
	s_nop 1
	v_mov_b32_dpp v31, v2 row_bcast:31 row_mask:0xf bank_mask:0xf
	v_cndmask_b32_e64 v31, 0, v31, s[6:7]
	v_add_u32_e32 v2, v2, v31
	s_and_saveexec_b64 s[26:27], s[24:25]
; %bb.11:                               ;   in Loop: Header=BB211_4 Depth=2
	ds_write_b32 v11, v2
; %bb.12:                               ;   in Loop: Header=BB211_4 Depth=2
	s_or_b64 exec, exec, s[26:27]
	s_waitcnt lgkmcnt(0)
	s_barrier
	s_and_saveexec_b64 s[26:27], s[0:1]
	s_cbranch_execz .LBB211_14
; %bb.13:                               ;   in Loop: Header=BB211_4 Depth=2
	v_add_u32_e32 v31, v9, v10
	ds_read_b32 v32, v31
	s_waitcnt lgkmcnt(0)
	s_nop 0
	v_mov_b32_dpp v33, v32 row_shr:1 row_mask:0xf bank_mask:0xf
	v_cndmask_b32_e64 v33, v33, 0, s[20:21]
	v_add_u32_e32 v32, v33, v32
	s_nop 1
	v_mov_b32_dpp v33, v32 row_shr:2 row_mask:0xf bank_mask:0xf
	v_cndmask_b32_e64 v33, 0, v33, s[22:23]
	v_add_u32_e32 v32, v32, v33
	ds_write_b32 v31, v32
.LBB211_14:                             ;   in Loop: Header=BB211_4 Depth=2
	s_or_b64 exec, exec, s[26:27]
	v_mov_b32_e32 v31, 0
	s_waitcnt lgkmcnt(0)
	s_barrier
	s_and_saveexec_b64 s[26:27], s[2:3]
; %bb.15:                               ;   in Loop: Header=BB211_4 Depth=2
	ds_read_b32 v31, v12
; %bb.16:                               ;   in Loop: Header=BB211_4 Depth=2
	s_or_b64 exec, exec, s[26:27]
	s_waitcnt lgkmcnt(0)
	v_add_u32_e32 v2, v31, v2
	ds_bpermute_b32 v2, v16, v2
	v_cmp_lt_u32_e32 vcc, 23, v21
	s_and_b64 vcc, exec, vcc
	s_mov_b64 s[26:27], -1
	s_waitcnt lgkmcnt(0)
	v_cndmask_b32_e64 v2, v2, v31, s[8:9]
	v_cndmask_b32_e64 v2, v2, 0, s[4:5]
	v_add_u32_e32 v3, v2, v3
	v_add_u32_e32 v4, v3, v4
	;; [unrolled: 1-line block ×3, first 2 shown]
	ds_write2_b32 v9, v2, v3 offset0:3 offset1:4
	ds_write2_b32 v9, v4, v1 offset0:5 offset1:6
	s_waitcnt lgkmcnt(0)
	s_barrier
	ds_read_b32 v1, v25 offset:12
	ds_read_b32 v2, v28 offset:12
	;; [unrolled: 1-line block ×3, first 2 shown]
	s_waitcnt lgkmcnt(2)
	v_add_u32_e32 v25, v1, v24
	s_waitcnt lgkmcnt(1)
	v_add3_u32 v24, v27, v26, v2
	s_waitcnt lgkmcnt(0)
	v_add3_u32 v7, v7, v29, v3
                                        ; implicit-def: $vgpr26
                                        ; implicit-def: $vgpr2
                                        ; implicit-def: $vgpr27
                                        ; implicit-def: $vgpr4
	s_cbranch_vccnz .LBB211_3
; %bb.17:                               ;   in Loop: Header=BB211_4 Depth=2
	v_lshlrev_b32_e32 v3, 2, v25
	v_lshlrev_b32_e32 v4, 2, v24
	;; [unrolled: 1-line block ×3, first 2 shown]
	s_barrier
	ds_write_b32 v3, v23
	ds_write_b32 v4, v22
	ds_write_b32 v27, v20
	s_waitcnt lgkmcnt(0)
	s_barrier
	ds_read2st64_b32 v[1:2], v13 offset1:1
	ds_read_b32 v26, v13 offset:512
	s_waitcnt lgkmcnt(0)
	s_barrier
	ds_write_b32 v3, v19
	ds_write_b32 v4, v8
	;; [unrolled: 1-line block ×3, first 2 shown]
	s_waitcnt lgkmcnt(0)
	s_barrier
	ds_read2st64_b32 v[3:4], v13 offset1:1
	ds_read_b32 v27, v13 offset:512
	v_add_u32_e32 v21, 8, v21
	s_mov_b64 s[26:27], 0
	s_waitcnt lgkmcnt(0)
	s_barrier
	s_branch .LBB211_3
.LBB211_18:
	s_add_u32 s0, s30, s34
	s_waitcnt lgkmcnt(1)
	v_add_u32_e32 v1, v3, v7
	s_addc_u32 s1, s31, s35
	v_lshlrev_b32_e32 v0, 2, v0
	v_add_u32_e32 v2, v4, v8
	s_waitcnt lgkmcnt(0)
	v_add_u32_e32 v3, v5, v19
	global_store_dword v0, v1, s[0:1]
	global_store_dword v0, v2, s[0:1] offset:768
	global_store_dword v0, v3, s[0:1] offset:1536
	s_endpgm
	.section	.rodata,"a",@progbits
	.p2align	6, 0x0
	.amdhsa_kernel _Z17sort_pairs_kernelI22helper_blocked_stripediLj192ELj3ELj10EEvPKT0_PS1_
		.amdhsa_group_segment_fixed_size 3088
		.amdhsa_private_segment_fixed_size 0
		.amdhsa_kernarg_size 272
		.amdhsa_user_sgpr_count 6
		.amdhsa_user_sgpr_private_segment_buffer 1
		.amdhsa_user_sgpr_dispatch_ptr 0
		.amdhsa_user_sgpr_queue_ptr 0
		.amdhsa_user_sgpr_kernarg_segment_ptr 1
		.amdhsa_user_sgpr_dispatch_id 0
		.amdhsa_user_sgpr_flat_scratch_init 0
		.amdhsa_user_sgpr_private_segment_size 0
		.amdhsa_uses_dynamic_stack 0
		.amdhsa_system_sgpr_private_segment_wavefront_offset 0
		.amdhsa_system_sgpr_workgroup_id_x 1
		.amdhsa_system_sgpr_workgroup_id_y 0
		.amdhsa_system_sgpr_workgroup_id_z 0
		.amdhsa_system_sgpr_workgroup_info 0
		.amdhsa_system_vgpr_workitem_id 2
		.amdhsa_next_free_vgpr 34
		.amdhsa_next_free_sgpr 38
		.amdhsa_reserve_vcc 1
		.amdhsa_reserve_flat_scratch 0
		.amdhsa_float_round_mode_32 0
		.amdhsa_float_round_mode_16_64 0
		.amdhsa_float_denorm_mode_32 3
		.amdhsa_float_denorm_mode_16_64 3
		.amdhsa_dx10_clamp 1
		.amdhsa_ieee_mode 1
		.amdhsa_fp16_overflow 0
		.amdhsa_exception_fp_ieee_invalid_op 0
		.amdhsa_exception_fp_denorm_src 0
		.amdhsa_exception_fp_ieee_div_zero 0
		.amdhsa_exception_fp_ieee_overflow 0
		.amdhsa_exception_fp_ieee_underflow 0
		.amdhsa_exception_fp_ieee_inexact 0
		.amdhsa_exception_int_div_zero 0
	.end_amdhsa_kernel
	.section	.text._Z17sort_pairs_kernelI22helper_blocked_stripediLj192ELj3ELj10EEvPKT0_PS1_,"axG",@progbits,_Z17sort_pairs_kernelI22helper_blocked_stripediLj192ELj3ELj10EEvPKT0_PS1_,comdat
.Lfunc_end211:
	.size	_Z17sort_pairs_kernelI22helper_blocked_stripediLj192ELj3ELj10EEvPKT0_PS1_, .Lfunc_end211-_Z17sort_pairs_kernelI22helper_blocked_stripediLj192ELj3ELj10EEvPKT0_PS1_
                                        ; -- End function
	.set _Z17sort_pairs_kernelI22helper_blocked_stripediLj192ELj3ELj10EEvPKT0_PS1_.num_vgpr, 34
	.set _Z17sort_pairs_kernelI22helper_blocked_stripediLj192ELj3ELj10EEvPKT0_PS1_.num_agpr, 0
	.set _Z17sort_pairs_kernelI22helper_blocked_stripediLj192ELj3ELj10EEvPKT0_PS1_.numbered_sgpr, 38
	.set _Z17sort_pairs_kernelI22helper_blocked_stripediLj192ELj3ELj10EEvPKT0_PS1_.num_named_barrier, 0
	.set _Z17sort_pairs_kernelI22helper_blocked_stripediLj192ELj3ELj10EEvPKT0_PS1_.private_seg_size, 0
	.set _Z17sort_pairs_kernelI22helper_blocked_stripediLj192ELj3ELj10EEvPKT0_PS1_.uses_vcc, 1
	.set _Z17sort_pairs_kernelI22helper_blocked_stripediLj192ELj3ELj10EEvPKT0_PS1_.uses_flat_scratch, 0
	.set _Z17sort_pairs_kernelI22helper_blocked_stripediLj192ELj3ELj10EEvPKT0_PS1_.has_dyn_sized_stack, 0
	.set _Z17sort_pairs_kernelI22helper_blocked_stripediLj192ELj3ELj10EEvPKT0_PS1_.has_recursion, 0
	.set _Z17sort_pairs_kernelI22helper_blocked_stripediLj192ELj3ELj10EEvPKT0_PS1_.has_indirect_call, 0
	.section	.AMDGPU.csdata,"",@progbits
; Kernel info:
; codeLenInByte = 2432
; TotalNumSgprs: 42
; NumVgprs: 34
; ScratchSize: 0
; MemoryBound: 0
; FloatMode: 240
; IeeeMode: 1
; LDSByteSize: 3088 bytes/workgroup (compile time only)
; SGPRBlocks: 5
; VGPRBlocks: 8
; NumSGPRsForWavesPerEU: 42
; NumVGPRsForWavesPerEU: 34
; Occupancy: 7
; WaveLimiterHint : 1
; COMPUTE_PGM_RSRC2:SCRATCH_EN: 0
; COMPUTE_PGM_RSRC2:USER_SGPR: 6
; COMPUTE_PGM_RSRC2:TRAP_HANDLER: 0
; COMPUTE_PGM_RSRC2:TGID_X_EN: 1
; COMPUTE_PGM_RSRC2:TGID_Y_EN: 0
; COMPUTE_PGM_RSRC2:TGID_Z_EN: 0
; COMPUTE_PGM_RSRC2:TIDIG_COMP_CNT: 2
	.section	.text._Z16sort_keys_kernelI22helper_blocked_stripediLj192ELj4ELj10EEvPKT0_PS1_,"axG",@progbits,_Z16sort_keys_kernelI22helper_blocked_stripediLj192ELj4ELj10EEvPKT0_PS1_,comdat
	.protected	_Z16sort_keys_kernelI22helper_blocked_stripediLj192ELj4ELj10EEvPKT0_PS1_ ; -- Begin function _Z16sort_keys_kernelI22helper_blocked_stripediLj192ELj4ELj10EEvPKT0_PS1_
	.globl	_Z16sort_keys_kernelI22helper_blocked_stripediLj192ELj4ELj10EEvPKT0_PS1_
	.p2align	8
	.type	_Z16sort_keys_kernelI22helper_blocked_stripediLj192ELj4ELj10EEvPKT0_PS1_,@function
_Z16sort_keys_kernelI22helper_blocked_stripediLj192ELj4ELj10EEvPKT0_PS1_: ; @_Z16sort_keys_kernelI22helper_blocked_stripediLj192ELj4ELj10EEvPKT0_PS1_
; %bb.0:
	s_load_dwordx4 s[36:39], s[4:5], 0x0
	s_load_dword s8, s[4:5], 0x1c
	s_mul_i32 s40, s6, 0x300
	s_mov_b32 s41, 0
	s_lshl_b64 s[42:43], s[40:41], 2
	s_waitcnt lgkmcnt(0)
	s_add_u32 s0, s36, s42
	s_addc_u32 s1, s37, s43
	v_lshlrev_b32_e32 v7, 4, v0
	global_load_dwordx4 v[3:6], v7, s[0:1]
	s_lshr_b32 s9, s8, 16
	v_mbcnt_lo_u32_b32 v8, -1, 0
	s_and_b32 s8, s8, 0xffff
	v_mad_u32_u24 v1, v2, s9, v1
	v_mbcnt_hi_u32_b32 v15, -1, v8
	v_mad_u64_u32 v[1:2], s[8:9], v1, s8, v[0:1]
	v_and_b32_e32 v2, 15, v15
	v_cmp_eq_u32_e64 s[8:9], 0, v2
	v_cmp_lt_u32_e64 s[10:11], 1, v2
	v_cmp_lt_u32_e64 s[12:13], 3, v2
	;; [unrolled: 1-line block ×3, first 2 shown]
	v_and_b32_e32 v2, 16, v15
	v_cmp_eq_u32_e64 s[16:17], 0, v2
	v_and_b32_e32 v2, 0xc0, v0
	v_min_u32_e32 v2, 0x80, v2
	v_or_b32_e32 v2, 63, v2
	v_and_b32_e32 v12, 64, v15
	v_cmp_eq_u32_e64 s[20:21], v0, v2
	v_subrev_co_u32_e64 v2, s[26:27], 1, v15
	v_lshrrev_b32_e32 v11, 2, v15
	v_cmp_lt_i32_e32 vcc, v2, v12
	v_or_b32_e32 v8, v11, v12
	v_add_u32_e32 v11, 48, v11
	v_cndmask_b32_e32 v2, v2, v15, vcc
	v_and_or_b32 v11, v11, 63, v12
	v_lshlrev_b32_e32 v12, 2, v2
	v_lshrrev_b32_e32 v2, 4, v0
	v_and_b32_e32 v16, 3, v15
	v_lshlrev_b32_e32 v8, 2, v8
	v_and_b32_e32 v13, 12, v2
	v_and_b32_e32 v2, 0xc00, v7
	v_lshrrev_b32_e32 v1, 4, v1
	v_cmp_eq_u32_e64 s[0:1], 3, v16
	v_cmp_eq_u32_e64 s[2:3], 2, v16
	;; [unrolled: 1-line block ×4, first 2 shown]
	v_add_u32_e32 v9, 64, v8
	v_or_b32_e32 v10, 0x80, v8
	v_lshlrev_b32_e32 v11, 2, v11
	v_cmp_lt_u32_e64 s[18:19], 31, v15
	v_cmp_gt_u32_e64 s[22:23], 3, v0
	v_cmp_lt_u32_e64 s[24:25], 63, v0
	v_cmp_eq_u32_e64 s[28:29], 0, v0
	v_mul_i32_i24_e32 v14, -12, v0
	v_cmp_lt_u32_e64 s[30:31], 1, v16
	v_lshl_or_b32 v15, v15, 2, v2
	v_and_b32_e32 v16, 0xffffffc, v1
	v_mov_b32_e32 v1, 0
	s_branch .LBB212_2
.LBB212_1:                              ;   in Loop: Header=BB212_2 Depth=1
	v_lshlrev_b32_e32 v2, 2, v25
	s_barrier
	ds_write_b32 v2, v20
	v_lshlrev_b32_e32 v2, 2, v23
	ds_write_b32 v2, v19
	v_lshlrev_b32_e32 v2, 2, v22
	;; [unrolled: 2-line block ×3, first 2 shown]
	ds_write_b32 v2, v6
	v_add_u32_e32 v2, v7, v14
	s_waitcnt lgkmcnt(0)
	s_barrier
	ds_read2st64_b32 v[3:4], v2 offset1:3
	ds_read2st64_b32 v[5:6], v2 offset0:6 offset1:9
	s_add_i32 s41, s41, 1
	s_cmp_eq_u32 s41, 10
	s_waitcnt lgkmcnt(1)
	v_xor_b32_e32 v3, 0x80000000, v3
	v_xor_b32_e32 v4, 0x80000000, v4
	s_waitcnt lgkmcnt(0)
	v_xor_b32_e32 v5, 0x80000000, v5
	v_xor_b32_e32 v6, 0x80000000, v6
	s_cbranch_scc1 .LBB212_20
.LBB212_2:                              ; =>This Loop Header: Depth=1
                                        ;     Child Loop BB212_4 Depth 2
	s_waitcnt vmcnt(0)
	v_xor_b32_e32 v17, 0x80000000, v3
	ds_bpermute_b32 v2, v8, v17
	v_xor_b32_e32 v4, 0x80000000, v4
	v_xor_b32_e32 v5, 0x80000000, v5
	ds_bpermute_b32 v3, v8, v4
	ds_bpermute_b32 v18, v8, v5
	;; [unrolled: 1-line block ×3, first 2 shown]
	v_xor_b32_e32 v6, 0x80000000, v6
	ds_bpermute_b32 v19, v8, v6
	s_waitcnt lgkmcnt(4)
	v_cndmask_b32_e64 v2, 0, v2, s[6:7]
	ds_bpermute_b32 v21, v9, v4
	s_waitcnt lgkmcnt(4)
	v_cndmask_b32_e64 v2, v2, v3, s[4:5]
	s_waitcnt lgkmcnt(3)
	v_cndmask_b32_e64 v2, v2, v18, s[2:3]
	;; [unrolled: 2-line block ×3, first 2 shown]
	ds_bpermute_b32 v18, v9, v5
	ds_bpermute_b32 v20, v10, v17
	s_waitcnt lgkmcnt(3)
	v_cndmask_b32_e64 v2, v2, v19, s[0:1]
	ds_bpermute_b32 v19, v9, v6
	s_waitcnt lgkmcnt(3)
	v_cndmask_b32_e64 v3, v3, v21, s[4:5]
	ds_bpermute_b32 v17, v11, v17
	ds_bpermute_b32 v21, v10, v4
	s_waitcnt lgkmcnt(4)
	v_cndmask_b32_e64 v3, v3, v18, s[2:3]
	s_waitcnt lgkmcnt(3)
	v_cndmask_b32_e64 v18, 0, v20, s[6:7]
	ds_bpermute_b32 v20, v11, v4
	ds_bpermute_b32 v22, v10, v5
	;; [unrolled: 1-line block ×3, first 2 shown]
	s_waitcnt lgkmcnt(5)
	v_cndmask_b32_e64 v3, v3, v19, s[0:1]
	ds_bpermute_b32 v19, v10, v6
	ds_bpermute_b32 v6, v11, v6
	s_waitcnt lgkmcnt(6)
	v_cndmask_b32_e64 v17, 0, v17, s[6:7]
	s_waitcnt lgkmcnt(5)
	v_cndmask_b32_e64 v18, v18, v21, s[4:5]
	;; [unrolled: 2-line block ×7, first 2 shown]
	v_mov_b32_e32 v18, v1
	s_barrier
	s_branch .LBB212_4
.LBB212_3:                              ;   in Loop: Header=BB212_4 Depth=2
	s_andn2_b64 vcc, exec, s[34:35]
	s_cbranch_vccz .LBB212_1
.LBB212_4:                              ;   Parent Loop BB212_2 Depth=1
                                        ; =>  This Inner Loop Header: Depth=2
	v_mov_b32_e32 v20, v2
	v_mov_b32_e32 v19, v3
	v_lshrrev_b32_e32 v3, v18, v20
	v_mov_b32_e32 v2, 12
	v_mov_b32_e32 v17, v4
	v_mul_u32_u24_sdwa v4, v3, v2 dst_sel:DWORD dst_unused:UNUSED_PAD src0_sel:BYTE_0 src1_sel:DWORD
	v_and_b32_e32 v2, 1, v3
	v_mov_b32_e32 v6, v5
	v_add_co_u32_e32 v5, vcc, -1, v2
	v_addc_co_u32_e64 v21, s[34:35], 0, -1, vcc
	v_cmp_ne_u32_e32 vcc, 0, v2
	v_xor_b32_e32 v2, vcc_hi, v21
	v_and_b32_e32 v21, exec_hi, v2
	v_lshlrev_b32_e32 v2, 30, v3
	v_xor_b32_e32 v5, vcc_lo, v5
	v_cmp_gt_i64_e32 vcc, 0, v[1:2]
	v_not_b32_e32 v2, v2
	v_ashrrev_i32_e32 v2, 31, v2
	v_and_b32_e32 v5, exec_lo, v5
	v_xor_b32_e32 v22, vcc_hi, v2
	v_xor_b32_e32 v2, vcc_lo, v2
	v_and_b32_e32 v5, v5, v2
	v_lshlrev_b32_e32 v2, 29, v3
	v_cmp_gt_i64_e32 vcc, 0, v[1:2]
	v_not_b32_e32 v2, v2
	v_ashrrev_i32_e32 v2, 31, v2
	v_and_b32_e32 v21, v21, v22
	v_xor_b32_e32 v22, vcc_hi, v2
	v_xor_b32_e32 v2, vcc_lo, v2
	v_and_b32_e32 v5, v5, v2
	v_lshlrev_b32_e32 v2, 28, v3
	v_cmp_gt_i64_e32 vcc, 0, v[1:2]
	v_not_b32_e32 v2, v2
	v_ashrrev_i32_e32 v2, 31, v2
	v_and_b32_e32 v21, v21, v22
	;; [unrolled: 8-line block ×5, first 2 shown]
	v_xor_b32_e32 v22, vcc_hi, v2
	v_xor_b32_e32 v2, vcc_lo, v2
	v_and_b32_e32 v5, v5, v2
	v_lshlrev_b32_e32 v2, 24, v3
	v_cmp_gt_i64_e32 vcc, 0, v[1:2]
	v_not_b32_e32 v2, v2
	v_ashrrev_i32_e32 v2, 31, v2
	v_xor_b32_e32 v3, vcc_hi, v2
	v_xor_b32_e32 v2, vcc_lo, v2
	v_and_b32_e32 v21, v21, v22
	v_and_b32_e32 v2, v5, v2
	;; [unrolled: 1-line block ×3, first 2 shown]
	v_mbcnt_lo_u32_b32 v5, v2, 0
	v_mbcnt_hi_u32_b32 v21, v3, v5
	v_cmp_ne_u64_e32 vcc, 0, v[2:3]
	v_cmp_eq_u32_e64 s[34:35], 0, v21
	s_and_b64 s[36:37], vcc, s[34:35]
	v_add_u32_e32 v22, v16, v4
	ds_write2_b32 v7, v1, v1 offset0:3 offset1:4
	ds_write2_b32 v7, v1, v1 offset0:5 offset1:6
	s_waitcnt lgkmcnt(0)
	s_barrier
	; wave barrier
	s_and_saveexec_b64 s[34:35], s[36:37]
; %bb.5:                                ;   in Loop: Header=BB212_4 Depth=2
	v_bcnt_u32_b32 v2, v2, 0
	v_bcnt_u32_b32 v2, v3, v2
	ds_write_b32 v22, v2 offset:12
; %bb.6:                                ;   in Loop: Header=BB212_4 Depth=2
	s_or_b64 exec, exec, s[34:35]
	v_lshrrev_b32_e32 v3, v18, v19
	v_and_b32_e32 v2, 0xff, v3
	v_mul_u32_u24_e32 v4, 12, v2
	v_mad_u32_u24 v2, v2, 12, v16
	; wave barrier
	ds_read_b32 v23, v2 offset:12
	v_and_b32_e32 v2, 1, v3
	v_add_co_u32_e32 v5, vcc, -1, v2
	v_addc_co_u32_e64 v24, s[34:35], 0, -1, vcc
	v_cmp_ne_u32_e32 vcc, 0, v2
	v_xor_b32_e32 v2, vcc_hi, v24
	v_and_b32_e32 v24, exec_hi, v2
	v_lshlrev_b32_e32 v2, 30, v3
	v_xor_b32_e32 v5, vcc_lo, v5
	v_cmp_gt_i64_e32 vcc, 0, v[1:2]
	v_not_b32_e32 v2, v2
	v_ashrrev_i32_e32 v2, 31, v2
	v_and_b32_e32 v5, exec_lo, v5
	v_xor_b32_e32 v25, vcc_hi, v2
	v_xor_b32_e32 v2, vcc_lo, v2
	v_and_b32_e32 v5, v5, v2
	v_lshlrev_b32_e32 v2, 29, v3
	v_cmp_gt_i64_e32 vcc, 0, v[1:2]
	v_not_b32_e32 v2, v2
	v_ashrrev_i32_e32 v2, 31, v2
	v_and_b32_e32 v24, v24, v25
	v_xor_b32_e32 v25, vcc_hi, v2
	v_xor_b32_e32 v2, vcc_lo, v2
	v_and_b32_e32 v5, v5, v2
	v_lshlrev_b32_e32 v2, 28, v3
	v_cmp_gt_i64_e32 vcc, 0, v[1:2]
	v_not_b32_e32 v2, v2
	v_ashrrev_i32_e32 v2, 31, v2
	v_and_b32_e32 v24, v24, v25
	;; [unrolled: 8-line block ×5, first 2 shown]
	v_xor_b32_e32 v25, vcc_hi, v2
	v_xor_b32_e32 v2, vcc_lo, v2
	v_and_b32_e32 v5, v5, v2
	v_lshlrev_b32_e32 v2, 24, v3
	v_cmp_gt_i64_e32 vcc, 0, v[1:2]
	v_not_b32_e32 v2, v2
	v_ashrrev_i32_e32 v2, 31, v2
	v_xor_b32_e32 v3, vcc_hi, v2
	v_xor_b32_e32 v2, vcc_lo, v2
	v_and_b32_e32 v24, v24, v25
	v_and_b32_e32 v2, v5, v2
	;; [unrolled: 1-line block ×3, first 2 shown]
	v_mbcnt_lo_u32_b32 v5, v2, 0
	v_mbcnt_hi_u32_b32 v24, v3, v5
	v_cmp_ne_u64_e32 vcc, 0, v[2:3]
	v_cmp_eq_u32_e64 s[34:35], 0, v24
	s_and_b64 s[36:37], vcc, s[34:35]
	v_add_u32_e32 v25, v16, v4
	; wave barrier
	s_and_saveexec_b64 s[34:35], s[36:37]
	s_cbranch_execz .LBB212_8
; %bb.7:                                ;   in Loop: Header=BB212_4 Depth=2
	v_bcnt_u32_b32 v2, v2, 0
	v_bcnt_u32_b32 v2, v3, v2
	s_waitcnt lgkmcnt(0)
	v_add_u32_e32 v2, v23, v2
	ds_write_b32 v25, v2 offset:12
.LBB212_8:                              ;   in Loop: Header=BB212_4 Depth=2
	s_or_b64 exec, exec, s[34:35]
	v_lshrrev_b32_e32 v3, v18, v17
	v_and_b32_e32 v2, 0xff, v3
	v_mul_u32_u24_e32 v4, 12, v2
	v_mad_u32_u24 v2, v2, 12, v16
	; wave barrier
	ds_read_b32 v26, v2 offset:12
	v_and_b32_e32 v2, 1, v3
	v_add_co_u32_e32 v5, vcc, -1, v2
	v_addc_co_u32_e64 v27, s[34:35], 0, -1, vcc
	v_cmp_ne_u32_e32 vcc, 0, v2
	v_xor_b32_e32 v2, vcc_hi, v27
	v_and_b32_e32 v27, exec_hi, v2
	v_lshlrev_b32_e32 v2, 30, v3
	v_xor_b32_e32 v5, vcc_lo, v5
	v_cmp_gt_i64_e32 vcc, 0, v[1:2]
	v_not_b32_e32 v2, v2
	v_ashrrev_i32_e32 v2, 31, v2
	v_and_b32_e32 v5, exec_lo, v5
	v_xor_b32_e32 v28, vcc_hi, v2
	v_xor_b32_e32 v2, vcc_lo, v2
	v_and_b32_e32 v5, v5, v2
	v_lshlrev_b32_e32 v2, 29, v3
	v_cmp_gt_i64_e32 vcc, 0, v[1:2]
	v_not_b32_e32 v2, v2
	v_ashrrev_i32_e32 v2, 31, v2
	v_and_b32_e32 v27, v27, v28
	v_xor_b32_e32 v28, vcc_hi, v2
	v_xor_b32_e32 v2, vcc_lo, v2
	v_and_b32_e32 v5, v5, v2
	v_lshlrev_b32_e32 v2, 28, v3
	v_cmp_gt_i64_e32 vcc, 0, v[1:2]
	v_not_b32_e32 v2, v2
	v_ashrrev_i32_e32 v2, 31, v2
	v_and_b32_e32 v27, v27, v28
	;; [unrolled: 8-line block ×5, first 2 shown]
	v_xor_b32_e32 v28, vcc_hi, v2
	v_xor_b32_e32 v2, vcc_lo, v2
	v_and_b32_e32 v5, v5, v2
	v_lshlrev_b32_e32 v2, 24, v3
	v_cmp_gt_i64_e32 vcc, 0, v[1:2]
	v_not_b32_e32 v2, v2
	v_ashrrev_i32_e32 v2, 31, v2
	v_xor_b32_e32 v3, vcc_hi, v2
	v_xor_b32_e32 v2, vcc_lo, v2
	v_and_b32_e32 v27, v27, v28
	v_and_b32_e32 v2, v5, v2
	;; [unrolled: 1-line block ×3, first 2 shown]
	v_mbcnt_lo_u32_b32 v5, v2, 0
	v_mbcnt_hi_u32_b32 v27, v3, v5
	v_cmp_ne_u64_e32 vcc, 0, v[2:3]
	v_cmp_eq_u32_e64 s[34:35], 0, v27
	s_and_b64 s[36:37], vcc, s[34:35]
	v_add_u32_e32 v28, v16, v4
	; wave barrier
	s_and_saveexec_b64 s[34:35], s[36:37]
	s_cbranch_execz .LBB212_10
; %bb.9:                                ;   in Loop: Header=BB212_4 Depth=2
	v_bcnt_u32_b32 v2, v2, 0
	v_bcnt_u32_b32 v2, v3, v2
	s_waitcnt lgkmcnt(0)
	v_add_u32_e32 v2, v26, v2
	ds_write_b32 v28, v2 offset:12
.LBB212_10:                             ;   in Loop: Header=BB212_4 Depth=2
	s_or_b64 exec, exec, s[34:35]
	v_lshrrev_b32_e32 v3, v18, v6
	v_and_b32_e32 v2, 0xff, v3
	v_mul_u32_u24_e32 v4, 12, v2
	v_mad_u32_u24 v2, v2, 12, v16
	; wave barrier
	ds_read_b32 v29, v2 offset:12
	v_and_b32_e32 v2, 1, v3
	v_add_co_u32_e32 v5, vcc, -1, v2
	v_addc_co_u32_e64 v30, s[34:35], 0, -1, vcc
	v_cmp_ne_u32_e32 vcc, 0, v2
	v_xor_b32_e32 v2, vcc_hi, v30
	v_and_b32_e32 v30, exec_hi, v2
	v_lshlrev_b32_e32 v2, 30, v3
	v_xor_b32_e32 v5, vcc_lo, v5
	v_cmp_gt_i64_e32 vcc, 0, v[1:2]
	v_not_b32_e32 v2, v2
	v_ashrrev_i32_e32 v2, 31, v2
	v_and_b32_e32 v5, exec_lo, v5
	v_xor_b32_e32 v31, vcc_hi, v2
	v_xor_b32_e32 v2, vcc_lo, v2
	v_and_b32_e32 v5, v5, v2
	v_lshlrev_b32_e32 v2, 29, v3
	v_cmp_gt_i64_e32 vcc, 0, v[1:2]
	v_not_b32_e32 v2, v2
	v_ashrrev_i32_e32 v2, 31, v2
	v_and_b32_e32 v30, v30, v31
	v_xor_b32_e32 v31, vcc_hi, v2
	v_xor_b32_e32 v2, vcc_lo, v2
	v_and_b32_e32 v5, v5, v2
	v_lshlrev_b32_e32 v2, 28, v3
	v_cmp_gt_i64_e32 vcc, 0, v[1:2]
	v_not_b32_e32 v2, v2
	v_ashrrev_i32_e32 v2, 31, v2
	v_and_b32_e32 v30, v30, v31
	;; [unrolled: 8-line block ×5, first 2 shown]
	v_xor_b32_e32 v31, vcc_hi, v2
	v_xor_b32_e32 v2, vcc_lo, v2
	v_and_b32_e32 v5, v5, v2
	v_lshlrev_b32_e32 v2, 24, v3
	v_cmp_gt_i64_e32 vcc, 0, v[1:2]
	v_not_b32_e32 v2, v2
	v_ashrrev_i32_e32 v2, 31, v2
	v_xor_b32_e32 v3, vcc_hi, v2
	v_xor_b32_e32 v2, vcc_lo, v2
	v_and_b32_e32 v30, v30, v31
	v_and_b32_e32 v2, v5, v2
	v_and_b32_e32 v3, v30, v3
	v_mbcnt_lo_u32_b32 v5, v2, 0
	v_mbcnt_hi_u32_b32 v30, v3, v5
	v_cmp_ne_u64_e32 vcc, 0, v[2:3]
	v_cmp_eq_u32_e64 s[34:35], 0, v30
	s_and_b64 s[36:37], vcc, s[34:35]
	v_add_u32_e32 v31, v16, v4
	; wave barrier
	s_and_saveexec_b64 s[34:35], s[36:37]
	s_cbranch_execz .LBB212_12
; %bb.11:                               ;   in Loop: Header=BB212_4 Depth=2
	v_bcnt_u32_b32 v2, v2, 0
	v_bcnt_u32_b32 v2, v3, v2
	s_waitcnt lgkmcnt(0)
	v_add_u32_e32 v2, v29, v2
	ds_write_b32 v31, v2 offset:12
.LBB212_12:                             ;   in Loop: Header=BB212_4 Depth=2
	s_or_b64 exec, exec, s[34:35]
	; wave barrier
	s_waitcnt lgkmcnt(0)
	s_barrier
	ds_read2_b32 v[4:5], v7 offset0:3 offset1:4
	ds_read2_b32 v[2:3], v7 offset0:5 offset1:6
	s_waitcnt lgkmcnt(1)
	v_add_u32_e32 v32, v5, v4
	s_waitcnt lgkmcnt(0)
	v_add3_u32 v3, v32, v2, v3
	s_nop 1
	v_mov_b32_dpp v32, v3 row_shr:1 row_mask:0xf bank_mask:0xf
	v_cndmask_b32_e64 v32, v32, 0, s[8:9]
	v_add_u32_e32 v3, v32, v3
	s_nop 1
	v_mov_b32_dpp v32, v3 row_shr:2 row_mask:0xf bank_mask:0xf
	v_cndmask_b32_e64 v32, 0, v32, s[10:11]
	v_add_u32_e32 v3, v3, v32
	;; [unrolled: 4-line block ×4, first 2 shown]
	s_nop 1
	v_mov_b32_dpp v32, v3 row_bcast:15 row_mask:0xf bank_mask:0xf
	v_cndmask_b32_e64 v32, v32, 0, s[16:17]
	v_add_u32_e32 v3, v3, v32
	s_nop 1
	v_mov_b32_dpp v32, v3 row_bcast:31 row_mask:0xf bank_mask:0xf
	v_cndmask_b32_e64 v32, 0, v32, s[18:19]
	v_add_u32_e32 v3, v3, v32
	s_and_saveexec_b64 s[34:35], s[20:21]
; %bb.13:                               ;   in Loop: Header=BB212_4 Depth=2
	ds_write_b32 v13, v3
; %bb.14:                               ;   in Loop: Header=BB212_4 Depth=2
	s_or_b64 exec, exec, s[34:35]
	s_waitcnt lgkmcnt(0)
	s_barrier
	s_and_saveexec_b64 s[34:35], s[22:23]
	s_cbranch_execz .LBB212_16
; %bb.15:                               ;   in Loop: Header=BB212_4 Depth=2
	v_add_u32_e32 v32, v7, v14
	ds_read_b32 v33, v32
	s_waitcnt lgkmcnt(0)
	s_nop 0
	v_mov_b32_dpp v34, v33 row_shr:1 row_mask:0xf bank_mask:0xf
	v_cndmask_b32_e64 v34, v34, 0, s[6:7]
	v_add_u32_e32 v33, v34, v33
	s_nop 1
	v_mov_b32_dpp v34, v33 row_shr:2 row_mask:0xf bank_mask:0xf
	v_cndmask_b32_e64 v34, 0, v34, s[30:31]
	v_add_u32_e32 v33, v33, v34
	ds_write_b32 v32, v33
.LBB212_16:                             ;   in Loop: Header=BB212_4 Depth=2
	s_or_b64 exec, exec, s[34:35]
	v_mov_b32_e32 v32, 0
	s_waitcnt lgkmcnt(0)
	s_barrier
	s_and_saveexec_b64 s[34:35], s[24:25]
; %bb.17:                               ;   in Loop: Header=BB212_4 Depth=2
	v_add_u32_e32 v32, -4, v13
	ds_read_b32 v32, v32
; %bb.18:                               ;   in Loop: Header=BB212_4 Depth=2
	s_or_b64 exec, exec, s[34:35]
	s_waitcnt lgkmcnt(0)
	v_add_u32_e32 v3, v32, v3
	ds_bpermute_b32 v3, v12, v3
	v_cmp_lt_u32_e32 vcc, 23, v18
	s_and_b64 vcc, exec, vcc
	s_mov_b64 s[34:35], -1
	s_waitcnt lgkmcnt(0)
	v_cndmask_b32_e64 v3, v3, v32, s[26:27]
	v_cndmask_b32_e64 v3, v3, 0, s[28:29]
	v_add_u32_e32 v4, v3, v4
	v_add_u32_e32 v5, v4, v5
	;; [unrolled: 1-line block ×3, first 2 shown]
	ds_write2_b32 v7, v3, v4 offset0:3 offset1:4
	ds_write2_b32 v7, v5, v2 offset0:5 offset1:6
	s_waitcnt lgkmcnt(0)
	s_barrier
	ds_read_b32 v2, v22 offset:12
	ds_read_b32 v3, v25 offset:12
	;; [unrolled: 1-line block ×4, first 2 shown]
	s_waitcnt lgkmcnt(3)
	v_add_u32_e32 v25, v2, v21
	s_waitcnt lgkmcnt(2)
	v_add3_u32 v23, v24, v23, v3
	s_waitcnt lgkmcnt(1)
	v_add3_u32 v22, v27, v26, v4
	;; [unrolled: 2-line block ×3, first 2 shown]
                                        ; implicit-def: $vgpr5
                                        ; implicit-def: $vgpr3
	s_cbranch_vccnz .LBB212_3
; %bb.19:                               ;   in Loop: Header=BB212_4 Depth=2
	v_lshlrev_b32_e32 v2, 2, v25
	s_barrier
	ds_write_b32 v2, v20
	v_lshlrev_b32_e32 v2, 2, v23
	ds_write_b32 v2, v19
	v_lshlrev_b32_e32 v2, 2, v22
	;; [unrolled: 2-line block ×3, first 2 shown]
	ds_write_b32 v2, v6
	s_waitcnt lgkmcnt(0)
	s_barrier
	ds_read2st64_b32 v[2:3], v15 offset1:1
	ds_read2st64_b32 v[4:5], v15 offset0:2 offset1:3
	v_add_u32_e32 v18, 8, v18
	s_mov_b64 s[34:35], 0
	s_waitcnt lgkmcnt(0)
	s_barrier
	s_branch .LBB212_3
.LBB212_20:
	s_add_u32 s0, s38, s42
	s_addc_u32 s1, s39, s43
	v_lshlrev_b32_e32 v0, 2, v0
	global_store_dword v0, v3, s[0:1]
	global_store_dword v0, v4, s[0:1] offset:768
	global_store_dword v0, v5, s[0:1] offset:1536
	;; [unrolled: 1-line block ×3, first 2 shown]
	s_endpgm
	.section	.rodata,"a",@progbits
	.p2align	6, 0x0
	.amdhsa_kernel _Z16sort_keys_kernelI22helper_blocked_stripediLj192ELj4ELj10EEvPKT0_PS1_
		.amdhsa_group_segment_fixed_size 3088
		.amdhsa_private_segment_fixed_size 0
		.amdhsa_kernarg_size 272
		.amdhsa_user_sgpr_count 6
		.amdhsa_user_sgpr_private_segment_buffer 1
		.amdhsa_user_sgpr_dispatch_ptr 0
		.amdhsa_user_sgpr_queue_ptr 0
		.amdhsa_user_sgpr_kernarg_segment_ptr 1
		.amdhsa_user_sgpr_dispatch_id 0
		.amdhsa_user_sgpr_flat_scratch_init 0
		.amdhsa_user_sgpr_private_segment_size 0
		.amdhsa_uses_dynamic_stack 0
		.amdhsa_system_sgpr_private_segment_wavefront_offset 0
		.amdhsa_system_sgpr_workgroup_id_x 1
		.amdhsa_system_sgpr_workgroup_id_y 0
		.amdhsa_system_sgpr_workgroup_id_z 0
		.amdhsa_system_sgpr_workgroup_info 0
		.amdhsa_system_vgpr_workitem_id 2
		.amdhsa_next_free_vgpr 35
		.amdhsa_next_free_sgpr 44
		.amdhsa_reserve_vcc 1
		.amdhsa_reserve_flat_scratch 0
		.amdhsa_float_round_mode_32 0
		.amdhsa_float_round_mode_16_64 0
		.amdhsa_float_denorm_mode_32 3
		.amdhsa_float_denorm_mode_16_64 3
		.amdhsa_dx10_clamp 1
		.amdhsa_ieee_mode 1
		.amdhsa_fp16_overflow 0
		.amdhsa_exception_fp_ieee_invalid_op 0
		.amdhsa_exception_fp_denorm_src 0
		.amdhsa_exception_fp_ieee_div_zero 0
		.amdhsa_exception_fp_ieee_overflow 0
		.amdhsa_exception_fp_ieee_underflow 0
		.amdhsa_exception_fp_ieee_inexact 0
		.amdhsa_exception_int_div_zero 0
	.end_amdhsa_kernel
	.section	.text._Z16sort_keys_kernelI22helper_blocked_stripediLj192ELj4ELj10EEvPKT0_PS1_,"axG",@progbits,_Z16sort_keys_kernelI22helper_blocked_stripediLj192ELj4ELj10EEvPKT0_PS1_,comdat
.Lfunc_end212:
	.size	_Z16sort_keys_kernelI22helper_blocked_stripediLj192ELj4ELj10EEvPKT0_PS1_, .Lfunc_end212-_Z16sort_keys_kernelI22helper_blocked_stripediLj192ELj4ELj10EEvPKT0_PS1_
                                        ; -- End function
	.set _Z16sort_keys_kernelI22helper_blocked_stripediLj192ELj4ELj10EEvPKT0_PS1_.num_vgpr, 35
	.set _Z16sort_keys_kernelI22helper_blocked_stripediLj192ELj4ELj10EEvPKT0_PS1_.num_agpr, 0
	.set _Z16sort_keys_kernelI22helper_blocked_stripediLj192ELj4ELj10EEvPKT0_PS1_.numbered_sgpr, 44
	.set _Z16sort_keys_kernelI22helper_blocked_stripediLj192ELj4ELj10EEvPKT0_PS1_.num_named_barrier, 0
	.set _Z16sort_keys_kernelI22helper_blocked_stripediLj192ELj4ELj10EEvPKT0_PS1_.private_seg_size, 0
	.set _Z16sort_keys_kernelI22helper_blocked_stripediLj192ELj4ELj10EEvPKT0_PS1_.uses_vcc, 1
	.set _Z16sort_keys_kernelI22helper_blocked_stripediLj192ELj4ELj10EEvPKT0_PS1_.uses_flat_scratch, 0
	.set _Z16sort_keys_kernelI22helper_blocked_stripediLj192ELj4ELj10EEvPKT0_PS1_.has_dyn_sized_stack, 0
	.set _Z16sort_keys_kernelI22helper_blocked_stripediLj192ELj4ELj10EEvPKT0_PS1_.has_recursion, 0
	.set _Z16sort_keys_kernelI22helper_blocked_stripediLj192ELj4ELj10EEvPKT0_PS1_.has_indirect_call, 0
	.section	.AMDGPU.csdata,"",@progbits
; Kernel info:
; codeLenInByte = 3008
; TotalNumSgprs: 48
; NumVgprs: 35
; ScratchSize: 0
; MemoryBound: 0
; FloatMode: 240
; IeeeMode: 1
; LDSByteSize: 3088 bytes/workgroup (compile time only)
; SGPRBlocks: 5
; VGPRBlocks: 8
; NumSGPRsForWavesPerEU: 48
; NumVGPRsForWavesPerEU: 35
; Occupancy: 7
; WaveLimiterHint : 1
; COMPUTE_PGM_RSRC2:SCRATCH_EN: 0
; COMPUTE_PGM_RSRC2:USER_SGPR: 6
; COMPUTE_PGM_RSRC2:TRAP_HANDLER: 0
; COMPUTE_PGM_RSRC2:TGID_X_EN: 1
; COMPUTE_PGM_RSRC2:TGID_Y_EN: 0
; COMPUTE_PGM_RSRC2:TGID_Z_EN: 0
; COMPUTE_PGM_RSRC2:TIDIG_COMP_CNT: 2
	.section	.text._Z17sort_pairs_kernelI22helper_blocked_stripediLj192ELj4ELj10EEvPKT0_PS1_,"axG",@progbits,_Z17sort_pairs_kernelI22helper_blocked_stripediLj192ELj4ELj10EEvPKT0_PS1_,comdat
	.protected	_Z17sort_pairs_kernelI22helper_blocked_stripediLj192ELj4ELj10EEvPKT0_PS1_ ; -- Begin function _Z17sort_pairs_kernelI22helper_blocked_stripediLj192ELj4ELj10EEvPKT0_PS1_
	.globl	_Z17sort_pairs_kernelI22helper_blocked_stripediLj192ELj4ELj10EEvPKT0_PS1_
	.p2align	8
	.type	_Z17sort_pairs_kernelI22helper_blocked_stripediLj192ELj4ELj10EEvPKT0_PS1_,@function
_Z17sort_pairs_kernelI22helper_blocked_stripediLj192ELj4ELj10EEvPKT0_PS1_: ; @_Z17sort_pairs_kernelI22helper_blocked_stripediLj192ELj4ELj10EEvPKT0_PS1_
; %bb.0:
	s_load_dwordx4 s[36:39], s[4:5], 0x0
	s_load_dword s33, s[4:5], 0x1c
	s_mul_i32 s42, s6, 0x300
	s_mov_b32 s43, 0
	s_lshl_b64 s[40:41], s[42:43], 2
	s_waitcnt lgkmcnt(0)
	s_add_u32 s0, s36, s40
	s_addc_u32 s1, s37, s41
	v_lshlrev_b32_e32 v13, 4, v0
	global_load_dwordx4 v[3:6], v13, s[0:1]
	s_lshr_b32 s34, s33, 16
	s_and_b32 s33, s33, 0xffff
	v_mad_u32_u24 v1, v2, s34, v1
	v_mbcnt_lo_u32_b32 v7, -1, 0
	v_mad_u64_u32 v[1:2], s[34:35], v1, s33, v[0:1]
	v_mbcnt_hi_u32_b32 v7, -1, v7
	v_and_b32_e32 v8, 0xc0, v0
	v_lshrrev_b32_e32 v9, 4, v0
	v_lshrrev_b32_e32 v10, 2, v7
	v_and_b32_e32 v12, 64, v7
	v_and_b32_e32 v17, 16, v7
	v_subrev_co_u32_e64 v18, s[8:9], 1, v7
	v_and_b32_e32 v16, 15, v7
	v_min_u32_e32 v8, 0x80, v8
	v_and_b32_e32 v15, 12, v9
	v_and_b32_e32 v9, 0xc00, v13
	v_cmp_eq_u32_e64 s[26:27], 0, v17
	v_or_b32_e32 v17, v10, v12
	v_add_u32_e32 v10, 48, v10
	v_cmp_lt_i32_e32 vcc, v18, v12
	v_and_b32_e32 v11, 3, v7
	v_cmp_lt_u32_e64 s[6:7], 31, v7
	v_cmp_eq_u32_e64 s[10:11], 0, v16
	v_cmp_lt_u32_e64 s[12:13], 1, v16
	v_cmp_lt_u32_e64 s[14:15], 3, v16
	;; [unrolled: 1-line block ×3, first 2 shown]
	v_or_b32_e32 v8, 63, v8
	v_cndmask_b32_e32 v18, v18, v7, vcc
	v_lshl_or_b32 v16, v7, 2, v9
	v_lshlrev_b32_e32 v17, 2, v17
	v_and_or_b32 v7, v10, 63, v12
	v_lshrrev_b32_e32 v1, 4, v1
	v_cmp_gt_u32_e64 s[0:1], 3, v0
	v_cmp_lt_u32_e64 s[2:3], 63, v0
	v_cmp_eq_u32_e64 s[4:5], 0, v0
	v_mul_i32_i24_e32 v14, -12, v0
	v_cmp_eq_u32_e64 s[18:19], 3, v11
	v_cmp_eq_u32_e64 s[20:21], 2, v11
	v_cmp_eq_u32_e64 s[22:23], 1, v11
	v_cmp_eq_u32_e64 s[24:25], 0, v11
	v_cmp_lt_u32_e64 s[28:29], 1, v11
	v_cmp_eq_u32_e64 s[30:31], v0, v8
	v_lshlrev_b32_e32 v18, 2, v18
	v_lshlrev_b32_e32 v19, 2, v7
	v_add_u32_e32 v20, 64, v17
	v_or_b32_e32 v21, 0x80, v17
	v_and_b32_e32 v22, 0xffffffc, v1
	v_mov_b32_e32 v1, 0
	s_waitcnt vmcnt(0)
	v_add_u32_e32 v9, 1, v3
	v_add_u32_e32 v10, 1, v4
	;; [unrolled: 1-line block ×4, first 2 shown]
	s_branch .LBB213_2
.LBB213_1:                              ;   in Loop: Header=BB213_2 Depth=1
	v_lshlrev_b32_e32 v2, 2, v35
	v_lshlrev_b32_e32 v7, 2, v32
	;; [unrolled: 1-line block ×4, first 2 shown]
	s_barrier
	ds_write_b32 v2, v28
	ds_write_b32 v7, v27
	ds_write_b32 v11, v26
	ds_write_b32 v12, v24
	v_add_u32_e32 v24, v13, v14
	s_waitcnt lgkmcnt(0)
	s_barrier
	ds_read2st64_b32 v[3:4], v24 offset1:3
	ds_read2st64_b32 v[5:6], v24 offset0:6 offset1:9
	s_waitcnt lgkmcnt(0)
	s_barrier
	ds_write_b32 v2, v23
	ds_write_b32 v7, v10
	;; [unrolled: 1-line block ×4, first 2 shown]
	s_waitcnt lgkmcnt(0)
	s_barrier
	ds_read2st64_b32 v[9:10], v24 offset1:3
	ds_read2st64_b32 v[7:8], v24 offset0:6 offset1:9
	s_add_i32 s43, s43, 1
	v_xor_b32_e32 v3, 0x80000000, v3
	v_xor_b32_e32 v4, 0x80000000, v4
	;; [unrolled: 1-line block ×3, first 2 shown]
	s_cmp_eq_u32 s43, 10
	v_xor_b32_e32 v6, 0x80000000, v6
	s_cbranch_scc1 .LBB213_20
.LBB213_2:                              ; =>This Loop Header: Depth=1
                                        ;     Child Loop BB213_4 Depth 2
	v_xor_b32_e32 v11, 0x80000000, v3
	v_xor_b32_e32 v4, 0x80000000, v4
	ds_bpermute_b32 v2, v17, v11
	v_xor_b32_e32 v5, 0x80000000, v5
	ds_bpermute_b32 v3, v17, v4
	ds_bpermute_b32 v12, v17, v5
	;; [unrolled: 1-line block ×3, first 2 shown]
	s_waitcnt lgkmcnt(3)
	v_cndmask_b32_e64 v2, 0, v2, s[24:25]
	v_xor_b32_e32 v6, 0x80000000, v6
	ds_bpermute_b32 v24, v20, v4
	s_waitcnt lgkmcnt(3)
	v_cndmask_b32_e64 v2, v2, v3, s[22:23]
	s_waitcnt lgkmcnt(2)
	v_cndmask_b32_e64 v2, v2, v12, s[20:21]
	ds_bpermute_b32 v3, v17, v6
	s_waitcnt lgkmcnt(2)
	v_cndmask_b32_e64 v12, 0, v23, s[24:25]
	ds_bpermute_b32 v23, v20, v5
	ds_bpermute_b32 v26, v21, v11
	s_waitcnt lgkmcnt(3)
	v_cndmask_b32_e64 v12, v12, v24, s[22:23]
	ds_bpermute_b32 v25, v20, v6
	s_waitcnt lgkmcnt(3)
	v_cndmask_b32_e64 v2, v2, v3, s[18:19]
	s_waitcnt lgkmcnt(2)
	v_cndmask_b32_e64 v3, v12, v23, s[20:21]
	ds_bpermute_b32 v23, v21, v4
	ds_bpermute_b32 v11, v19, v11
	s_waitcnt lgkmcnt(3)
	v_cndmask_b32_e64 v12, 0, v26, s[24:25]
	ds_bpermute_b32 v26, v19, v4
	ds_bpermute_b32 v24, v21, v5
	;; [unrolled: 1-line block ×3, first 2 shown]
	s_waitcnt lgkmcnt(5)
	v_cndmask_b32_e64 v3, v3, v25, s[18:19]
	ds_bpermute_b32 v25, v21, v6
	s_waitcnt lgkmcnt(5)
	v_cndmask_b32_e64 v4, v12, v23, s[22:23]
	ds_bpermute_b32 v6, v19, v6
	ds_bpermute_b32 v12, v17, v9
	;; [unrolled: 1-line block ×3, first 2 shown]
	s_waitcnt lgkmcnt(7)
	v_cndmask_b32_e64 v11, 0, v11, s[24:25]
	s_waitcnt lgkmcnt(6)
	v_cndmask_b32_e64 v11, v11, v26, s[22:23]
	s_waitcnt lgkmcnt(5)
	v_cndmask_b32_e64 v4, v4, v24, s[20:21]
	ds_bpermute_b32 v24, v17, v7
	s_waitcnt lgkmcnt(5)
	v_cndmask_b32_e64 v5, v11, v5, s[20:21]
	s_waitcnt lgkmcnt(3)
	v_cndmask_b32_e64 v5, v5, v6, s[18:19]
	;; [unrolled: 2-line block ×3, first 2 shown]
	ds_bpermute_b32 v11, v17, v8
	ds_bpermute_b32 v12, v20, v9
	s_waitcnt lgkmcnt(3)
	v_cndmask_b32_e64 v6, v6, v23, s[22:23]
	ds_bpermute_b32 v23, v20, v10
	s_waitcnt lgkmcnt(3)
	v_cndmask_b32_e64 v6, v6, v24, s[20:21]
	;; [unrolled: 3-line block ×3, first 2 shown]
	s_waitcnt lgkmcnt(2)
	v_cndmask_b32_e64 v6, 0, v12, s[24:25]
	v_cndmask_b32_e64 v4, v4, v25, s[18:19]
	ds_bpermute_b32 v25, v20, v8
	s_waitcnt lgkmcnt(2)
	v_cndmask_b32_e64 v6, v6, v23, s[22:23]
	ds_bpermute_b32 v23, v21, v9
	ds_bpermute_b32 v9, v19, v9
	ds_bpermute_b32 v26, v21, v10
	ds_bpermute_b32 v10, v19, v10
	ds_bpermute_b32 v27, v21, v7
	s_waitcnt lgkmcnt(6)
	v_cndmask_b32_e64 v6, v6, v24, s[20:21]
	ds_bpermute_b32 v7, v19, v7
	s_waitcnt lgkmcnt(6)
	v_cndmask_b32_e64 v12, v6, v25, s[18:19]
	s_waitcnt lgkmcnt(5)
	v_cndmask_b32_e64 v6, 0, v23, s[24:25]
	ds_bpermute_b32 v23, v21, v8
	ds_bpermute_b32 v8, v19, v8
	s_waitcnt lgkmcnt(6)
	v_cndmask_b32_e64 v9, 0, v9, s[24:25]
	s_waitcnt lgkmcnt(5)
	v_cndmask_b32_e64 v6, v6, v26, s[22:23]
	;; [unrolled: 2-line block ×7, first 2 shown]
	v_mov_b32_e32 v25, v1
	s_barrier
	s_branch .LBB213_4
.LBB213_3:                              ;   in Loop: Header=BB213_4 Depth=2
	s_andn2_b64 vcc, exec, s[34:35]
	s_cbranch_vccz .LBB213_1
.LBB213_4:                              ;   Parent Loop BB213_2 Depth=1
                                        ; =>  This Inner Loop Header: Depth=2
	v_mov_b32_e32 v28, v2
	v_mov_b32_e32 v27, v3
	v_lshrrev_b32_e32 v3, v25, v28
	v_mov_b32_e32 v2, 12
	v_mov_b32_e32 v26, v4
	v_mul_u32_u24_sdwa v4, v3, v2 dst_sel:DWORD dst_unused:UNUSED_PAD src0_sel:BYTE_0 src1_sel:DWORD
	v_and_b32_e32 v2, 1, v3
	v_mov_b32_e32 v24, v5
	v_add_co_u32_e32 v5, vcc, -1, v2
	v_mov_b32_e32 v9, v6
	v_addc_co_u32_e64 v6, s[34:35], 0, -1, vcc
	v_cmp_ne_u32_e32 vcc, 0, v2
	v_xor_b32_e32 v2, vcc_hi, v6
	v_and_b32_e32 v6, exec_hi, v2
	v_lshlrev_b32_e32 v2, 30, v3
	v_xor_b32_e32 v5, vcc_lo, v5
	v_cmp_gt_i64_e32 vcc, 0, v[1:2]
	v_not_b32_e32 v2, v2
	v_ashrrev_i32_e32 v2, 31, v2
	v_mov_b32_e32 v8, v7
	v_and_b32_e32 v5, exec_lo, v5
	v_xor_b32_e32 v7, vcc_hi, v2
	v_xor_b32_e32 v2, vcc_lo, v2
	v_and_b32_e32 v5, v5, v2
	v_lshlrev_b32_e32 v2, 29, v3
	v_cmp_gt_i64_e32 vcc, 0, v[1:2]
	v_not_b32_e32 v2, v2
	v_ashrrev_i32_e32 v2, 31, v2
	v_and_b32_e32 v6, v6, v7
	v_xor_b32_e32 v7, vcc_hi, v2
	v_xor_b32_e32 v2, vcc_lo, v2
	v_and_b32_e32 v5, v5, v2
	v_lshlrev_b32_e32 v2, 28, v3
	v_cmp_gt_i64_e32 vcc, 0, v[1:2]
	v_not_b32_e32 v2, v2
	v_ashrrev_i32_e32 v2, 31, v2
	v_and_b32_e32 v6, v6, v7
	;; [unrolled: 8-line block ×5, first 2 shown]
	v_xor_b32_e32 v7, vcc_hi, v2
	v_xor_b32_e32 v2, vcc_lo, v2
	v_and_b32_e32 v5, v5, v2
	v_lshlrev_b32_e32 v2, 24, v3
	v_cmp_gt_i64_e32 vcc, 0, v[1:2]
	v_not_b32_e32 v2, v2
	v_ashrrev_i32_e32 v2, 31, v2
	v_xor_b32_e32 v3, vcc_hi, v2
	v_xor_b32_e32 v2, vcc_lo, v2
	v_and_b32_e32 v6, v6, v7
	v_and_b32_e32 v2, v5, v2
	;; [unrolled: 1-line block ×3, first 2 shown]
	v_mbcnt_lo_u32_b32 v5, v2, 0
	v_mbcnt_hi_u32_b32 v6, v3, v5
	v_cmp_ne_u64_e32 vcc, 0, v[2:3]
	v_cmp_eq_u32_e64 s[34:35], 0, v6
	v_mov_b32_e32 v10, v12
	v_mov_b32_e32 v23, v11
	s_and_b64 s[36:37], vcc, s[34:35]
	v_add_u32_e32 v7, v22, v4
	ds_write2_b32 v13, v1, v1 offset0:3 offset1:4
	ds_write2_b32 v13, v1, v1 offset0:5 offset1:6
	s_waitcnt lgkmcnt(0)
	s_barrier
	; wave barrier
	s_and_saveexec_b64 s[34:35], s[36:37]
; %bb.5:                                ;   in Loop: Header=BB213_4 Depth=2
	v_bcnt_u32_b32 v2, v2, 0
	v_bcnt_u32_b32 v2, v3, v2
	ds_write_b32 v7, v2 offset:12
; %bb.6:                                ;   in Loop: Header=BB213_4 Depth=2
	s_or_b64 exec, exec, s[34:35]
	v_lshrrev_b32_e32 v3, v25, v27
	v_and_b32_e32 v2, 0xff, v3
	v_mul_u32_u24_e32 v4, 12, v2
	v_mad_u32_u24 v2, v2, 12, v22
	; wave barrier
	ds_read_b32 v11, v2 offset:12
	v_and_b32_e32 v2, 1, v3
	v_add_co_u32_e32 v5, vcc, -1, v2
	v_addc_co_u32_e64 v12, s[34:35], 0, -1, vcc
	v_cmp_ne_u32_e32 vcc, 0, v2
	v_xor_b32_e32 v2, vcc_hi, v12
	v_and_b32_e32 v12, exec_hi, v2
	v_lshlrev_b32_e32 v2, 30, v3
	v_xor_b32_e32 v5, vcc_lo, v5
	v_cmp_gt_i64_e32 vcc, 0, v[1:2]
	v_not_b32_e32 v2, v2
	v_ashrrev_i32_e32 v2, 31, v2
	v_and_b32_e32 v5, exec_lo, v5
	v_xor_b32_e32 v29, vcc_hi, v2
	v_xor_b32_e32 v2, vcc_lo, v2
	v_and_b32_e32 v5, v5, v2
	v_lshlrev_b32_e32 v2, 29, v3
	v_cmp_gt_i64_e32 vcc, 0, v[1:2]
	v_not_b32_e32 v2, v2
	v_ashrrev_i32_e32 v2, 31, v2
	v_and_b32_e32 v12, v12, v29
	v_xor_b32_e32 v29, vcc_hi, v2
	v_xor_b32_e32 v2, vcc_lo, v2
	v_and_b32_e32 v5, v5, v2
	v_lshlrev_b32_e32 v2, 28, v3
	v_cmp_gt_i64_e32 vcc, 0, v[1:2]
	v_not_b32_e32 v2, v2
	v_ashrrev_i32_e32 v2, 31, v2
	v_and_b32_e32 v12, v12, v29
	;; [unrolled: 8-line block ×5, first 2 shown]
	v_xor_b32_e32 v29, vcc_hi, v2
	v_xor_b32_e32 v2, vcc_lo, v2
	v_and_b32_e32 v5, v5, v2
	v_lshlrev_b32_e32 v2, 24, v3
	v_cmp_gt_i64_e32 vcc, 0, v[1:2]
	v_not_b32_e32 v2, v2
	v_ashrrev_i32_e32 v2, 31, v2
	v_xor_b32_e32 v3, vcc_hi, v2
	v_xor_b32_e32 v2, vcc_lo, v2
	v_and_b32_e32 v12, v12, v29
	v_and_b32_e32 v2, v5, v2
	;; [unrolled: 1-line block ×3, first 2 shown]
	v_mbcnt_lo_u32_b32 v5, v2, 0
	v_mbcnt_hi_u32_b32 v12, v3, v5
	v_cmp_ne_u64_e32 vcc, 0, v[2:3]
	v_cmp_eq_u32_e64 s[34:35], 0, v12
	s_and_b64 s[36:37], vcc, s[34:35]
	v_add_u32_e32 v29, v22, v4
	; wave barrier
	s_and_saveexec_b64 s[34:35], s[36:37]
	s_cbranch_execz .LBB213_8
; %bb.7:                                ;   in Loop: Header=BB213_4 Depth=2
	v_bcnt_u32_b32 v2, v2, 0
	v_bcnt_u32_b32 v2, v3, v2
	s_waitcnt lgkmcnt(0)
	v_add_u32_e32 v2, v11, v2
	ds_write_b32 v29, v2 offset:12
.LBB213_8:                              ;   in Loop: Header=BB213_4 Depth=2
	s_or_b64 exec, exec, s[34:35]
	v_lshrrev_b32_e32 v3, v25, v26
	v_and_b32_e32 v2, 0xff, v3
	v_mul_u32_u24_e32 v4, 12, v2
	v_mad_u32_u24 v2, v2, 12, v22
	; wave barrier
	ds_read_b32 v30, v2 offset:12
	v_and_b32_e32 v2, 1, v3
	v_add_co_u32_e32 v5, vcc, -1, v2
	v_addc_co_u32_e64 v31, s[34:35], 0, -1, vcc
	v_cmp_ne_u32_e32 vcc, 0, v2
	v_xor_b32_e32 v2, vcc_hi, v31
	v_and_b32_e32 v31, exec_hi, v2
	v_lshlrev_b32_e32 v2, 30, v3
	v_xor_b32_e32 v5, vcc_lo, v5
	v_cmp_gt_i64_e32 vcc, 0, v[1:2]
	v_not_b32_e32 v2, v2
	v_ashrrev_i32_e32 v2, 31, v2
	v_and_b32_e32 v5, exec_lo, v5
	v_xor_b32_e32 v32, vcc_hi, v2
	v_xor_b32_e32 v2, vcc_lo, v2
	v_and_b32_e32 v5, v5, v2
	v_lshlrev_b32_e32 v2, 29, v3
	v_cmp_gt_i64_e32 vcc, 0, v[1:2]
	v_not_b32_e32 v2, v2
	v_ashrrev_i32_e32 v2, 31, v2
	v_and_b32_e32 v31, v31, v32
	v_xor_b32_e32 v32, vcc_hi, v2
	v_xor_b32_e32 v2, vcc_lo, v2
	v_and_b32_e32 v5, v5, v2
	v_lshlrev_b32_e32 v2, 28, v3
	v_cmp_gt_i64_e32 vcc, 0, v[1:2]
	v_not_b32_e32 v2, v2
	v_ashrrev_i32_e32 v2, 31, v2
	v_and_b32_e32 v31, v31, v32
	;; [unrolled: 8-line block ×5, first 2 shown]
	v_xor_b32_e32 v32, vcc_hi, v2
	v_xor_b32_e32 v2, vcc_lo, v2
	v_and_b32_e32 v5, v5, v2
	v_lshlrev_b32_e32 v2, 24, v3
	v_cmp_gt_i64_e32 vcc, 0, v[1:2]
	v_not_b32_e32 v2, v2
	v_ashrrev_i32_e32 v2, 31, v2
	v_xor_b32_e32 v3, vcc_hi, v2
	v_xor_b32_e32 v2, vcc_lo, v2
	v_and_b32_e32 v31, v31, v32
	v_and_b32_e32 v2, v5, v2
	;; [unrolled: 1-line block ×3, first 2 shown]
	v_mbcnt_lo_u32_b32 v5, v2, 0
	v_mbcnt_hi_u32_b32 v31, v3, v5
	v_cmp_ne_u64_e32 vcc, 0, v[2:3]
	v_cmp_eq_u32_e64 s[34:35], 0, v31
	s_and_b64 s[36:37], vcc, s[34:35]
	v_add_u32_e32 v32, v22, v4
	; wave barrier
	s_and_saveexec_b64 s[34:35], s[36:37]
	s_cbranch_execz .LBB213_10
; %bb.9:                                ;   in Loop: Header=BB213_4 Depth=2
	v_bcnt_u32_b32 v2, v2, 0
	v_bcnt_u32_b32 v2, v3, v2
	s_waitcnt lgkmcnt(0)
	v_add_u32_e32 v2, v30, v2
	ds_write_b32 v32, v2 offset:12
.LBB213_10:                             ;   in Loop: Header=BB213_4 Depth=2
	s_or_b64 exec, exec, s[34:35]
	v_lshrrev_b32_e32 v3, v25, v24
	v_and_b32_e32 v2, 0xff, v3
	v_mul_u32_u24_e32 v4, 12, v2
	v_mad_u32_u24 v2, v2, 12, v22
	; wave barrier
	ds_read_b32 v33, v2 offset:12
	v_and_b32_e32 v2, 1, v3
	v_add_co_u32_e32 v5, vcc, -1, v2
	v_addc_co_u32_e64 v34, s[34:35], 0, -1, vcc
	v_cmp_ne_u32_e32 vcc, 0, v2
	v_xor_b32_e32 v2, vcc_hi, v34
	v_and_b32_e32 v34, exec_hi, v2
	v_lshlrev_b32_e32 v2, 30, v3
	v_xor_b32_e32 v5, vcc_lo, v5
	v_cmp_gt_i64_e32 vcc, 0, v[1:2]
	v_not_b32_e32 v2, v2
	v_ashrrev_i32_e32 v2, 31, v2
	v_and_b32_e32 v5, exec_lo, v5
	v_xor_b32_e32 v35, vcc_hi, v2
	v_xor_b32_e32 v2, vcc_lo, v2
	v_and_b32_e32 v5, v5, v2
	v_lshlrev_b32_e32 v2, 29, v3
	v_cmp_gt_i64_e32 vcc, 0, v[1:2]
	v_not_b32_e32 v2, v2
	v_ashrrev_i32_e32 v2, 31, v2
	v_and_b32_e32 v34, v34, v35
	v_xor_b32_e32 v35, vcc_hi, v2
	v_xor_b32_e32 v2, vcc_lo, v2
	v_and_b32_e32 v5, v5, v2
	v_lshlrev_b32_e32 v2, 28, v3
	v_cmp_gt_i64_e32 vcc, 0, v[1:2]
	v_not_b32_e32 v2, v2
	v_ashrrev_i32_e32 v2, 31, v2
	v_and_b32_e32 v34, v34, v35
	v_xor_b32_e32 v35, vcc_hi, v2
	v_xor_b32_e32 v2, vcc_lo, v2
	v_and_b32_e32 v5, v5, v2
	v_lshlrev_b32_e32 v2, 27, v3
	v_cmp_gt_i64_e32 vcc, 0, v[1:2]
	v_not_b32_e32 v2, v2
	v_ashrrev_i32_e32 v2, 31, v2
	v_and_b32_e32 v34, v34, v35
	v_xor_b32_e32 v35, vcc_hi, v2
	v_xor_b32_e32 v2, vcc_lo, v2
	v_and_b32_e32 v5, v5, v2
	v_lshlrev_b32_e32 v2, 26, v3
	v_cmp_gt_i64_e32 vcc, 0, v[1:2]
	v_not_b32_e32 v2, v2
	v_ashrrev_i32_e32 v2, 31, v2
	v_and_b32_e32 v34, v34, v35
	v_xor_b32_e32 v35, vcc_hi, v2
	v_xor_b32_e32 v2, vcc_lo, v2
	v_and_b32_e32 v5, v5, v2
	v_lshlrev_b32_e32 v2, 25, v3
	v_cmp_gt_i64_e32 vcc, 0, v[1:2]
	v_not_b32_e32 v2, v2
	v_ashrrev_i32_e32 v2, 31, v2
	v_and_b32_e32 v34, v34, v35
	v_xor_b32_e32 v35, vcc_hi, v2
	v_xor_b32_e32 v2, vcc_lo, v2
	v_and_b32_e32 v5, v5, v2
	v_lshlrev_b32_e32 v2, 24, v3
	v_cmp_gt_i64_e32 vcc, 0, v[1:2]
	v_not_b32_e32 v2, v2
	v_ashrrev_i32_e32 v2, 31, v2
	v_xor_b32_e32 v3, vcc_hi, v2
	v_xor_b32_e32 v2, vcc_lo, v2
	v_and_b32_e32 v34, v34, v35
	v_and_b32_e32 v2, v5, v2
	;; [unrolled: 1-line block ×3, first 2 shown]
	v_mbcnt_lo_u32_b32 v5, v2, 0
	v_mbcnt_hi_u32_b32 v34, v3, v5
	v_cmp_ne_u64_e32 vcc, 0, v[2:3]
	v_cmp_eq_u32_e64 s[34:35], 0, v34
	s_and_b64 s[36:37], vcc, s[34:35]
	v_add_u32_e32 v35, v22, v4
	; wave barrier
	s_and_saveexec_b64 s[34:35], s[36:37]
	s_cbranch_execz .LBB213_12
; %bb.11:                               ;   in Loop: Header=BB213_4 Depth=2
	v_bcnt_u32_b32 v2, v2, 0
	v_bcnt_u32_b32 v2, v3, v2
	s_waitcnt lgkmcnt(0)
	v_add_u32_e32 v2, v33, v2
	ds_write_b32 v35, v2 offset:12
.LBB213_12:                             ;   in Loop: Header=BB213_4 Depth=2
	s_or_b64 exec, exec, s[34:35]
	; wave barrier
	s_waitcnt lgkmcnt(0)
	s_barrier
	ds_read2_b32 v[4:5], v13 offset0:3 offset1:4
	ds_read2_b32 v[2:3], v13 offset0:5 offset1:6
	s_waitcnt lgkmcnt(1)
	v_add_u32_e32 v36, v5, v4
	s_waitcnt lgkmcnt(0)
	v_add3_u32 v3, v36, v2, v3
	s_nop 1
	v_mov_b32_dpp v36, v3 row_shr:1 row_mask:0xf bank_mask:0xf
	v_cndmask_b32_e64 v36, v36, 0, s[10:11]
	v_add_u32_e32 v3, v36, v3
	s_nop 1
	v_mov_b32_dpp v36, v3 row_shr:2 row_mask:0xf bank_mask:0xf
	v_cndmask_b32_e64 v36, 0, v36, s[12:13]
	v_add_u32_e32 v3, v3, v36
	;; [unrolled: 4-line block ×4, first 2 shown]
	s_nop 1
	v_mov_b32_dpp v36, v3 row_bcast:15 row_mask:0xf bank_mask:0xf
	v_cndmask_b32_e64 v36, v36, 0, s[26:27]
	v_add_u32_e32 v3, v3, v36
	s_nop 1
	v_mov_b32_dpp v36, v3 row_bcast:31 row_mask:0xf bank_mask:0xf
	v_cndmask_b32_e64 v36, 0, v36, s[6:7]
	v_add_u32_e32 v3, v3, v36
	s_and_saveexec_b64 s[34:35], s[30:31]
; %bb.13:                               ;   in Loop: Header=BB213_4 Depth=2
	ds_write_b32 v15, v3
; %bb.14:                               ;   in Loop: Header=BB213_4 Depth=2
	s_or_b64 exec, exec, s[34:35]
	s_waitcnt lgkmcnt(0)
	s_barrier
	s_and_saveexec_b64 s[34:35], s[0:1]
	s_cbranch_execz .LBB213_16
; %bb.15:                               ;   in Loop: Header=BB213_4 Depth=2
	v_add_u32_e32 v36, v13, v14
	ds_read_b32 v37, v36
	s_waitcnt lgkmcnt(0)
	s_nop 0
	v_mov_b32_dpp v38, v37 row_shr:1 row_mask:0xf bank_mask:0xf
	v_cndmask_b32_e64 v38, v38, 0, s[24:25]
	v_add_u32_e32 v37, v38, v37
	s_nop 1
	v_mov_b32_dpp v38, v37 row_shr:2 row_mask:0xf bank_mask:0xf
	v_cndmask_b32_e64 v38, 0, v38, s[28:29]
	v_add_u32_e32 v37, v37, v38
	ds_write_b32 v36, v37
.LBB213_16:                             ;   in Loop: Header=BB213_4 Depth=2
	s_or_b64 exec, exec, s[34:35]
	v_mov_b32_e32 v36, 0
	s_waitcnt lgkmcnt(0)
	s_barrier
	s_and_saveexec_b64 s[34:35], s[2:3]
; %bb.17:                               ;   in Loop: Header=BB213_4 Depth=2
	v_add_u32_e32 v36, -4, v15
	ds_read_b32 v36, v36
; %bb.18:                               ;   in Loop: Header=BB213_4 Depth=2
	s_or_b64 exec, exec, s[34:35]
	s_waitcnt lgkmcnt(0)
	v_add_u32_e32 v3, v36, v3
	ds_bpermute_b32 v3, v18, v3
	v_cmp_lt_u32_e32 vcc, 23, v25
	s_and_b64 vcc, exec, vcc
	s_mov_b64 s[34:35], -1
	s_waitcnt lgkmcnt(0)
	v_cndmask_b32_e64 v3, v3, v36, s[8:9]
	v_cndmask_b32_e64 v3, v3, 0, s[4:5]
	v_add_u32_e32 v4, v3, v4
	v_add_u32_e32 v5, v4, v5
	;; [unrolled: 1-line block ×3, first 2 shown]
	ds_write2_b32 v13, v3, v4 offset0:3 offset1:4
	ds_write2_b32 v13, v5, v2 offset0:5 offset1:6
	s_waitcnt lgkmcnt(0)
	s_barrier
	ds_read_b32 v2, v7 offset:12
	ds_read_b32 v3, v29 offset:12
	;; [unrolled: 1-line block ×4, first 2 shown]
	s_waitcnt lgkmcnt(3)
	v_add_u32_e32 v35, v2, v6
	s_waitcnt lgkmcnt(2)
	v_add3_u32 v32, v12, v11, v3
	s_waitcnt lgkmcnt(1)
	v_add3_u32 v30, v31, v30, v4
	;; [unrolled: 2-line block ×3, first 2 shown]
                                        ; implicit-def: $vgpr5
                                        ; implicit-def: $vgpr3
                                        ; implicit-def: $vgpr7
                                        ; implicit-def: $vgpr12
	s_cbranch_vccnz .LBB213_3
; %bb.19:                               ;   in Loop: Header=BB213_4 Depth=2
	v_lshlrev_b32_e32 v6, 2, v35
	v_lshlrev_b32_e32 v7, 2, v32
	;; [unrolled: 1-line block ×4, first 2 shown]
	s_barrier
	ds_write_b32 v6, v28
	ds_write_b32 v7, v27
	;; [unrolled: 1-line block ×4, first 2 shown]
	s_waitcnt lgkmcnt(0)
	s_barrier
	ds_read2st64_b32 v[2:3], v16 offset1:1
	ds_read2st64_b32 v[4:5], v16 offset0:2 offset1:3
	s_waitcnt lgkmcnt(0)
	s_barrier
	ds_write_b32 v6, v23
	ds_write_b32 v7, v10
	ds_write_b32 v11, v9
	ds_write_b32 v12, v8
	s_waitcnt lgkmcnt(0)
	s_barrier
	ds_read2st64_b32 v[11:12], v16 offset1:1
	ds_read2st64_b32 v[6:7], v16 offset0:2 offset1:3
	v_add_u32_e32 v25, 8, v25
	s_mov_b64 s[34:35], 0
	s_waitcnt lgkmcnt(0)
	s_barrier
	s_branch .LBB213_3
.LBB213_20:
	s_add_u32 s0, s38, s40
	s_waitcnt lgkmcnt(1)
	v_add_u32_e32 v1, v3, v9
	s_addc_u32 s1, s39, s41
	v_lshlrev_b32_e32 v0, 2, v0
	v_add_u32_e32 v2, v4, v10
	s_waitcnt lgkmcnt(0)
	v_add_u32_e32 v3, v5, v7
	v_add_u32_e32 v4, v6, v8
	global_store_dword v0, v1, s[0:1]
	global_store_dword v0, v2, s[0:1] offset:768
	global_store_dword v0, v3, s[0:1] offset:1536
	;; [unrolled: 1-line block ×3, first 2 shown]
	s_endpgm
	.section	.rodata,"a",@progbits
	.p2align	6, 0x0
	.amdhsa_kernel _Z17sort_pairs_kernelI22helper_blocked_stripediLj192ELj4ELj10EEvPKT0_PS1_
		.amdhsa_group_segment_fixed_size 3088
		.amdhsa_private_segment_fixed_size 0
		.amdhsa_kernarg_size 272
		.amdhsa_user_sgpr_count 6
		.amdhsa_user_sgpr_private_segment_buffer 1
		.amdhsa_user_sgpr_dispatch_ptr 0
		.amdhsa_user_sgpr_queue_ptr 0
		.amdhsa_user_sgpr_kernarg_segment_ptr 1
		.amdhsa_user_sgpr_dispatch_id 0
		.amdhsa_user_sgpr_flat_scratch_init 0
		.amdhsa_user_sgpr_private_segment_size 0
		.amdhsa_uses_dynamic_stack 0
		.amdhsa_system_sgpr_private_segment_wavefront_offset 0
		.amdhsa_system_sgpr_workgroup_id_x 1
		.amdhsa_system_sgpr_workgroup_id_y 0
		.amdhsa_system_sgpr_workgroup_id_z 0
		.amdhsa_system_sgpr_workgroup_info 0
		.amdhsa_system_vgpr_workitem_id 2
		.amdhsa_next_free_vgpr 39
		.amdhsa_next_free_sgpr 44
		.amdhsa_reserve_vcc 1
		.amdhsa_reserve_flat_scratch 0
		.amdhsa_float_round_mode_32 0
		.amdhsa_float_round_mode_16_64 0
		.amdhsa_float_denorm_mode_32 3
		.amdhsa_float_denorm_mode_16_64 3
		.amdhsa_dx10_clamp 1
		.amdhsa_ieee_mode 1
		.amdhsa_fp16_overflow 0
		.amdhsa_exception_fp_ieee_invalid_op 0
		.amdhsa_exception_fp_denorm_src 0
		.amdhsa_exception_fp_ieee_div_zero 0
		.amdhsa_exception_fp_ieee_overflow 0
		.amdhsa_exception_fp_ieee_underflow 0
		.amdhsa_exception_fp_ieee_inexact 0
		.amdhsa_exception_int_div_zero 0
	.end_amdhsa_kernel
	.section	.text._Z17sort_pairs_kernelI22helper_blocked_stripediLj192ELj4ELj10EEvPKT0_PS1_,"axG",@progbits,_Z17sort_pairs_kernelI22helper_blocked_stripediLj192ELj4ELj10EEvPKT0_PS1_,comdat
.Lfunc_end213:
	.size	_Z17sort_pairs_kernelI22helper_blocked_stripediLj192ELj4ELj10EEvPKT0_PS1_, .Lfunc_end213-_Z17sort_pairs_kernelI22helper_blocked_stripediLj192ELj4ELj10EEvPKT0_PS1_
                                        ; -- End function
	.set _Z17sort_pairs_kernelI22helper_blocked_stripediLj192ELj4ELj10EEvPKT0_PS1_.num_vgpr, 39
	.set _Z17sort_pairs_kernelI22helper_blocked_stripediLj192ELj4ELj10EEvPKT0_PS1_.num_agpr, 0
	.set _Z17sort_pairs_kernelI22helper_blocked_stripediLj192ELj4ELj10EEvPKT0_PS1_.numbered_sgpr, 44
	.set _Z17sort_pairs_kernelI22helper_blocked_stripediLj192ELj4ELj10EEvPKT0_PS1_.num_named_barrier, 0
	.set _Z17sort_pairs_kernelI22helper_blocked_stripediLj192ELj4ELj10EEvPKT0_PS1_.private_seg_size, 0
	.set _Z17sort_pairs_kernelI22helper_blocked_stripediLj192ELj4ELj10EEvPKT0_PS1_.uses_vcc, 1
	.set _Z17sort_pairs_kernelI22helper_blocked_stripediLj192ELj4ELj10EEvPKT0_PS1_.uses_flat_scratch, 0
	.set _Z17sort_pairs_kernelI22helper_blocked_stripediLj192ELj4ELj10EEvPKT0_PS1_.has_dyn_sized_stack, 0
	.set _Z17sort_pairs_kernelI22helper_blocked_stripediLj192ELj4ELj10EEvPKT0_PS1_.has_recursion, 0
	.set _Z17sort_pairs_kernelI22helper_blocked_stripediLj192ELj4ELj10EEvPKT0_PS1_.has_indirect_call, 0
	.section	.AMDGPU.csdata,"",@progbits
; Kernel info:
; codeLenInByte = 3500
; TotalNumSgprs: 48
; NumVgprs: 39
; ScratchSize: 0
; MemoryBound: 0
; FloatMode: 240
; IeeeMode: 1
; LDSByteSize: 3088 bytes/workgroup (compile time only)
; SGPRBlocks: 5
; VGPRBlocks: 9
; NumSGPRsForWavesPerEU: 48
; NumVGPRsForWavesPerEU: 39
; Occupancy: 6
; WaveLimiterHint : 1
; COMPUTE_PGM_RSRC2:SCRATCH_EN: 0
; COMPUTE_PGM_RSRC2:USER_SGPR: 6
; COMPUTE_PGM_RSRC2:TRAP_HANDLER: 0
; COMPUTE_PGM_RSRC2:TGID_X_EN: 1
; COMPUTE_PGM_RSRC2:TGID_Y_EN: 0
; COMPUTE_PGM_RSRC2:TGID_Z_EN: 0
; COMPUTE_PGM_RSRC2:TIDIG_COMP_CNT: 2
	.section	.text._Z16sort_keys_kernelI22helper_blocked_stripediLj192ELj8ELj10EEvPKT0_PS1_,"axG",@progbits,_Z16sort_keys_kernelI22helper_blocked_stripediLj192ELj8ELj10EEvPKT0_PS1_,comdat
	.protected	_Z16sort_keys_kernelI22helper_blocked_stripediLj192ELj8ELj10EEvPKT0_PS1_ ; -- Begin function _Z16sort_keys_kernelI22helper_blocked_stripediLj192ELj8ELj10EEvPKT0_PS1_
	.globl	_Z16sort_keys_kernelI22helper_blocked_stripediLj192ELj8ELj10EEvPKT0_PS1_
	.p2align	8
	.type	_Z16sort_keys_kernelI22helper_blocked_stripediLj192ELj8ELj10EEvPKT0_PS1_,@function
_Z16sort_keys_kernelI22helper_blocked_stripediLj192ELj8ELj10EEvPKT0_PS1_: ; @_Z16sort_keys_kernelI22helper_blocked_stripediLj192ELj8ELj10EEvPKT0_PS1_
; %bb.0:
	s_load_dwordx4 s[28:31], s[4:5], 0x0
	s_load_dword s2, s[4:5], 0x1c
	s_mul_i32 s34, s6, 0x600
	s_mov_b32 s35, 0
	s_lshl_b64 s[36:37], s[34:35], 2
	s_waitcnt lgkmcnt(0)
	s_add_u32 s0, s28, s36
	s_addc_u32 s1, s29, s37
	v_lshlrev_b32_e32 v11, 5, v0
	global_load_dwordx4 v[7:10], v11, s[0:1]
	global_load_dwordx4 v[3:6], v11, s[0:1] offset:16
	v_mbcnt_lo_u32_b32 v11, -1, 0
	s_movk_i32 s0, 0x600
	v_lshlrev_b32_e32 v12, 3, v0
	v_mbcnt_hi_u32_b32 v24, -1, v11
	v_and_or_b32 v19, v12, s0, v24
	s_lshr_b32 s0, s2, 16
	s_and_b32 s1, s2, 0xffff
	v_mad_u32_u24 v1, v2, s0, v1
	v_mad_u64_u32 v[1:2], s[0:1], v1, s1, v[0:1]
	v_and_b32_e32 v2, 15, v24
	v_and_b32_e32 v21, 0xc0, v0
	v_cmp_eq_u32_e64 s[0:1], 0, v2
	v_cmp_lt_u32_e64 s[2:3], 1, v2
	v_cmp_lt_u32_e64 s[4:5], 3, v2
	;; [unrolled: 1-line block ×3, first 2 shown]
	v_and_b32_e32 v2, 16, v24
	v_cmp_eq_u32_e64 s[8:9], 0, v2
	v_min_u32_e32 v2, 0x80, v21
	v_or_b32_e32 v2, 63, v2
	v_add_u32_e32 v11, v24, v21
	v_cmp_eq_u32_e64 s[12:13], v0, v2
	v_subrev_co_u32_e64 v2, s[18:19], 1, v24
	v_and_b32_e32 v21, 64, v24
	v_and_b32_e32 v13, 0x1fc, v11
	v_cmp_lt_i32_e32 vcc, v2, v21
	v_lshl_add_u32 v11, v11, 5, v13
	v_lshrrev_b32_e32 v12, 3, v19
	v_lshlrev_b32_e32 v20, 2, v19
	v_add_u32_e32 v13, 64, v19
	v_or_b32_e32 v14, 0x80, v19
	v_add_u32_e32 v15, 0xc0, v19
	v_or_b32_e32 v16, 0x100, v19
	v_add_u32_e32 v17, 0x140, v19
	v_or_b32_e32 v18, 0x180, v19
	v_add_u32_e32 v19, 0x1c0, v19
	v_cndmask_b32_e32 v2, v2, v24, vcc
	v_lshrrev_b32_e32 v13, 3, v13
	v_lshrrev_b32_e32 v14, 3, v14
	;; [unrolled: 1-line block ×7, first 2 shown]
	v_lshlrev_b32_e32 v21, 2, v2
	v_lshrrev_b32_e32 v2, 4, v0
	v_and_b32_e32 v12, 0xcc, v12
	v_and_b32_e32 v13, 0xdc, v13
	;; [unrolled: 1-line block ×10, first 2 shown]
	v_lshrrev_b32_e32 v1, 4, v1
	v_add_u32_e32 v12, v12, v20
	v_add_u32_e32 v13, v13, v20
	v_add_u32_e32 v14, v14, v20
	v_add_u32_e32 v15, v15, v20
	v_add_u32_e32 v16, v16, v20
	v_add_u32_e32 v17, v17, v20
	v_add_u32_e32 v18, v18, v20
	v_add_u32_e32 v19, v19, v20
	v_lshlrev_b32_e32 v20, 4, v0
	v_cmp_lt_u32_e64 s[10:11], 31, v24
	v_cmp_gt_u32_e64 s[14:15], 3, v0
	v_cmp_lt_u32_e64 s[16:17], 63, v0
	v_cmp_eq_u32_e64 s[20:21], 0, v0
	v_mul_i32_i24_e32 v23, -12, v0
	v_cmp_eq_u32_e64 s[22:23], 0, v2
	v_cmp_lt_u32_e64 s[24:25], 1, v2
	v_add_u32_e32 v24, -4, v22
	v_and_b32_e32 v25, 0xffffffc, v1
	v_mov_b32_e32 v1, 0
	v_mov_b32_e32 v26, 12
	s_branch .LBB214_2
.LBB214_1:                              ;   in Loop: Header=BB214_2 Depth=1
	v_lshlrev_b32_e32 v3, 2, v3
	v_lshlrev_b32_e32 v2, 2, v2
	s_barrier
	ds_write_b32 v3, v30
	ds_write_b32 v2, v29
	v_lshlrev_b32_e32 v2, 2, v4
	ds_write_b32 v2, v28
	v_lshlrev_b32_e32 v2, 2, v34
	;; [unrolled: 2-line block ×6, first 2 shown]
	ds_write_b32 v2, v6
	v_add_u32_e32 v6, v20, v23
	s_waitcnt lgkmcnt(0)
	s_barrier
	ds_read2st64_b32 v[2:3], v6 offset1:3
	ds_read2st64_b32 v[4:5], v6 offset0:6 offset1:9
	ds_read2st64_b32 v[27:28], v6 offset0:12 offset1:15
	;; [unrolled: 1-line block ×3, first 2 shown]
	s_add_i32 s35, s35, 1
	s_waitcnt lgkmcnt(3)
	v_xor_b32_e32 v7, 0x80000000, v2
	v_xor_b32_e32 v8, 0x80000000, v3
	s_waitcnt lgkmcnt(2)
	v_xor_b32_e32 v9, 0x80000000, v4
	v_xor_b32_e32 v10, 0x80000000, v5
	s_waitcnt lgkmcnt(1)
	v_xor_b32_e32 v3, 0x80000000, v27
	v_xor_b32_e32 v4, 0x80000000, v28
	s_waitcnt lgkmcnt(0)
	v_xor_b32_e32 v5, 0x80000000, v29
	s_cmp_eq_u32 s35, 10
	v_xor_b32_e32 v6, 0x80000000, v30
	s_cbranch_scc1 .LBB214_28
.LBB214_2:                              ; =>This Loop Header: Depth=1
                                        ;     Child Loop BB214_4 Depth 2
	s_waitcnt vmcnt(1)
	v_xor_b32_e32 v2, 0x80000000, v7
	v_xor_b32_e32 v7, 0x80000000, v8
	;; [unrolled: 1-line block ×4, first 2 shown]
	s_waitcnt vmcnt(0)
	v_xor_b32_e32 v3, 0x80000000, v3
	v_xor_b32_e32 v4, 0x80000000, v4
	;; [unrolled: 1-line block ×4, first 2 shown]
	ds_write2_b32 v11, v2, v7 offset1:1
	ds_write2_b32 v11, v8, v9 offset0:2 offset1:3
	ds_write2_b32 v11, v3, v4 offset0:4 offset1:5
	ds_write2_b32 v11, v5, v6 offset0:6 offset1:7
	; wave barrier
	ds_read_b32 v35, v12
	ds_read_b32 v36, v13 offset:256
	ds_read_b32 v37, v14 offset:512
	;; [unrolled: 1-line block ×7, first 2 shown]
	v_mov_b32_e32 v10, v1
	s_waitcnt lgkmcnt(0)
	s_barrier
	; wave barrier
	s_barrier
	s_branch .LBB214_4
.LBB214_3:                              ;   in Loop: Header=BB214_4 Depth=2
	s_andn2_b64 vcc, exec, s[26:27]
	s_cbranch_vccz .LBB214_1
.LBB214_4:                              ;   Parent Loop BB214_2 Depth=1
                                        ; =>  This Inner Loop Header: Depth=2
	v_mov_b32_e32 v30, v35
	v_lshrrev_b32_e32 v3, v10, v30
	v_and_b32_e32 v2, 1, v3
	v_add_co_u32_e32 v5, vcc, -1, v2
	v_addc_co_u32_e64 v31, s[26:27], 0, -1, vcc
	v_cmp_ne_u32_e32 vcc, 0, v2
	v_xor_b32_e32 v2, vcc_hi, v31
	v_and_b32_e32 v31, exec_hi, v2
	v_lshlrev_b32_e32 v2, 30, v3
	v_xor_b32_e32 v5, vcc_lo, v5
	v_cmp_gt_i64_e32 vcc, 0, v[1:2]
	v_not_b32_e32 v2, v2
	v_ashrrev_i32_e32 v2, 31, v2
	v_and_b32_e32 v5, exec_lo, v5
	v_xor_b32_e32 v32, vcc_hi, v2
	v_xor_b32_e32 v2, vcc_lo, v2
	v_and_b32_e32 v5, v5, v2
	v_lshlrev_b32_e32 v2, 29, v3
	v_cmp_gt_i64_e32 vcc, 0, v[1:2]
	v_not_b32_e32 v2, v2
	v_ashrrev_i32_e32 v2, 31, v2
	v_and_b32_e32 v31, v31, v32
	v_xor_b32_e32 v32, vcc_hi, v2
	v_xor_b32_e32 v2, vcc_lo, v2
	v_and_b32_e32 v5, v5, v2
	v_lshlrev_b32_e32 v2, 28, v3
	v_cmp_gt_i64_e32 vcc, 0, v[1:2]
	v_not_b32_e32 v2, v2
	v_ashrrev_i32_e32 v2, 31, v2
	v_and_b32_e32 v31, v31, v32
	;; [unrolled: 8-line block ×5, first 2 shown]
	v_xor_b32_e32 v32, vcc_hi, v2
	v_xor_b32_e32 v2, vcc_lo, v2
	v_and_b32_e32 v5, v5, v2
	v_lshlrev_b32_e32 v2, 24, v3
	v_cmp_gt_i64_e32 vcc, 0, v[1:2]
	v_not_b32_e32 v2, v2
	v_ashrrev_i32_e32 v2, 31, v2
	v_mul_u32_u24_sdwa v4, v3, v26 dst_sel:DWORD dst_unused:UNUSED_PAD src0_sel:BYTE_0 src1_sel:DWORD
	v_xor_b32_e32 v3, vcc_hi, v2
	v_xor_b32_e32 v2, vcc_lo, v2
	v_and_b32_e32 v31, v31, v32
	v_and_b32_e32 v2, v5, v2
	;; [unrolled: 1-line block ×3, first 2 shown]
	v_mbcnt_lo_u32_b32 v5, v2, 0
	v_mbcnt_hi_u32_b32 v31, v3, v5
	v_cmp_ne_u64_e32 vcc, 0, v[2:3]
	v_cmp_eq_u32_e64 s[26:27], 0, v31
	v_mov_b32_e32 v6, v42
	v_mov_b32_e32 v7, v41
	;; [unrolled: 1-line block ×7, first 2 shown]
	s_and_b64 s[28:29], vcc, s[26:27]
	v_add_u32_e32 v32, v25, v4
	ds_write2_b32 v20, v1, v1 offset0:3 offset1:4
	ds_write2_b32 v20, v1, v1 offset0:5 offset1:6
	s_waitcnt lgkmcnt(0)
	s_barrier
	; wave barrier
	s_and_saveexec_b64 s[26:27], s[28:29]
; %bb.5:                                ;   in Loop: Header=BB214_4 Depth=2
	v_bcnt_u32_b32 v2, v2, 0
	v_bcnt_u32_b32 v2, v3, v2
	ds_write_b32 v32, v2 offset:12
; %bb.6:                                ;   in Loop: Header=BB214_4 Depth=2
	s_or_b64 exec, exec, s[26:27]
	v_lshrrev_b32_e32 v3, v10, v29
	v_and_b32_e32 v2, 0xff, v3
	v_mul_u32_u24_e32 v4, 12, v2
	v_mad_u32_u24 v2, v2, 12, v25
	; wave barrier
	ds_read_b32 v33, v2 offset:12
	v_and_b32_e32 v2, 1, v3
	v_add_co_u32_e32 v5, vcc, -1, v2
	v_addc_co_u32_e64 v34, s[26:27], 0, -1, vcc
	v_cmp_ne_u32_e32 vcc, 0, v2
	v_xor_b32_e32 v2, vcc_hi, v34
	v_and_b32_e32 v34, exec_hi, v2
	v_lshlrev_b32_e32 v2, 30, v3
	v_xor_b32_e32 v5, vcc_lo, v5
	v_cmp_gt_i64_e32 vcc, 0, v[1:2]
	v_not_b32_e32 v2, v2
	v_ashrrev_i32_e32 v2, 31, v2
	v_and_b32_e32 v5, exec_lo, v5
	v_xor_b32_e32 v35, vcc_hi, v2
	v_xor_b32_e32 v2, vcc_lo, v2
	v_and_b32_e32 v5, v5, v2
	v_lshlrev_b32_e32 v2, 29, v3
	v_cmp_gt_i64_e32 vcc, 0, v[1:2]
	v_not_b32_e32 v2, v2
	v_ashrrev_i32_e32 v2, 31, v2
	v_and_b32_e32 v34, v34, v35
	v_xor_b32_e32 v35, vcc_hi, v2
	v_xor_b32_e32 v2, vcc_lo, v2
	v_and_b32_e32 v5, v5, v2
	v_lshlrev_b32_e32 v2, 28, v3
	v_cmp_gt_i64_e32 vcc, 0, v[1:2]
	v_not_b32_e32 v2, v2
	v_ashrrev_i32_e32 v2, 31, v2
	v_and_b32_e32 v34, v34, v35
	;; [unrolled: 8-line block ×5, first 2 shown]
	v_xor_b32_e32 v35, vcc_hi, v2
	v_xor_b32_e32 v2, vcc_lo, v2
	v_and_b32_e32 v5, v5, v2
	v_lshlrev_b32_e32 v2, 24, v3
	v_cmp_gt_i64_e32 vcc, 0, v[1:2]
	v_not_b32_e32 v2, v2
	v_ashrrev_i32_e32 v2, 31, v2
	v_xor_b32_e32 v3, vcc_hi, v2
	v_xor_b32_e32 v2, vcc_lo, v2
	v_and_b32_e32 v34, v34, v35
	v_and_b32_e32 v2, v5, v2
	;; [unrolled: 1-line block ×3, first 2 shown]
	v_mbcnt_lo_u32_b32 v5, v2, 0
	v_mbcnt_hi_u32_b32 v34, v3, v5
	v_cmp_ne_u64_e32 vcc, 0, v[2:3]
	v_cmp_eq_u32_e64 s[26:27], 0, v34
	s_and_b64 s[28:29], vcc, s[26:27]
	v_add_u32_e32 v35, v25, v4
	; wave barrier
	s_and_saveexec_b64 s[26:27], s[28:29]
	s_cbranch_execz .LBB214_8
; %bb.7:                                ;   in Loop: Header=BB214_4 Depth=2
	v_bcnt_u32_b32 v2, v2, 0
	v_bcnt_u32_b32 v2, v3, v2
	s_waitcnt lgkmcnt(0)
	v_add_u32_e32 v2, v33, v2
	ds_write_b32 v35, v2 offset:12
.LBB214_8:                              ;   in Loop: Header=BB214_4 Depth=2
	s_or_b64 exec, exec, s[26:27]
	v_lshrrev_b32_e32 v3, v10, v28
	v_and_b32_e32 v2, 0xff, v3
	v_mul_u32_u24_e32 v4, 12, v2
	v_mad_u32_u24 v2, v2, 12, v25
	; wave barrier
	ds_read_b32 v36, v2 offset:12
	v_and_b32_e32 v2, 1, v3
	v_add_co_u32_e32 v5, vcc, -1, v2
	v_addc_co_u32_e64 v37, s[26:27], 0, -1, vcc
	v_cmp_ne_u32_e32 vcc, 0, v2
	v_xor_b32_e32 v2, vcc_hi, v37
	v_and_b32_e32 v37, exec_hi, v2
	v_lshlrev_b32_e32 v2, 30, v3
	v_xor_b32_e32 v5, vcc_lo, v5
	v_cmp_gt_i64_e32 vcc, 0, v[1:2]
	v_not_b32_e32 v2, v2
	v_ashrrev_i32_e32 v2, 31, v2
	v_and_b32_e32 v5, exec_lo, v5
	v_xor_b32_e32 v38, vcc_hi, v2
	v_xor_b32_e32 v2, vcc_lo, v2
	v_and_b32_e32 v5, v5, v2
	v_lshlrev_b32_e32 v2, 29, v3
	v_cmp_gt_i64_e32 vcc, 0, v[1:2]
	v_not_b32_e32 v2, v2
	v_ashrrev_i32_e32 v2, 31, v2
	v_and_b32_e32 v37, v37, v38
	v_xor_b32_e32 v38, vcc_hi, v2
	v_xor_b32_e32 v2, vcc_lo, v2
	v_and_b32_e32 v5, v5, v2
	v_lshlrev_b32_e32 v2, 28, v3
	v_cmp_gt_i64_e32 vcc, 0, v[1:2]
	v_not_b32_e32 v2, v2
	v_ashrrev_i32_e32 v2, 31, v2
	v_and_b32_e32 v37, v37, v38
	v_xor_b32_e32 v38, vcc_hi, v2
	v_xor_b32_e32 v2, vcc_lo, v2
	v_and_b32_e32 v5, v5, v2
	v_lshlrev_b32_e32 v2, 27, v3
	v_cmp_gt_i64_e32 vcc, 0, v[1:2]
	v_not_b32_e32 v2, v2
	v_ashrrev_i32_e32 v2, 31, v2
	v_and_b32_e32 v37, v37, v38
	v_xor_b32_e32 v38, vcc_hi, v2
	v_xor_b32_e32 v2, vcc_lo, v2
	v_and_b32_e32 v5, v5, v2
	v_lshlrev_b32_e32 v2, 26, v3
	v_cmp_gt_i64_e32 vcc, 0, v[1:2]
	v_not_b32_e32 v2, v2
	v_ashrrev_i32_e32 v2, 31, v2
	v_and_b32_e32 v37, v37, v38
	v_xor_b32_e32 v38, vcc_hi, v2
	v_xor_b32_e32 v2, vcc_lo, v2
	v_and_b32_e32 v5, v5, v2
	v_lshlrev_b32_e32 v2, 25, v3
	v_cmp_gt_i64_e32 vcc, 0, v[1:2]
	v_not_b32_e32 v2, v2
	v_ashrrev_i32_e32 v2, 31, v2
	v_and_b32_e32 v37, v37, v38
	v_xor_b32_e32 v38, vcc_hi, v2
	v_xor_b32_e32 v2, vcc_lo, v2
	v_and_b32_e32 v5, v5, v2
	v_lshlrev_b32_e32 v2, 24, v3
	v_cmp_gt_i64_e32 vcc, 0, v[1:2]
	v_not_b32_e32 v2, v2
	v_ashrrev_i32_e32 v2, 31, v2
	v_xor_b32_e32 v3, vcc_hi, v2
	v_xor_b32_e32 v2, vcc_lo, v2
	v_and_b32_e32 v37, v37, v38
	v_and_b32_e32 v2, v5, v2
	;; [unrolled: 1-line block ×3, first 2 shown]
	v_mbcnt_lo_u32_b32 v5, v2, 0
	v_mbcnt_hi_u32_b32 v37, v3, v5
	v_cmp_ne_u64_e32 vcc, 0, v[2:3]
	v_cmp_eq_u32_e64 s[26:27], 0, v37
	s_and_b64 s[28:29], vcc, s[26:27]
	v_add_u32_e32 v38, v25, v4
	; wave barrier
	s_and_saveexec_b64 s[26:27], s[28:29]
	s_cbranch_execz .LBB214_10
; %bb.9:                                ;   in Loop: Header=BB214_4 Depth=2
	v_bcnt_u32_b32 v2, v2, 0
	v_bcnt_u32_b32 v2, v3, v2
	s_waitcnt lgkmcnt(0)
	v_add_u32_e32 v2, v36, v2
	ds_write_b32 v38, v2 offset:12
.LBB214_10:                             ;   in Loop: Header=BB214_4 Depth=2
	s_or_b64 exec, exec, s[26:27]
	v_lshrrev_b32_e32 v3, v10, v27
	v_and_b32_e32 v2, 0xff, v3
	v_mul_u32_u24_e32 v4, 12, v2
	v_mad_u32_u24 v2, v2, 12, v25
	; wave barrier
	ds_read_b32 v39, v2 offset:12
	v_and_b32_e32 v2, 1, v3
	v_add_co_u32_e32 v5, vcc, -1, v2
	v_addc_co_u32_e64 v40, s[26:27], 0, -1, vcc
	v_cmp_ne_u32_e32 vcc, 0, v2
	v_xor_b32_e32 v2, vcc_hi, v40
	v_and_b32_e32 v40, exec_hi, v2
	v_lshlrev_b32_e32 v2, 30, v3
	v_xor_b32_e32 v5, vcc_lo, v5
	v_cmp_gt_i64_e32 vcc, 0, v[1:2]
	v_not_b32_e32 v2, v2
	v_ashrrev_i32_e32 v2, 31, v2
	v_and_b32_e32 v5, exec_lo, v5
	v_xor_b32_e32 v41, vcc_hi, v2
	v_xor_b32_e32 v2, vcc_lo, v2
	v_and_b32_e32 v5, v5, v2
	v_lshlrev_b32_e32 v2, 29, v3
	v_cmp_gt_i64_e32 vcc, 0, v[1:2]
	v_not_b32_e32 v2, v2
	v_ashrrev_i32_e32 v2, 31, v2
	v_and_b32_e32 v40, v40, v41
	v_xor_b32_e32 v41, vcc_hi, v2
	v_xor_b32_e32 v2, vcc_lo, v2
	v_and_b32_e32 v5, v5, v2
	v_lshlrev_b32_e32 v2, 28, v3
	v_cmp_gt_i64_e32 vcc, 0, v[1:2]
	v_not_b32_e32 v2, v2
	v_ashrrev_i32_e32 v2, 31, v2
	v_and_b32_e32 v40, v40, v41
	;; [unrolled: 8-line block ×5, first 2 shown]
	v_xor_b32_e32 v41, vcc_hi, v2
	v_xor_b32_e32 v2, vcc_lo, v2
	v_and_b32_e32 v5, v5, v2
	v_lshlrev_b32_e32 v2, 24, v3
	v_cmp_gt_i64_e32 vcc, 0, v[1:2]
	v_not_b32_e32 v2, v2
	v_ashrrev_i32_e32 v2, 31, v2
	v_xor_b32_e32 v3, vcc_hi, v2
	v_xor_b32_e32 v2, vcc_lo, v2
	v_and_b32_e32 v40, v40, v41
	v_and_b32_e32 v2, v5, v2
	;; [unrolled: 1-line block ×3, first 2 shown]
	v_mbcnt_lo_u32_b32 v5, v2, 0
	v_mbcnt_hi_u32_b32 v40, v3, v5
	v_cmp_ne_u64_e32 vcc, 0, v[2:3]
	v_cmp_eq_u32_e64 s[26:27], 0, v40
	s_and_b64 s[28:29], vcc, s[26:27]
	v_add_u32_e32 v41, v25, v4
	; wave barrier
	s_and_saveexec_b64 s[26:27], s[28:29]
	s_cbranch_execz .LBB214_12
; %bb.11:                               ;   in Loop: Header=BB214_4 Depth=2
	v_bcnt_u32_b32 v2, v2, 0
	v_bcnt_u32_b32 v2, v3, v2
	s_waitcnt lgkmcnt(0)
	v_add_u32_e32 v2, v39, v2
	ds_write_b32 v41, v2 offset:12
.LBB214_12:                             ;   in Loop: Header=BB214_4 Depth=2
	s_or_b64 exec, exec, s[26:27]
	v_lshrrev_b32_e32 v3, v10, v9
	v_and_b32_e32 v2, 0xff, v3
	v_mul_u32_u24_e32 v4, 12, v2
	v_mad_u32_u24 v2, v2, 12, v25
	; wave barrier
	ds_read_b32 v42, v2 offset:12
	v_and_b32_e32 v2, 1, v3
	v_add_co_u32_e32 v5, vcc, -1, v2
	v_addc_co_u32_e64 v43, s[26:27], 0, -1, vcc
	v_cmp_ne_u32_e32 vcc, 0, v2
	v_xor_b32_e32 v2, vcc_hi, v43
	v_and_b32_e32 v43, exec_hi, v2
	v_lshlrev_b32_e32 v2, 30, v3
	v_xor_b32_e32 v5, vcc_lo, v5
	v_cmp_gt_i64_e32 vcc, 0, v[1:2]
	v_not_b32_e32 v2, v2
	v_ashrrev_i32_e32 v2, 31, v2
	v_and_b32_e32 v5, exec_lo, v5
	v_xor_b32_e32 v44, vcc_hi, v2
	v_xor_b32_e32 v2, vcc_lo, v2
	v_and_b32_e32 v5, v5, v2
	v_lshlrev_b32_e32 v2, 29, v3
	v_cmp_gt_i64_e32 vcc, 0, v[1:2]
	v_not_b32_e32 v2, v2
	v_ashrrev_i32_e32 v2, 31, v2
	v_and_b32_e32 v43, v43, v44
	v_xor_b32_e32 v44, vcc_hi, v2
	v_xor_b32_e32 v2, vcc_lo, v2
	v_and_b32_e32 v5, v5, v2
	v_lshlrev_b32_e32 v2, 28, v3
	v_cmp_gt_i64_e32 vcc, 0, v[1:2]
	v_not_b32_e32 v2, v2
	v_ashrrev_i32_e32 v2, 31, v2
	v_and_b32_e32 v43, v43, v44
	;; [unrolled: 8-line block ×5, first 2 shown]
	v_xor_b32_e32 v44, vcc_hi, v2
	v_xor_b32_e32 v2, vcc_lo, v2
	v_and_b32_e32 v5, v5, v2
	v_lshlrev_b32_e32 v2, 24, v3
	v_cmp_gt_i64_e32 vcc, 0, v[1:2]
	v_not_b32_e32 v2, v2
	v_ashrrev_i32_e32 v2, 31, v2
	v_xor_b32_e32 v3, vcc_hi, v2
	v_xor_b32_e32 v2, vcc_lo, v2
	v_and_b32_e32 v43, v43, v44
	v_and_b32_e32 v2, v5, v2
	;; [unrolled: 1-line block ×3, first 2 shown]
	v_mbcnt_lo_u32_b32 v5, v2, 0
	v_mbcnt_hi_u32_b32 v43, v3, v5
	v_cmp_ne_u64_e32 vcc, 0, v[2:3]
	v_cmp_eq_u32_e64 s[26:27], 0, v43
	s_and_b64 s[28:29], vcc, s[26:27]
	v_add_u32_e32 v44, v25, v4
	; wave barrier
	s_and_saveexec_b64 s[26:27], s[28:29]
	s_cbranch_execz .LBB214_14
; %bb.13:                               ;   in Loop: Header=BB214_4 Depth=2
	v_bcnt_u32_b32 v2, v2, 0
	v_bcnt_u32_b32 v2, v3, v2
	s_waitcnt lgkmcnt(0)
	v_add_u32_e32 v2, v42, v2
	ds_write_b32 v44, v2 offset:12
.LBB214_14:                             ;   in Loop: Header=BB214_4 Depth=2
	s_or_b64 exec, exec, s[26:27]
	v_lshrrev_b32_e32 v3, v10, v8
	v_and_b32_e32 v2, 0xff, v3
	v_mul_u32_u24_e32 v4, 12, v2
	v_mad_u32_u24 v2, v2, 12, v25
	; wave barrier
	ds_read_b32 v45, v2 offset:12
	v_and_b32_e32 v2, 1, v3
	v_add_co_u32_e32 v5, vcc, -1, v2
	v_addc_co_u32_e64 v46, s[26:27], 0, -1, vcc
	v_cmp_ne_u32_e32 vcc, 0, v2
	v_xor_b32_e32 v2, vcc_hi, v46
	v_and_b32_e32 v46, exec_hi, v2
	v_lshlrev_b32_e32 v2, 30, v3
	v_xor_b32_e32 v5, vcc_lo, v5
	v_cmp_gt_i64_e32 vcc, 0, v[1:2]
	v_not_b32_e32 v2, v2
	v_ashrrev_i32_e32 v2, 31, v2
	v_and_b32_e32 v5, exec_lo, v5
	v_xor_b32_e32 v47, vcc_hi, v2
	v_xor_b32_e32 v2, vcc_lo, v2
	v_and_b32_e32 v5, v5, v2
	v_lshlrev_b32_e32 v2, 29, v3
	v_cmp_gt_i64_e32 vcc, 0, v[1:2]
	v_not_b32_e32 v2, v2
	v_ashrrev_i32_e32 v2, 31, v2
	v_and_b32_e32 v46, v46, v47
	v_xor_b32_e32 v47, vcc_hi, v2
	v_xor_b32_e32 v2, vcc_lo, v2
	v_and_b32_e32 v5, v5, v2
	v_lshlrev_b32_e32 v2, 28, v3
	v_cmp_gt_i64_e32 vcc, 0, v[1:2]
	v_not_b32_e32 v2, v2
	v_ashrrev_i32_e32 v2, 31, v2
	v_and_b32_e32 v46, v46, v47
	;; [unrolled: 8-line block ×5, first 2 shown]
	v_xor_b32_e32 v47, vcc_hi, v2
	v_xor_b32_e32 v2, vcc_lo, v2
	v_and_b32_e32 v5, v5, v2
	v_lshlrev_b32_e32 v2, 24, v3
	v_cmp_gt_i64_e32 vcc, 0, v[1:2]
	v_not_b32_e32 v2, v2
	v_ashrrev_i32_e32 v2, 31, v2
	v_xor_b32_e32 v3, vcc_hi, v2
	v_xor_b32_e32 v2, vcc_lo, v2
	v_and_b32_e32 v46, v46, v47
	v_and_b32_e32 v2, v5, v2
	;; [unrolled: 1-line block ×3, first 2 shown]
	v_mbcnt_lo_u32_b32 v5, v2, 0
	v_mbcnt_hi_u32_b32 v46, v3, v5
	v_cmp_ne_u64_e32 vcc, 0, v[2:3]
	v_cmp_eq_u32_e64 s[26:27], 0, v46
	s_and_b64 s[28:29], vcc, s[26:27]
	v_add_u32_e32 v47, v25, v4
	; wave barrier
	s_and_saveexec_b64 s[26:27], s[28:29]
	s_cbranch_execz .LBB214_16
; %bb.15:                               ;   in Loop: Header=BB214_4 Depth=2
	v_bcnt_u32_b32 v2, v2, 0
	v_bcnt_u32_b32 v2, v3, v2
	s_waitcnt lgkmcnt(0)
	v_add_u32_e32 v2, v45, v2
	ds_write_b32 v47, v2 offset:12
.LBB214_16:                             ;   in Loop: Header=BB214_4 Depth=2
	s_or_b64 exec, exec, s[26:27]
	v_lshrrev_b32_e32 v3, v10, v7
	v_and_b32_e32 v2, 0xff, v3
	v_mul_u32_u24_e32 v4, 12, v2
	v_mad_u32_u24 v2, v2, 12, v25
	; wave barrier
	ds_read_b32 v48, v2 offset:12
	v_and_b32_e32 v2, 1, v3
	v_add_co_u32_e32 v5, vcc, -1, v2
	v_addc_co_u32_e64 v49, s[26:27], 0, -1, vcc
	v_cmp_ne_u32_e32 vcc, 0, v2
	v_xor_b32_e32 v2, vcc_hi, v49
	v_and_b32_e32 v49, exec_hi, v2
	v_lshlrev_b32_e32 v2, 30, v3
	v_xor_b32_e32 v5, vcc_lo, v5
	v_cmp_gt_i64_e32 vcc, 0, v[1:2]
	v_not_b32_e32 v2, v2
	v_ashrrev_i32_e32 v2, 31, v2
	v_and_b32_e32 v5, exec_lo, v5
	v_xor_b32_e32 v50, vcc_hi, v2
	v_xor_b32_e32 v2, vcc_lo, v2
	v_and_b32_e32 v5, v5, v2
	v_lshlrev_b32_e32 v2, 29, v3
	v_cmp_gt_i64_e32 vcc, 0, v[1:2]
	v_not_b32_e32 v2, v2
	v_ashrrev_i32_e32 v2, 31, v2
	v_and_b32_e32 v49, v49, v50
	v_xor_b32_e32 v50, vcc_hi, v2
	v_xor_b32_e32 v2, vcc_lo, v2
	v_and_b32_e32 v5, v5, v2
	v_lshlrev_b32_e32 v2, 28, v3
	v_cmp_gt_i64_e32 vcc, 0, v[1:2]
	v_not_b32_e32 v2, v2
	v_ashrrev_i32_e32 v2, 31, v2
	v_and_b32_e32 v49, v49, v50
	;; [unrolled: 8-line block ×5, first 2 shown]
	v_xor_b32_e32 v50, vcc_hi, v2
	v_xor_b32_e32 v2, vcc_lo, v2
	v_and_b32_e32 v5, v5, v2
	v_lshlrev_b32_e32 v2, 24, v3
	v_cmp_gt_i64_e32 vcc, 0, v[1:2]
	v_not_b32_e32 v2, v2
	v_ashrrev_i32_e32 v2, 31, v2
	v_xor_b32_e32 v3, vcc_hi, v2
	v_xor_b32_e32 v2, vcc_lo, v2
	v_and_b32_e32 v49, v49, v50
	v_and_b32_e32 v2, v5, v2
	;; [unrolled: 1-line block ×3, first 2 shown]
	v_mbcnt_lo_u32_b32 v5, v2, 0
	v_mbcnt_hi_u32_b32 v49, v3, v5
	v_cmp_ne_u64_e32 vcc, 0, v[2:3]
	v_cmp_eq_u32_e64 s[26:27], 0, v49
	s_and_b64 s[28:29], vcc, s[26:27]
	v_add_u32_e32 v50, v25, v4
	; wave barrier
	s_and_saveexec_b64 s[26:27], s[28:29]
	s_cbranch_execz .LBB214_18
; %bb.17:                               ;   in Loop: Header=BB214_4 Depth=2
	v_bcnt_u32_b32 v2, v2, 0
	v_bcnt_u32_b32 v2, v3, v2
	s_waitcnt lgkmcnt(0)
	v_add_u32_e32 v2, v48, v2
	ds_write_b32 v50, v2 offset:12
.LBB214_18:                             ;   in Loop: Header=BB214_4 Depth=2
	s_or_b64 exec, exec, s[26:27]
	v_lshrrev_b32_e32 v3, v10, v6
	v_and_b32_e32 v2, 0xff, v3
	v_mul_u32_u24_e32 v4, 12, v2
	v_mad_u32_u24 v2, v2, 12, v25
	; wave barrier
	ds_read_b32 v51, v2 offset:12
	v_and_b32_e32 v2, 1, v3
	v_add_co_u32_e32 v5, vcc, -1, v2
	v_addc_co_u32_e64 v52, s[26:27], 0, -1, vcc
	v_cmp_ne_u32_e32 vcc, 0, v2
	v_xor_b32_e32 v2, vcc_hi, v52
	v_and_b32_e32 v52, exec_hi, v2
	v_lshlrev_b32_e32 v2, 30, v3
	v_xor_b32_e32 v5, vcc_lo, v5
	v_cmp_gt_i64_e32 vcc, 0, v[1:2]
	v_not_b32_e32 v2, v2
	v_ashrrev_i32_e32 v2, 31, v2
	v_and_b32_e32 v5, exec_lo, v5
	v_xor_b32_e32 v53, vcc_hi, v2
	v_xor_b32_e32 v2, vcc_lo, v2
	v_and_b32_e32 v5, v5, v2
	v_lshlrev_b32_e32 v2, 29, v3
	v_cmp_gt_i64_e32 vcc, 0, v[1:2]
	v_not_b32_e32 v2, v2
	v_ashrrev_i32_e32 v2, 31, v2
	v_and_b32_e32 v52, v52, v53
	v_xor_b32_e32 v53, vcc_hi, v2
	v_xor_b32_e32 v2, vcc_lo, v2
	v_and_b32_e32 v5, v5, v2
	v_lshlrev_b32_e32 v2, 28, v3
	v_cmp_gt_i64_e32 vcc, 0, v[1:2]
	v_not_b32_e32 v2, v2
	v_ashrrev_i32_e32 v2, 31, v2
	v_and_b32_e32 v52, v52, v53
	;; [unrolled: 8-line block ×5, first 2 shown]
	v_xor_b32_e32 v53, vcc_hi, v2
	v_xor_b32_e32 v2, vcc_lo, v2
	v_and_b32_e32 v5, v5, v2
	v_lshlrev_b32_e32 v2, 24, v3
	v_cmp_gt_i64_e32 vcc, 0, v[1:2]
	v_not_b32_e32 v2, v2
	v_ashrrev_i32_e32 v2, 31, v2
	v_xor_b32_e32 v3, vcc_hi, v2
	v_xor_b32_e32 v2, vcc_lo, v2
	v_and_b32_e32 v52, v52, v53
	v_and_b32_e32 v2, v5, v2
	v_and_b32_e32 v3, v52, v3
	v_mbcnt_lo_u32_b32 v5, v2, 0
	v_mbcnt_hi_u32_b32 v52, v3, v5
	v_cmp_ne_u64_e32 vcc, 0, v[2:3]
	v_cmp_eq_u32_e64 s[26:27], 0, v52
	s_and_b64 s[28:29], vcc, s[26:27]
	v_add_u32_e32 v53, v25, v4
	; wave barrier
	s_and_saveexec_b64 s[26:27], s[28:29]
	s_cbranch_execz .LBB214_20
; %bb.19:                               ;   in Loop: Header=BB214_4 Depth=2
	v_bcnt_u32_b32 v2, v2, 0
	v_bcnt_u32_b32 v2, v3, v2
	s_waitcnt lgkmcnt(0)
	v_add_u32_e32 v2, v51, v2
	ds_write_b32 v53, v2 offset:12
.LBB214_20:                             ;   in Loop: Header=BB214_4 Depth=2
	s_or_b64 exec, exec, s[26:27]
	; wave barrier
	s_waitcnt lgkmcnt(0)
	s_barrier
	ds_read2_b32 v[4:5], v20 offset0:3 offset1:4
	ds_read2_b32 v[2:3], v20 offset0:5 offset1:6
	s_waitcnt lgkmcnt(1)
	v_add_u32_e32 v54, v5, v4
	s_waitcnt lgkmcnt(0)
	v_add3_u32 v3, v54, v2, v3
	s_nop 1
	v_mov_b32_dpp v54, v3 row_shr:1 row_mask:0xf bank_mask:0xf
	v_cndmask_b32_e64 v54, v54, 0, s[0:1]
	v_add_u32_e32 v3, v54, v3
	s_nop 1
	v_mov_b32_dpp v54, v3 row_shr:2 row_mask:0xf bank_mask:0xf
	v_cndmask_b32_e64 v54, 0, v54, s[2:3]
	v_add_u32_e32 v3, v3, v54
	;; [unrolled: 4-line block ×4, first 2 shown]
	s_nop 1
	v_mov_b32_dpp v54, v3 row_bcast:15 row_mask:0xf bank_mask:0xf
	v_cndmask_b32_e64 v54, v54, 0, s[8:9]
	v_add_u32_e32 v3, v3, v54
	s_nop 1
	v_mov_b32_dpp v54, v3 row_bcast:31 row_mask:0xf bank_mask:0xf
	v_cndmask_b32_e64 v54, 0, v54, s[10:11]
	v_add_u32_e32 v3, v3, v54
	s_and_saveexec_b64 s[26:27], s[12:13]
; %bb.21:                               ;   in Loop: Header=BB214_4 Depth=2
	ds_write_b32 v22, v3
; %bb.22:                               ;   in Loop: Header=BB214_4 Depth=2
	s_or_b64 exec, exec, s[26:27]
	s_waitcnt lgkmcnt(0)
	s_barrier
	s_and_saveexec_b64 s[26:27], s[14:15]
	s_cbranch_execz .LBB214_24
; %bb.23:                               ;   in Loop: Header=BB214_4 Depth=2
	v_add_u32_e32 v54, v20, v23
	ds_read_b32 v55, v54
	s_waitcnt lgkmcnt(0)
	s_nop 0
	v_mov_b32_dpp v56, v55 row_shr:1 row_mask:0xf bank_mask:0xf
	v_cndmask_b32_e64 v56, v56, 0, s[22:23]
	v_add_u32_e32 v55, v56, v55
	s_nop 1
	v_mov_b32_dpp v56, v55 row_shr:2 row_mask:0xf bank_mask:0xf
	v_cndmask_b32_e64 v56, 0, v56, s[24:25]
	v_add_u32_e32 v55, v55, v56
	ds_write_b32 v54, v55
.LBB214_24:                             ;   in Loop: Header=BB214_4 Depth=2
	s_or_b64 exec, exec, s[26:27]
	v_mov_b32_e32 v54, 0
	s_waitcnt lgkmcnt(0)
	s_barrier
	s_and_saveexec_b64 s[26:27], s[16:17]
; %bb.25:                               ;   in Loop: Header=BB214_4 Depth=2
	ds_read_b32 v54, v24
; %bb.26:                               ;   in Loop: Header=BB214_4 Depth=2
	s_or_b64 exec, exec, s[26:27]
	s_waitcnt lgkmcnt(0)
	v_add_u32_e32 v3, v54, v3
	ds_bpermute_b32 v3, v21, v3
	v_cmp_lt_u32_e32 vcc, 23, v10
	s_and_b64 vcc, exec, vcc
	s_mov_b64 s[26:27], -1
	s_waitcnt lgkmcnt(0)
	v_cndmask_b32_e64 v3, v3, v54, s[18:19]
	v_cndmask_b32_e64 v3, v3, 0, s[20:21]
	v_add_u32_e32 v4, v3, v4
	v_add_u32_e32 v5, v4, v5
	;; [unrolled: 1-line block ×3, first 2 shown]
	ds_write2_b32 v20, v3, v4 offset0:3 offset1:4
	ds_write2_b32 v20, v5, v2 offset0:5 offset1:6
	s_waitcnt lgkmcnt(0)
	s_barrier
	ds_read_b32 v2, v32 offset:12
	ds_read_b32 v4, v35 offset:12
	;; [unrolled: 1-line block ×3, first 2 shown]
                                        ; implicit-def: $vgpr38
	s_waitcnt lgkmcnt(2)
	v_add_u32_e32 v3, v2, v31
	s_waitcnt lgkmcnt(1)
	v_add3_u32 v2, v34, v33, v4
	ds_read_b32 v31, v41 offset:12
	s_waitcnt lgkmcnt(1)
	v_add3_u32 v4, v37, v36, v5
	ds_read_b32 v5, v44 offset:12
	ds_read_b32 v32, v47 offset:12
	;; [unrolled: 1-line block ×4, first 2 shown]
                                        ; implicit-def: $vgpr41
                                        ; implicit-def: $vgpr37
	s_waitcnt lgkmcnt(3)
	v_add3_u32 v33, v43, v42, v5
	v_add3_u32 v34, v40, v39, v31
	s_waitcnt lgkmcnt(2)
	v_add3_u32 v32, v46, v45, v32
	s_waitcnt lgkmcnt(1)
	v_add3_u32 v31, v49, v48, v35
	s_waitcnt lgkmcnt(0)
	v_add3_u32 v5, v52, v51, v36
                                        ; implicit-def: $vgpr42
                                        ; implicit-def: $vgpr40
                                        ; implicit-def: $vgpr39
                                        ; implicit-def: $vgpr36
                                        ; implicit-def: $vgpr35
	s_cbranch_vccnz .LBB214_3
; %bb.27:                               ;   in Loop: Header=BB214_4 Depth=2
	v_lshrrev_b32_e32 v35, 3, v3
	v_and_b32_e32 v35, 0x1ffffffc, v35
	v_lshl_add_u32 v35, v3, 2, v35
	s_barrier
	ds_write_b32 v35, v30
	v_lshrrev_b32_e32 v35, 3, v2
	v_and_b32_e32 v35, 0x1ffffffc, v35
	v_lshl_add_u32 v35, v2, 2, v35
	ds_write_b32 v35, v29
	v_lshrrev_b32_e32 v35, 3, v4
	v_and_b32_e32 v35, 0x1ffffffc, v35
	v_lshl_add_u32 v35, v4, 2, v35
	ds_write_b32 v35, v28
	v_lshrrev_b32_e32 v35, 3, v34
	v_and_b32_e32 v35, 0x1ffffffc, v35
	v_lshl_add_u32 v35, v34, 2, v35
	ds_write_b32 v35, v27
	v_lshrrev_b32_e32 v35, 3, v33
	v_and_b32_e32 v35, 0x1ffffffc, v35
	v_lshl_add_u32 v35, v33, 2, v35
	ds_write_b32 v35, v9
	v_lshrrev_b32_e32 v35, 3, v32
	v_and_b32_e32 v35, 0x1ffffffc, v35
	v_lshl_add_u32 v35, v32, 2, v35
	ds_write_b32 v35, v8
	v_lshrrev_b32_e32 v35, 3, v31
	v_and_b32_e32 v35, 0x1ffffffc, v35
	v_lshl_add_u32 v35, v31, 2, v35
	ds_write_b32 v35, v7
	v_lshrrev_b32_e32 v35, 3, v5
	v_and_b32_e32 v35, 0x1ffffffc, v35
	v_lshl_add_u32 v35, v5, 2, v35
	ds_write_b32 v35, v6
	s_waitcnt lgkmcnt(0)
	s_barrier
	ds_read_b32 v35, v12
	ds_read_b32 v36, v13 offset:256
	ds_read_b32 v37, v14 offset:512
	;; [unrolled: 1-line block ×7, first 2 shown]
	v_add_u32_e32 v10, 8, v10
	s_mov_b64 s[26:27], 0
	s_waitcnt lgkmcnt(0)
	s_barrier
	s_branch .LBB214_3
.LBB214_28:
	s_add_u32 s0, s30, s36
	s_addc_u32 s1, s31, s37
	v_lshlrev_b32_e32 v0, 2, v0
	v_mov_b32_e32 v1, s1
	v_add_co_u32_e32 v2, vcc, s0, v0
	v_addc_co_u32_e32 v1, vcc, 0, v1, vcc
	global_store_dword v0, v7, s[0:1]
	global_store_dword v0, v8, s[0:1] offset:768
	global_store_dword v0, v9, s[0:1] offset:1536
	;; [unrolled: 1-line block ×5, first 2 shown]
	v_add_co_u32_e32 v0, vcc, 0x1000, v2
	v_addc_co_u32_e32 v1, vcc, 0, v1, vcc
	global_store_dword v[0:1], v5, off offset:512
	global_store_dword v[0:1], v6, off offset:1280
	s_endpgm
	.section	.rodata,"a",@progbits
	.p2align	6, 0x0
	.amdhsa_kernel _Z16sort_keys_kernelI22helper_blocked_stripediLj192ELj8ELj10EEvPKT0_PS1_
		.amdhsa_group_segment_fixed_size 6336
		.amdhsa_private_segment_fixed_size 0
		.amdhsa_kernarg_size 272
		.amdhsa_user_sgpr_count 6
		.amdhsa_user_sgpr_private_segment_buffer 1
		.amdhsa_user_sgpr_dispatch_ptr 0
		.amdhsa_user_sgpr_queue_ptr 0
		.amdhsa_user_sgpr_kernarg_segment_ptr 1
		.amdhsa_user_sgpr_dispatch_id 0
		.amdhsa_user_sgpr_flat_scratch_init 0
		.amdhsa_user_sgpr_private_segment_size 0
		.amdhsa_uses_dynamic_stack 0
		.amdhsa_system_sgpr_private_segment_wavefront_offset 0
		.amdhsa_system_sgpr_workgroup_id_x 1
		.amdhsa_system_sgpr_workgroup_id_y 0
		.amdhsa_system_sgpr_workgroup_id_z 0
		.amdhsa_system_sgpr_workgroup_info 0
		.amdhsa_system_vgpr_workitem_id 2
		.amdhsa_next_free_vgpr 57
		.amdhsa_next_free_sgpr 61
		.amdhsa_reserve_vcc 1
		.amdhsa_reserve_flat_scratch 0
		.amdhsa_float_round_mode_32 0
		.amdhsa_float_round_mode_16_64 0
		.amdhsa_float_denorm_mode_32 3
		.amdhsa_float_denorm_mode_16_64 3
		.amdhsa_dx10_clamp 1
		.amdhsa_ieee_mode 1
		.amdhsa_fp16_overflow 0
		.amdhsa_exception_fp_ieee_invalid_op 0
		.amdhsa_exception_fp_denorm_src 0
		.amdhsa_exception_fp_ieee_div_zero 0
		.amdhsa_exception_fp_ieee_overflow 0
		.amdhsa_exception_fp_ieee_underflow 0
		.amdhsa_exception_fp_ieee_inexact 0
		.amdhsa_exception_int_div_zero 0
	.end_amdhsa_kernel
	.section	.text._Z16sort_keys_kernelI22helper_blocked_stripediLj192ELj8ELj10EEvPKT0_PS1_,"axG",@progbits,_Z16sort_keys_kernelI22helper_blocked_stripediLj192ELj8ELj10EEvPKT0_PS1_,comdat
.Lfunc_end214:
	.size	_Z16sort_keys_kernelI22helper_blocked_stripediLj192ELj8ELj10EEvPKT0_PS1_, .Lfunc_end214-_Z16sort_keys_kernelI22helper_blocked_stripediLj192ELj8ELj10EEvPKT0_PS1_
                                        ; -- End function
	.set _Z16sort_keys_kernelI22helper_blocked_stripediLj192ELj8ELj10EEvPKT0_PS1_.num_vgpr, 57
	.set _Z16sort_keys_kernelI22helper_blocked_stripediLj192ELj8ELj10EEvPKT0_PS1_.num_agpr, 0
	.set _Z16sort_keys_kernelI22helper_blocked_stripediLj192ELj8ELj10EEvPKT0_PS1_.numbered_sgpr, 38
	.set _Z16sort_keys_kernelI22helper_blocked_stripediLj192ELj8ELj10EEvPKT0_PS1_.num_named_barrier, 0
	.set _Z16sort_keys_kernelI22helper_blocked_stripediLj192ELj8ELj10EEvPKT0_PS1_.private_seg_size, 0
	.set _Z16sort_keys_kernelI22helper_blocked_stripediLj192ELj8ELj10EEvPKT0_PS1_.uses_vcc, 1
	.set _Z16sort_keys_kernelI22helper_blocked_stripediLj192ELj8ELj10EEvPKT0_PS1_.uses_flat_scratch, 0
	.set _Z16sort_keys_kernelI22helper_blocked_stripediLj192ELj8ELj10EEvPKT0_PS1_.has_dyn_sized_stack, 0
	.set _Z16sort_keys_kernelI22helper_blocked_stripediLj192ELj8ELj10EEvPKT0_PS1_.has_recursion, 0
	.set _Z16sort_keys_kernelI22helper_blocked_stripediLj192ELj8ELj10EEvPKT0_PS1_.has_indirect_call, 0
	.section	.AMDGPU.csdata,"",@progbits
; Kernel info:
; codeLenInByte = 4944
; TotalNumSgprs: 42
; NumVgprs: 57
; ScratchSize: 0
; MemoryBound: 0
; FloatMode: 240
; IeeeMode: 1
; LDSByteSize: 6336 bytes/workgroup (compile time only)
; SGPRBlocks: 8
; VGPRBlocks: 14
; NumSGPRsForWavesPerEU: 65
; NumVGPRsForWavesPerEU: 57
; Occupancy: 4
; WaveLimiterHint : 1
; COMPUTE_PGM_RSRC2:SCRATCH_EN: 0
; COMPUTE_PGM_RSRC2:USER_SGPR: 6
; COMPUTE_PGM_RSRC2:TRAP_HANDLER: 0
; COMPUTE_PGM_RSRC2:TGID_X_EN: 1
; COMPUTE_PGM_RSRC2:TGID_Y_EN: 0
; COMPUTE_PGM_RSRC2:TGID_Z_EN: 0
; COMPUTE_PGM_RSRC2:TIDIG_COMP_CNT: 2
	.section	.text._Z17sort_pairs_kernelI22helper_blocked_stripediLj192ELj8ELj10EEvPKT0_PS1_,"axG",@progbits,_Z17sort_pairs_kernelI22helper_blocked_stripediLj192ELj8ELj10EEvPKT0_PS1_,comdat
	.protected	_Z17sort_pairs_kernelI22helper_blocked_stripediLj192ELj8ELj10EEvPKT0_PS1_ ; -- Begin function _Z17sort_pairs_kernelI22helper_blocked_stripediLj192ELj8ELj10EEvPKT0_PS1_
	.globl	_Z17sort_pairs_kernelI22helper_blocked_stripediLj192ELj8ELj10EEvPKT0_PS1_
	.p2align	8
	.type	_Z17sort_pairs_kernelI22helper_blocked_stripediLj192ELj8ELj10EEvPKT0_PS1_,@function
_Z17sort_pairs_kernelI22helper_blocked_stripediLj192ELj8ELj10EEvPKT0_PS1_: ; @_Z17sort_pairs_kernelI22helper_blocked_stripediLj192ELj8ELj10EEvPKT0_PS1_
; %bb.0:
	s_load_dwordx4 s[28:31], s[4:5], 0x0
	s_load_dword s20, s[4:5], 0x1c
	s_mul_i32 s36, s6, 0x600
	s_mov_b32 s37, 0
	s_lshl_b64 s[34:35], s[36:37], 2
	s_waitcnt lgkmcnt(0)
	s_add_u32 s0, s28, s34
	s_addc_u32 s1, s29, s35
	v_lshlrev_b32_e32 v11, 5, v0
	global_load_dwordx4 v[7:10], v11, s[0:1]
	global_load_dwordx4 v[3:6], v11, s[0:1] offset:16
	s_lshr_b32 s21, s20, 16
	v_mbcnt_lo_u32_b32 v11, -1, 0
	s_and_b32 s20, s20, 0xffff
	v_mad_u32_u24 v1, v2, s21, v1
	s_movk_i32 s0, 0x600
	v_lshlrev_b32_e32 v12, 3, v0
	v_mbcnt_hi_u32_b32 v11, -1, v11
	v_and_b32_e32 v13, 0xc0, v0
	v_mad_u64_u32 v[1:2], s[20:21], v1, s20, v[0:1]
	v_add_u32_e32 v14, v11, v13
	v_and_or_b32 v12, v12, s0, v11
	v_and_b32_e32 v15, 15, v11
	v_and_b32_e32 v16, 16, v11
	v_subrev_co_u32_e64 v17, s[2:3], 1, v11
	v_and_b32_e32 v18, 64, v11
	v_min_u32_e32 v13, 0x80, v13
	v_and_b32_e32 v19, 3, v11
	v_and_b32_e32 v20, 0x1fc, v14
	v_lshrrev_b32_e32 v21, 3, v12
	v_lshlrev_b32_e32 v27, 2, v12
	v_add_u32_e32 v22, 64, v12
	v_or_b32_e32 v23, 0x80, v12
	v_add_u32_e32 v24, 0xc0, v12
	v_or_b32_e32 v25, 0x100, v12
	v_cmp_eq_u32_e64 s[4:5], 0, v15
	v_cmp_lt_u32_e64 s[6:7], 1, v15
	v_cmp_lt_u32_e64 s[8:9], 3, v15
	;; [unrolled: 1-line block ×3, first 2 shown]
	v_add_u32_e32 v15, 0x140, v12
	v_cmp_eq_u32_e64 s[12:13], 0, v16
	v_or_b32_e32 v16, 0x180, v12
	v_add_u32_e32 v12, 0x1c0, v12
	v_cmp_lt_i32_e32 vcc, v17, v18
	v_cmp_lt_u32_e64 s[0:1], 31, v11
	v_or_b32_e32 v13, 63, v13
	v_cndmask_b32_e32 v28, v17, v11, vcc
	v_cmp_eq_u32_e64 s[14:15], 0, v19
	v_cmp_lt_u32_e64 s[16:17], 1, v19
	v_lshl_add_u32 v19, v14, 5, v20
	v_and_b32_e32 v11, 0xcc, v21
	v_lshrrev_b32_e32 v14, 3, v22
	v_lshrrev_b32_e32 v17, 3, v23
	;; [unrolled: 1-line block ×7, first 2 shown]
	v_cmp_eq_u32_e64 s[18:19], v0, v13
	v_add_u32_e32 v20, v11, v27
	v_and_b32_e32 v11, 0xdc, v14
	v_and_b32_e32 v13, 0xdc, v17
	;; [unrolled: 1-line block ×7, first 2 shown]
	v_lshrrev_b32_e32 v1, 4, v1
	v_lshrrev_b32_e32 v2, 4, v0
	v_add_u32_e32 v21, v11, v27
	v_add_u32_e32 v22, v13, v27
	;; [unrolled: 1-line block ×7, first 2 shown]
	v_cmp_gt_u32_e64 s[20:21], 3, v0
	v_cmp_lt_u32_e64 s[22:23], 63, v0
	v_lshlrev_b32_e32 v28, 2, v28
	v_cmp_eq_u32_e64 s[24:25], 0, v0
	v_and_b32_e32 v29, 12, v2
	v_and_b32_e32 v30, 0xffffffc, v1
	v_lshlrev_b32_e32 v31, 4, v0
	v_mul_i32_i24_e32 v32, -12, v0
	v_mov_b32_e32 v1, 0
	s_waitcnt vmcnt(1)
	v_add_u32_e32 v11, 1, v7
	v_add_u32_e32 v12, 1, v8
	;; [unrolled: 1-line block ×4, first 2 shown]
	s_waitcnt vmcnt(0)
	v_add_u32_e32 v15, 1, v3
	v_add_u32_e32 v16, 1, v4
	;; [unrolled: 1-line block ×4, first 2 shown]
	s_branch .LBB215_2
.LBB215_1:                              ;   in Loop: Header=BB215_2 Depth=1
	v_lshlrev_b32_e32 v14, 2, v3
	v_lshlrev_b32_e32 v41, 2, v2
	;; [unrolled: 1-line block ×5, first 2 shown]
	s_barrier
	ds_write_b32 v14, v36
	ds_write_b32 v41, v35
	;; [unrolled: 1-line block ×5, first 2 shown]
	v_lshlrev_b32_e32 v18, 2, v38
	ds_write_b32 v18, v17
	v_lshlrev_b32_e32 v17, 2, v37
	ds_write_b32 v17, v16
	v_lshlrev_b32_e32 v16, 2, v5
	v_add_u32_e32 v37, v31, v32
	ds_write_b32 v16, v12
	s_waitcnt lgkmcnt(0)
	s_barrier
	ds_read2st64_b32 v[2:3], v37 offset1:3
	ds_read2st64_b32 v[4:5], v37 offset0:6 offset1:9
	ds_read2st64_b32 v[33:34], v37 offset0:12 offset1:15
	;; [unrolled: 1-line block ×3, first 2 shown]
	s_waitcnt lgkmcnt(0)
	s_barrier
	ds_write_b32 v14, v15
	ds_write_b32 v41, v13
	;; [unrolled: 1-line block ×8, first 2 shown]
	s_waitcnt lgkmcnt(0)
	s_barrier
	ds_read2st64_b32 v[11:12], v37 offset1:3
	ds_read2st64_b32 v[13:14], v37 offset0:6 offset1:9
	ds_read2st64_b32 v[15:16], v37 offset0:12 offset1:15
	;; [unrolled: 1-line block ×3, first 2 shown]
	s_add_i32 s37, s37, 1
	v_xor_b32_e32 v7, 0x80000000, v2
	v_xor_b32_e32 v8, 0x80000000, v3
	;; [unrolled: 1-line block ×7, first 2 shown]
	s_cmp_eq_u32 s37, 10
	v_xor_b32_e32 v6, 0x80000000, v36
	s_cbranch_scc1 .LBB215_28
.LBB215_2:                              ; =>This Loop Header: Depth=1
                                        ;     Child Loop BB215_4 Depth 2
	v_xor_b32_e32 v2, 0x80000000, v7
	v_xor_b32_e32 v7, 0x80000000, v8
	;; [unrolled: 1-line block ×8, first 2 shown]
	ds_write2_b32 v19, v2, v7 offset1:1
	ds_write2_b32 v19, v8, v9 offset0:2 offset1:3
	ds_write2_b32 v19, v3, v4 offset0:4 offset1:5
	;; [unrolled: 1-line block ×3, first 2 shown]
	; wave barrier
	ds_read_b32 v41, v20
	ds_read_b32 v42, v21 offset:256
	ds_read_b32 v43, v22 offset:512
	;; [unrolled: 1-line block ×7, first 2 shown]
	; wave barrier
	s_waitcnt lgkmcnt(14)
	ds_write2_b32 v19, v11, v12 offset1:1
	ds_write2_b32 v19, v13, v14 offset0:2 offset1:3
	s_waitcnt lgkmcnt(14)
	ds_write2_b32 v19, v15, v16 offset0:4 offset1:5
	ds_write2_b32 v19, v17, v18 offset0:6 offset1:7
	; wave barrier
	ds_read_b32 v49, v20
	ds_read_b32 v50, v21 offset:256
	ds_read_b32 v51, v22 offset:512
	;; [unrolled: 1-line block ×7, first 2 shown]
	v_mov_b32_e32 v14, v1
	s_waitcnt lgkmcnt(0)
	s_barrier
	s_branch .LBB215_4
.LBB215_3:                              ;   in Loop: Header=BB215_4 Depth=2
	s_andn2_b64 vcc, exec, s[26:27]
	s_cbranch_vccz .LBB215_1
.LBB215_4:                              ;   Parent Loop BB215_2 Depth=1
                                        ; =>  This Inner Loop Header: Depth=2
	v_mov_b32_e32 v36, v41
	v_lshrrev_b32_e32 v3, v14, v36
	v_mov_b32_e32 v2, 12
	v_mul_u32_u24_sdwa v4, v3, v2 dst_sel:DWORD dst_unused:UNUSED_PAD src0_sel:BYTE_0 src1_sel:DWORD
	v_and_b32_e32 v2, 1, v3
	v_add_co_u32_e32 v5, vcc, -1, v2
	v_addc_co_u32_e64 v37, s[26:27], 0, -1, vcc
	v_cmp_ne_u32_e32 vcc, 0, v2
	v_xor_b32_e32 v2, vcc_hi, v37
	v_and_b32_e32 v37, exec_hi, v2
	v_lshlrev_b32_e32 v2, 30, v3
	v_xor_b32_e32 v5, vcc_lo, v5
	v_cmp_gt_i64_e32 vcc, 0, v[1:2]
	v_not_b32_e32 v2, v2
	v_ashrrev_i32_e32 v2, 31, v2
	v_and_b32_e32 v5, exec_lo, v5
	v_xor_b32_e32 v38, vcc_hi, v2
	v_xor_b32_e32 v2, vcc_lo, v2
	v_and_b32_e32 v5, v5, v2
	v_lshlrev_b32_e32 v2, 29, v3
	v_cmp_gt_i64_e32 vcc, 0, v[1:2]
	v_not_b32_e32 v2, v2
	v_ashrrev_i32_e32 v2, 31, v2
	v_and_b32_e32 v37, v37, v38
	v_xor_b32_e32 v38, vcc_hi, v2
	v_xor_b32_e32 v2, vcc_lo, v2
	v_and_b32_e32 v5, v5, v2
	v_lshlrev_b32_e32 v2, 28, v3
	v_cmp_gt_i64_e32 vcc, 0, v[1:2]
	v_not_b32_e32 v2, v2
	v_ashrrev_i32_e32 v2, 31, v2
	v_and_b32_e32 v37, v37, v38
	v_xor_b32_e32 v38, vcc_hi, v2
	v_xor_b32_e32 v2, vcc_lo, v2
	v_and_b32_e32 v5, v5, v2
	v_lshlrev_b32_e32 v2, 27, v3
	v_cmp_gt_i64_e32 vcc, 0, v[1:2]
	v_not_b32_e32 v2, v2
	v_ashrrev_i32_e32 v2, 31, v2
	v_and_b32_e32 v37, v37, v38
	v_xor_b32_e32 v38, vcc_hi, v2
	v_xor_b32_e32 v2, vcc_lo, v2
	v_and_b32_e32 v5, v5, v2
	v_lshlrev_b32_e32 v2, 26, v3
	v_cmp_gt_i64_e32 vcc, 0, v[1:2]
	v_not_b32_e32 v2, v2
	v_ashrrev_i32_e32 v2, 31, v2
	v_and_b32_e32 v37, v37, v38
	v_xor_b32_e32 v38, vcc_hi, v2
	v_xor_b32_e32 v2, vcc_lo, v2
	v_and_b32_e32 v5, v5, v2
	v_lshlrev_b32_e32 v2, 25, v3
	v_cmp_gt_i64_e32 vcc, 0, v[1:2]
	v_not_b32_e32 v2, v2
	v_ashrrev_i32_e32 v2, 31, v2
	v_and_b32_e32 v37, v37, v38
	v_xor_b32_e32 v38, vcc_hi, v2
	v_xor_b32_e32 v2, vcc_lo, v2
	v_and_b32_e32 v5, v5, v2
	v_lshlrev_b32_e32 v2, 24, v3
	v_cmp_gt_i64_e32 vcc, 0, v[1:2]
	v_not_b32_e32 v2, v2
	v_ashrrev_i32_e32 v2, 31, v2
	v_xor_b32_e32 v3, vcc_hi, v2
	v_xor_b32_e32 v2, vcc_lo, v2
	v_and_b32_e32 v37, v37, v38
	v_and_b32_e32 v2, v5, v2
	;; [unrolled: 1-line block ×3, first 2 shown]
	v_mbcnt_lo_u32_b32 v5, v2, 0
	v_mbcnt_hi_u32_b32 v37, v3, v5
	v_cmp_ne_u64_e32 vcc, 0, v[2:3]
	v_cmp_eq_u32_e64 s[26:27], 0, v37
	v_mov_b32_e32 v12, v48
	v_mov_b32_e32 v16, v47
	;; [unrolled: 1-line block ×15, first 2 shown]
	s_and_b64 s[28:29], vcc, s[26:27]
	v_add_u32_e32 v38, v30, v4
	ds_write2_b32 v31, v1, v1 offset0:3 offset1:4
	ds_write2_b32 v31, v1, v1 offset0:5 offset1:6
	s_waitcnt lgkmcnt(0)
	s_barrier
	; wave barrier
	s_and_saveexec_b64 s[26:27], s[28:29]
; %bb.5:                                ;   in Loop: Header=BB215_4 Depth=2
	v_bcnt_u32_b32 v2, v2, 0
	v_bcnt_u32_b32 v2, v3, v2
	ds_write_b32 v38, v2 offset:12
; %bb.6:                                ;   in Loop: Header=BB215_4 Depth=2
	s_or_b64 exec, exec, s[26:27]
	v_lshrrev_b32_e32 v3, v14, v35
	v_and_b32_e32 v2, 0xff, v3
	v_mul_u32_u24_e32 v4, 12, v2
	v_mad_u32_u24 v2, v2, 12, v30
	; wave barrier
	ds_read_b32 v39, v2 offset:12
	v_and_b32_e32 v2, 1, v3
	v_add_co_u32_e32 v5, vcc, -1, v2
	v_addc_co_u32_e64 v40, s[26:27], 0, -1, vcc
	v_cmp_ne_u32_e32 vcc, 0, v2
	v_xor_b32_e32 v2, vcc_hi, v40
	v_and_b32_e32 v40, exec_hi, v2
	v_lshlrev_b32_e32 v2, 30, v3
	v_xor_b32_e32 v5, vcc_lo, v5
	v_cmp_gt_i64_e32 vcc, 0, v[1:2]
	v_not_b32_e32 v2, v2
	v_ashrrev_i32_e32 v2, 31, v2
	v_and_b32_e32 v5, exec_lo, v5
	v_xor_b32_e32 v41, vcc_hi, v2
	v_xor_b32_e32 v2, vcc_lo, v2
	v_and_b32_e32 v5, v5, v2
	v_lshlrev_b32_e32 v2, 29, v3
	v_cmp_gt_i64_e32 vcc, 0, v[1:2]
	v_not_b32_e32 v2, v2
	v_ashrrev_i32_e32 v2, 31, v2
	v_and_b32_e32 v40, v40, v41
	v_xor_b32_e32 v41, vcc_hi, v2
	v_xor_b32_e32 v2, vcc_lo, v2
	v_and_b32_e32 v5, v5, v2
	v_lshlrev_b32_e32 v2, 28, v3
	v_cmp_gt_i64_e32 vcc, 0, v[1:2]
	v_not_b32_e32 v2, v2
	v_ashrrev_i32_e32 v2, 31, v2
	v_and_b32_e32 v40, v40, v41
	;; [unrolled: 8-line block ×5, first 2 shown]
	v_xor_b32_e32 v41, vcc_hi, v2
	v_xor_b32_e32 v2, vcc_lo, v2
	v_and_b32_e32 v5, v5, v2
	v_lshlrev_b32_e32 v2, 24, v3
	v_cmp_gt_i64_e32 vcc, 0, v[1:2]
	v_not_b32_e32 v2, v2
	v_ashrrev_i32_e32 v2, 31, v2
	v_xor_b32_e32 v3, vcc_hi, v2
	v_xor_b32_e32 v2, vcc_lo, v2
	v_and_b32_e32 v40, v40, v41
	v_and_b32_e32 v2, v5, v2
	;; [unrolled: 1-line block ×3, first 2 shown]
	v_mbcnt_lo_u32_b32 v5, v2, 0
	v_mbcnt_hi_u32_b32 v40, v3, v5
	v_cmp_ne_u64_e32 vcc, 0, v[2:3]
	v_cmp_eq_u32_e64 s[26:27], 0, v40
	s_and_b64 s[28:29], vcc, s[26:27]
	v_add_u32_e32 v41, v30, v4
	; wave barrier
	s_and_saveexec_b64 s[26:27], s[28:29]
	s_cbranch_execz .LBB215_8
; %bb.7:                                ;   in Loop: Header=BB215_4 Depth=2
	v_bcnt_u32_b32 v2, v2, 0
	v_bcnt_u32_b32 v2, v3, v2
	s_waitcnt lgkmcnt(0)
	v_add_u32_e32 v2, v39, v2
	ds_write_b32 v41, v2 offset:12
.LBB215_8:                              ;   in Loop: Header=BB215_4 Depth=2
	s_or_b64 exec, exec, s[26:27]
	v_lshrrev_b32_e32 v3, v14, v34
	v_and_b32_e32 v2, 0xff, v3
	v_mul_u32_u24_e32 v4, 12, v2
	v_mad_u32_u24 v2, v2, 12, v30
	; wave barrier
	ds_read_b32 v42, v2 offset:12
	v_and_b32_e32 v2, 1, v3
	v_add_co_u32_e32 v5, vcc, -1, v2
	v_addc_co_u32_e64 v43, s[26:27], 0, -1, vcc
	v_cmp_ne_u32_e32 vcc, 0, v2
	v_xor_b32_e32 v2, vcc_hi, v43
	v_and_b32_e32 v43, exec_hi, v2
	v_lshlrev_b32_e32 v2, 30, v3
	v_xor_b32_e32 v5, vcc_lo, v5
	v_cmp_gt_i64_e32 vcc, 0, v[1:2]
	v_not_b32_e32 v2, v2
	v_ashrrev_i32_e32 v2, 31, v2
	v_and_b32_e32 v5, exec_lo, v5
	v_xor_b32_e32 v44, vcc_hi, v2
	v_xor_b32_e32 v2, vcc_lo, v2
	v_and_b32_e32 v5, v5, v2
	v_lshlrev_b32_e32 v2, 29, v3
	v_cmp_gt_i64_e32 vcc, 0, v[1:2]
	v_not_b32_e32 v2, v2
	v_ashrrev_i32_e32 v2, 31, v2
	v_and_b32_e32 v43, v43, v44
	v_xor_b32_e32 v44, vcc_hi, v2
	v_xor_b32_e32 v2, vcc_lo, v2
	v_and_b32_e32 v5, v5, v2
	v_lshlrev_b32_e32 v2, 28, v3
	v_cmp_gt_i64_e32 vcc, 0, v[1:2]
	v_not_b32_e32 v2, v2
	v_ashrrev_i32_e32 v2, 31, v2
	v_and_b32_e32 v43, v43, v44
	;; [unrolled: 8-line block ×5, first 2 shown]
	v_xor_b32_e32 v44, vcc_hi, v2
	v_xor_b32_e32 v2, vcc_lo, v2
	v_and_b32_e32 v5, v5, v2
	v_lshlrev_b32_e32 v2, 24, v3
	v_cmp_gt_i64_e32 vcc, 0, v[1:2]
	v_not_b32_e32 v2, v2
	v_ashrrev_i32_e32 v2, 31, v2
	v_xor_b32_e32 v3, vcc_hi, v2
	v_xor_b32_e32 v2, vcc_lo, v2
	v_and_b32_e32 v43, v43, v44
	v_and_b32_e32 v2, v5, v2
	;; [unrolled: 1-line block ×3, first 2 shown]
	v_mbcnt_lo_u32_b32 v5, v2, 0
	v_mbcnt_hi_u32_b32 v43, v3, v5
	v_cmp_ne_u64_e32 vcc, 0, v[2:3]
	v_cmp_eq_u32_e64 s[26:27], 0, v43
	s_and_b64 s[28:29], vcc, s[26:27]
	v_add_u32_e32 v44, v30, v4
	; wave barrier
	s_and_saveexec_b64 s[26:27], s[28:29]
	s_cbranch_execz .LBB215_10
; %bb.9:                                ;   in Loop: Header=BB215_4 Depth=2
	v_bcnt_u32_b32 v2, v2, 0
	v_bcnt_u32_b32 v2, v3, v2
	s_waitcnt lgkmcnt(0)
	v_add_u32_e32 v2, v42, v2
	ds_write_b32 v44, v2 offset:12
.LBB215_10:                             ;   in Loop: Header=BB215_4 Depth=2
	s_or_b64 exec, exec, s[26:27]
	v_lshrrev_b32_e32 v3, v14, v33
	v_and_b32_e32 v2, 0xff, v3
	v_mul_u32_u24_e32 v4, 12, v2
	v_mad_u32_u24 v2, v2, 12, v30
	; wave barrier
	ds_read_b32 v45, v2 offset:12
	v_and_b32_e32 v2, 1, v3
	v_add_co_u32_e32 v5, vcc, -1, v2
	v_addc_co_u32_e64 v46, s[26:27], 0, -1, vcc
	v_cmp_ne_u32_e32 vcc, 0, v2
	v_xor_b32_e32 v2, vcc_hi, v46
	v_and_b32_e32 v46, exec_hi, v2
	v_lshlrev_b32_e32 v2, 30, v3
	v_xor_b32_e32 v5, vcc_lo, v5
	v_cmp_gt_i64_e32 vcc, 0, v[1:2]
	v_not_b32_e32 v2, v2
	v_ashrrev_i32_e32 v2, 31, v2
	v_and_b32_e32 v5, exec_lo, v5
	v_xor_b32_e32 v47, vcc_hi, v2
	v_xor_b32_e32 v2, vcc_lo, v2
	v_and_b32_e32 v5, v5, v2
	v_lshlrev_b32_e32 v2, 29, v3
	v_cmp_gt_i64_e32 vcc, 0, v[1:2]
	v_not_b32_e32 v2, v2
	v_ashrrev_i32_e32 v2, 31, v2
	v_and_b32_e32 v46, v46, v47
	v_xor_b32_e32 v47, vcc_hi, v2
	v_xor_b32_e32 v2, vcc_lo, v2
	v_and_b32_e32 v5, v5, v2
	v_lshlrev_b32_e32 v2, 28, v3
	v_cmp_gt_i64_e32 vcc, 0, v[1:2]
	v_not_b32_e32 v2, v2
	v_ashrrev_i32_e32 v2, 31, v2
	v_and_b32_e32 v46, v46, v47
	;; [unrolled: 8-line block ×5, first 2 shown]
	v_xor_b32_e32 v47, vcc_hi, v2
	v_xor_b32_e32 v2, vcc_lo, v2
	v_and_b32_e32 v5, v5, v2
	v_lshlrev_b32_e32 v2, 24, v3
	v_cmp_gt_i64_e32 vcc, 0, v[1:2]
	v_not_b32_e32 v2, v2
	v_ashrrev_i32_e32 v2, 31, v2
	v_xor_b32_e32 v3, vcc_hi, v2
	v_xor_b32_e32 v2, vcc_lo, v2
	v_and_b32_e32 v46, v46, v47
	v_and_b32_e32 v2, v5, v2
	;; [unrolled: 1-line block ×3, first 2 shown]
	v_mbcnt_lo_u32_b32 v5, v2, 0
	v_mbcnt_hi_u32_b32 v46, v3, v5
	v_cmp_ne_u64_e32 vcc, 0, v[2:3]
	v_cmp_eq_u32_e64 s[26:27], 0, v46
	s_and_b64 s[28:29], vcc, s[26:27]
	v_add_u32_e32 v47, v30, v4
	; wave barrier
	s_and_saveexec_b64 s[26:27], s[28:29]
	s_cbranch_execz .LBB215_12
; %bb.11:                               ;   in Loop: Header=BB215_4 Depth=2
	v_bcnt_u32_b32 v2, v2, 0
	v_bcnt_u32_b32 v2, v3, v2
	s_waitcnt lgkmcnt(0)
	v_add_u32_e32 v2, v45, v2
	ds_write_b32 v47, v2 offset:12
.LBB215_12:                             ;   in Loop: Header=BB215_4 Depth=2
	s_or_b64 exec, exec, s[26:27]
	v_lshrrev_b32_e32 v3, v14, v18
	v_and_b32_e32 v2, 0xff, v3
	v_mul_u32_u24_e32 v4, 12, v2
	v_mad_u32_u24 v2, v2, 12, v30
	; wave barrier
	ds_read_b32 v48, v2 offset:12
	v_and_b32_e32 v2, 1, v3
	v_add_co_u32_e32 v5, vcc, -1, v2
	v_addc_co_u32_e64 v49, s[26:27], 0, -1, vcc
	v_cmp_ne_u32_e32 vcc, 0, v2
	v_xor_b32_e32 v2, vcc_hi, v49
	v_and_b32_e32 v49, exec_hi, v2
	v_lshlrev_b32_e32 v2, 30, v3
	v_xor_b32_e32 v5, vcc_lo, v5
	v_cmp_gt_i64_e32 vcc, 0, v[1:2]
	v_not_b32_e32 v2, v2
	v_ashrrev_i32_e32 v2, 31, v2
	v_and_b32_e32 v5, exec_lo, v5
	v_xor_b32_e32 v50, vcc_hi, v2
	v_xor_b32_e32 v2, vcc_lo, v2
	v_and_b32_e32 v5, v5, v2
	v_lshlrev_b32_e32 v2, 29, v3
	v_cmp_gt_i64_e32 vcc, 0, v[1:2]
	v_not_b32_e32 v2, v2
	v_ashrrev_i32_e32 v2, 31, v2
	v_and_b32_e32 v49, v49, v50
	v_xor_b32_e32 v50, vcc_hi, v2
	v_xor_b32_e32 v2, vcc_lo, v2
	v_and_b32_e32 v5, v5, v2
	v_lshlrev_b32_e32 v2, 28, v3
	v_cmp_gt_i64_e32 vcc, 0, v[1:2]
	v_not_b32_e32 v2, v2
	v_ashrrev_i32_e32 v2, 31, v2
	v_and_b32_e32 v49, v49, v50
	;; [unrolled: 8-line block ×5, first 2 shown]
	v_xor_b32_e32 v50, vcc_hi, v2
	v_xor_b32_e32 v2, vcc_lo, v2
	v_and_b32_e32 v5, v5, v2
	v_lshlrev_b32_e32 v2, 24, v3
	v_cmp_gt_i64_e32 vcc, 0, v[1:2]
	v_not_b32_e32 v2, v2
	v_ashrrev_i32_e32 v2, 31, v2
	v_xor_b32_e32 v3, vcc_hi, v2
	v_xor_b32_e32 v2, vcc_lo, v2
	v_and_b32_e32 v49, v49, v50
	v_and_b32_e32 v2, v5, v2
	v_and_b32_e32 v3, v49, v3
	v_mbcnt_lo_u32_b32 v5, v2, 0
	v_mbcnt_hi_u32_b32 v49, v3, v5
	v_cmp_ne_u64_e32 vcc, 0, v[2:3]
	v_cmp_eq_u32_e64 s[26:27], 0, v49
	s_and_b64 s[28:29], vcc, s[26:27]
	v_add_u32_e32 v50, v30, v4
	; wave barrier
	s_and_saveexec_b64 s[26:27], s[28:29]
	s_cbranch_execz .LBB215_14
; %bb.13:                               ;   in Loop: Header=BB215_4 Depth=2
	v_bcnt_u32_b32 v2, v2, 0
	v_bcnt_u32_b32 v2, v3, v2
	s_waitcnt lgkmcnt(0)
	v_add_u32_e32 v2, v48, v2
	ds_write_b32 v50, v2 offset:12
.LBB215_14:                             ;   in Loop: Header=BB215_4 Depth=2
	s_or_b64 exec, exec, s[26:27]
	v_lshrrev_b32_e32 v3, v14, v17
	v_and_b32_e32 v2, 0xff, v3
	v_mul_u32_u24_e32 v4, 12, v2
	v_mad_u32_u24 v2, v2, 12, v30
	; wave barrier
	ds_read_b32 v51, v2 offset:12
	v_and_b32_e32 v2, 1, v3
	v_add_co_u32_e32 v5, vcc, -1, v2
	v_addc_co_u32_e64 v52, s[26:27], 0, -1, vcc
	v_cmp_ne_u32_e32 vcc, 0, v2
	v_xor_b32_e32 v2, vcc_hi, v52
	v_and_b32_e32 v52, exec_hi, v2
	v_lshlrev_b32_e32 v2, 30, v3
	v_xor_b32_e32 v5, vcc_lo, v5
	v_cmp_gt_i64_e32 vcc, 0, v[1:2]
	v_not_b32_e32 v2, v2
	v_ashrrev_i32_e32 v2, 31, v2
	v_and_b32_e32 v5, exec_lo, v5
	v_xor_b32_e32 v53, vcc_hi, v2
	v_xor_b32_e32 v2, vcc_lo, v2
	v_and_b32_e32 v5, v5, v2
	v_lshlrev_b32_e32 v2, 29, v3
	v_cmp_gt_i64_e32 vcc, 0, v[1:2]
	v_not_b32_e32 v2, v2
	v_ashrrev_i32_e32 v2, 31, v2
	v_and_b32_e32 v52, v52, v53
	v_xor_b32_e32 v53, vcc_hi, v2
	v_xor_b32_e32 v2, vcc_lo, v2
	v_and_b32_e32 v5, v5, v2
	v_lshlrev_b32_e32 v2, 28, v3
	v_cmp_gt_i64_e32 vcc, 0, v[1:2]
	v_not_b32_e32 v2, v2
	v_ashrrev_i32_e32 v2, 31, v2
	v_and_b32_e32 v52, v52, v53
	;; [unrolled: 8-line block ×5, first 2 shown]
	v_xor_b32_e32 v53, vcc_hi, v2
	v_xor_b32_e32 v2, vcc_lo, v2
	v_and_b32_e32 v5, v5, v2
	v_lshlrev_b32_e32 v2, 24, v3
	v_cmp_gt_i64_e32 vcc, 0, v[1:2]
	v_not_b32_e32 v2, v2
	v_ashrrev_i32_e32 v2, 31, v2
	v_xor_b32_e32 v3, vcc_hi, v2
	v_xor_b32_e32 v2, vcc_lo, v2
	v_and_b32_e32 v52, v52, v53
	v_and_b32_e32 v2, v5, v2
	;; [unrolled: 1-line block ×3, first 2 shown]
	v_mbcnt_lo_u32_b32 v5, v2, 0
	v_mbcnt_hi_u32_b32 v52, v3, v5
	v_cmp_ne_u64_e32 vcc, 0, v[2:3]
	v_cmp_eq_u32_e64 s[26:27], 0, v52
	s_and_b64 s[28:29], vcc, s[26:27]
	v_add_u32_e32 v53, v30, v4
	; wave barrier
	s_and_saveexec_b64 s[26:27], s[28:29]
	s_cbranch_execz .LBB215_16
; %bb.15:                               ;   in Loop: Header=BB215_4 Depth=2
	v_bcnt_u32_b32 v2, v2, 0
	v_bcnt_u32_b32 v2, v3, v2
	s_waitcnt lgkmcnt(0)
	v_add_u32_e32 v2, v51, v2
	ds_write_b32 v53, v2 offset:12
.LBB215_16:                             ;   in Loop: Header=BB215_4 Depth=2
	s_or_b64 exec, exec, s[26:27]
	v_lshrrev_b32_e32 v3, v14, v16
	v_and_b32_e32 v2, 0xff, v3
	v_mul_u32_u24_e32 v4, 12, v2
	v_mad_u32_u24 v2, v2, 12, v30
	; wave barrier
	ds_read_b32 v54, v2 offset:12
	v_and_b32_e32 v2, 1, v3
	v_add_co_u32_e32 v5, vcc, -1, v2
	v_addc_co_u32_e64 v55, s[26:27], 0, -1, vcc
	v_cmp_ne_u32_e32 vcc, 0, v2
	v_xor_b32_e32 v2, vcc_hi, v55
	v_and_b32_e32 v55, exec_hi, v2
	v_lshlrev_b32_e32 v2, 30, v3
	v_xor_b32_e32 v5, vcc_lo, v5
	v_cmp_gt_i64_e32 vcc, 0, v[1:2]
	v_not_b32_e32 v2, v2
	v_ashrrev_i32_e32 v2, 31, v2
	v_and_b32_e32 v5, exec_lo, v5
	v_xor_b32_e32 v56, vcc_hi, v2
	v_xor_b32_e32 v2, vcc_lo, v2
	v_and_b32_e32 v5, v5, v2
	v_lshlrev_b32_e32 v2, 29, v3
	v_cmp_gt_i64_e32 vcc, 0, v[1:2]
	v_not_b32_e32 v2, v2
	v_ashrrev_i32_e32 v2, 31, v2
	v_and_b32_e32 v55, v55, v56
	v_xor_b32_e32 v56, vcc_hi, v2
	v_xor_b32_e32 v2, vcc_lo, v2
	v_and_b32_e32 v5, v5, v2
	v_lshlrev_b32_e32 v2, 28, v3
	v_cmp_gt_i64_e32 vcc, 0, v[1:2]
	v_not_b32_e32 v2, v2
	v_ashrrev_i32_e32 v2, 31, v2
	v_and_b32_e32 v55, v55, v56
	;; [unrolled: 8-line block ×5, first 2 shown]
	v_xor_b32_e32 v56, vcc_hi, v2
	v_xor_b32_e32 v2, vcc_lo, v2
	v_and_b32_e32 v5, v5, v2
	v_lshlrev_b32_e32 v2, 24, v3
	v_cmp_gt_i64_e32 vcc, 0, v[1:2]
	v_not_b32_e32 v2, v2
	v_ashrrev_i32_e32 v2, 31, v2
	v_xor_b32_e32 v3, vcc_hi, v2
	v_xor_b32_e32 v2, vcc_lo, v2
	v_and_b32_e32 v55, v55, v56
	v_and_b32_e32 v2, v5, v2
	;; [unrolled: 1-line block ×3, first 2 shown]
	v_mbcnt_lo_u32_b32 v5, v2, 0
	v_mbcnt_hi_u32_b32 v55, v3, v5
	v_cmp_ne_u64_e32 vcc, 0, v[2:3]
	v_cmp_eq_u32_e64 s[26:27], 0, v55
	s_and_b64 s[28:29], vcc, s[26:27]
	v_add_u32_e32 v56, v30, v4
	; wave barrier
	s_and_saveexec_b64 s[26:27], s[28:29]
	s_cbranch_execz .LBB215_18
; %bb.17:                               ;   in Loop: Header=BB215_4 Depth=2
	v_bcnt_u32_b32 v2, v2, 0
	v_bcnt_u32_b32 v2, v3, v2
	s_waitcnt lgkmcnt(0)
	v_add_u32_e32 v2, v54, v2
	ds_write_b32 v56, v2 offset:12
.LBB215_18:                             ;   in Loop: Header=BB215_4 Depth=2
	s_or_b64 exec, exec, s[26:27]
	v_lshrrev_b32_e32 v3, v14, v12
	v_and_b32_e32 v2, 0xff, v3
	v_mul_u32_u24_e32 v4, 12, v2
	v_mad_u32_u24 v2, v2, 12, v30
	; wave barrier
	ds_read_b32 v57, v2 offset:12
	v_and_b32_e32 v2, 1, v3
	v_add_co_u32_e32 v5, vcc, -1, v2
	v_addc_co_u32_e64 v58, s[26:27], 0, -1, vcc
	v_cmp_ne_u32_e32 vcc, 0, v2
	v_xor_b32_e32 v2, vcc_hi, v58
	v_and_b32_e32 v58, exec_hi, v2
	v_lshlrev_b32_e32 v2, 30, v3
	v_xor_b32_e32 v5, vcc_lo, v5
	v_cmp_gt_i64_e32 vcc, 0, v[1:2]
	v_not_b32_e32 v2, v2
	v_ashrrev_i32_e32 v2, 31, v2
	v_and_b32_e32 v5, exec_lo, v5
	v_xor_b32_e32 v59, vcc_hi, v2
	v_xor_b32_e32 v2, vcc_lo, v2
	v_and_b32_e32 v5, v5, v2
	v_lshlrev_b32_e32 v2, 29, v3
	v_cmp_gt_i64_e32 vcc, 0, v[1:2]
	v_not_b32_e32 v2, v2
	v_ashrrev_i32_e32 v2, 31, v2
	v_and_b32_e32 v58, v58, v59
	v_xor_b32_e32 v59, vcc_hi, v2
	v_xor_b32_e32 v2, vcc_lo, v2
	v_and_b32_e32 v5, v5, v2
	v_lshlrev_b32_e32 v2, 28, v3
	v_cmp_gt_i64_e32 vcc, 0, v[1:2]
	v_not_b32_e32 v2, v2
	v_ashrrev_i32_e32 v2, 31, v2
	v_and_b32_e32 v58, v58, v59
	;; [unrolled: 8-line block ×5, first 2 shown]
	v_xor_b32_e32 v59, vcc_hi, v2
	v_xor_b32_e32 v2, vcc_lo, v2
	v_and_b32_e32 v5, v5, v2
	v_lshlrev_b32_e32 v2, 24, v3
	v_cmp_gt_i64_e32 vcc, 0, v[1:2]
	v_not_b32_e32 v2, v2
	v_ashrrev_i32_e32 v2, 31, v2
	v_xor_b32_e32 v3, vcc_hi, v2
	v_xor_b32_e32 v2, vcc_lo, v2
	v_and_b32_e32 v58, v58, v59
	v_and_b32_e32 v2, v5, v2
	;; [unrolled: 1-line block ×3, first 2 shown]
	v_mbcnt_lo_u32_b32 v5, v2, 0
	v_mbcnt_hi_u32_b32 v58, v3, v5
	v_cmp_ne_u64_e32 vcc, 0, v[2:3]
	v_cmp_eq_u32_e64 s[26:27], 0, v58
	s_and_b64 s[28:29], vcc, s[26:27]
	v_add_u32_e32 v59, v30, v4
	; wave barrier
	s_and_saveexec_b64 s[26:27], s[28:29]
	s_cbranch_execz .LBB215_20
; %bb.19:                               ;   in Loop: Header=BB215_4 Depth=2
	v_bcnt_u32_b32 v2, v2, 0
	v_bcnt_u32_b32 v2, v3, v2
	s_waitcnt lgkmcnt(0)
	v_add_u32_e32 v2, v57, v2
	ds_write_b32 v59, v2 offset:12
.LBB215_20:                             ;   in Loop: Header=BB215_4 Depth=2
	s_or_b64 exec, exec, s[26:27]
	; wave barrier
	s_waitcnt lgkmcnt(0)
	s_barrier
	ds_read2_b32 v[4:5], v31 offset0:3 offset1:4
	ds_read2_b32 v[2:3], v31 offset0:5 offset1:6
	s_waitcnt lgkmcnt(1)
	v_add_u32_e32 v60, v5, v4
	s_waitcnt lgkmcnt(0)
	v_add3_u32 v3, v60, v2, v3
	s_nop 1
	v_mov_b32_dpp v60, v3 row_shr:1 row_mask:0xf bank_mask:0xf
	v_cndmask_b32_e64 v60, v60, 0, s[4:5]
	v_add_u32_e32 v3, v60, v3
	s_nop 1
	v_mov_b32_dpp v60, v3 row_shr:2 row_mask:0xf bank_mask:0xf
	v_cndmask_b32_e64 v60, 0, v60, s[6:7]
	v_add_u32_e32 v3, v3, v60
	;; [unrolled: 4-line block ×4, first 2 shown]
	s_nop 1
	v_mov_b32_dpp v60, v3 row_bcast:15 row_mask:0xf bank_mask:0xf
	v_cndmask_b32_e64 v60, v60, 0, s[12:13]
	v_add_u32_e32 v3, v3, v60
	s_nop 1
	v_mov_b32_dpp v60, v3 row_bcast:31 row_mask:0xf bank_mask:0xf
	v_cndmask_b32_e64 v60, 0, v60, s[0:1]
	v_add_u32_e32 v3, v3, v60
	s_and_saveexec_b64 s[26:27], s[18:19]
; %bb.21:                               ;   in Loop: Header=BB215_4 Depth=2
	ds_write_b32 v29, v3
; %bb.22:                               ;   in Loop: Header=BB215_4 Depth=2
	s_or_b64 exec, exec, s[26:27]
	s_waitcnt lgkmcnt(0)
	s_barrier
	s_and_saveexec_b64 s[26:27], s[20:21]
	s_cbranch_execz .LBB215_24
; %bb.23:                               ;   in Loop: Header=BB215_4 Depth=2
	v_add_u32_e32 v60, v31, v32
	ds_read_b32 v61, v60
	s_waitcnt lgkmcnt(0)
	s_nop 0
	v_mov_b32_dpp v62, v61 row_shr:1 row_mask:0xf bank_mask:0xf
	v_cndmask_b32_e64 v62, v62, 0, s[14:15]
	v_add_u32_e32 v61, v62, v61
	s_nop 1
	v_mov_b32_dpp v62, v61 row_shr:2 row_mask:0xf bank_mask:0xf
	v_cndmask_b32_e64 v62, 0, v62, s[16:17]
	v_add_u32_e32 v61, v61, v62
	ds_write_b32 v60, v61
.LBB215_24:                             ;   in Loop: Header=BB215_4 Depth=2
	s_or_b64 exec, exec, s[26:27]
	v_mov_b32_e32 v60, 0
	s_waitcnt lgkmcnt(0)
	s_barrier
	s_and_saveexec_b64 s[26:27], s[22:23]
; %bb.25:                               ;   in Loop: Header=BB215_4 Depth=2
	v_add_u32_e32 v60, -4, v29
	ds_read_b32 v60, v60
; %bb.26:                               ;   in Loop: Header=BB215_4 Depth=2
	s_or_b64 exec, exec, s[26:27]
	s_waitcnt lgkmcnt(0)
	v_add_u32_e32 v3, v60, v3
	ds_bpermute_b32 v3, v28, v3
	v_cmp_lt_u32_e32 vcc, 23, v14
	s_and_b64 vcc, exec, vcc
	s_mov_b64 s[26:27], -1
	s_waitcnt lgkmcnt(0)
	v_cndmask_b32_e64 v3, v3, v60, s[2:3]
	v_cndmask_b32_e64 v3, v3, 0, s[24:25]
	v_add_u32_e32 v4, v3, v4
	v_add_u32_e32 v5, v4, v5
	;; [unrolled: 1-line block ×3, first 2 shown]
	ds_write2_b32 v31, v3, v4 offset0:3 offset1:4
	ds_write2_b32 v31, v5, v2 offset0:5 offset1:6
	s_waitcnt lgkmcnt(0)
	s_barrier
	ds_read_b32 v2, v38 offset:12
	ds_read_b32 v4, v41 offset:12
	;; [unrolled: 1-line block ×3, first 2 shown]
                                        ; implicit-def: $vgpr44
	s_waitcnt lgkmcnt(2)
	v_add_u32_e32 v3, v2, v37
	s_waitcnt lgkmcnt(1)
	v_add3_u32 v2, v40, v39, v4
	ds_read_b32 v37, v47 offset:12
	s_waitcnt lgkmcnt(1)
	v_add3_u32 v4, v43, v42, v5
	ds_read_b32 v5, v50 offset:12
	ds_read_b32 v38, v53 offset:12
	;; [unrolled: 1-line block ×4, first 2 shown]
                                        ; implicit-def: $vgpr47
                                        ; implicit-def: $vgpr43
                                        ; implicit-def: $vgpr56
                                        ; implicit-def: $vgpr53
                                        ; implicit-def: $vgpr50
	s_waitcnt lgkmcnt(3)
	v_add3_u32 v39, v49, v48, v5
	v_add3_u32 v40, v46, v45, v37
	s_waitcnt lgkmcnt(2)
	v_add3_u32 v38, v52, v51, v38
	s_waitcnt lgkmcnt(1)
	;; [unrolled: 2-line block ×3, first 2 shown]
	v_add3_u32 v5, v58, v57, v42
                                        ; implicit-def: $vgpr48
                                        ; implicit-def: $vgpr46
                                        ; implicit-def: $vgpr45
                                        ; implicit-def: $vgpr42
                                        ; implicit-def: $vgpr41
                                        ; implicit-def: $vgpr55
                                        ; implicit-def: $vgpr54
                                        ; implicit-def: $vgpr52
                                        ; implicit-def: $vgpr51
                                        ; implicit-def: $vgpr49
	s_cbranch_vccnz .LBB215_3
; %bb.27:                               ;   in Loop: Header=BB215_4 Depth=2
	v_lshrrev_b32_e32 v41, 3, v3
	v_and_b32_e32 v41, 0x1ffffffc, v41
	v_lshl_add_u32 v49, v3, 2, v41
	v_lshrrev_b32_e32 v41, 3, v2
	v_and_b32_e32 v41, 0x1ffffffc, v41
	v_lshl_add_u32 v50, v2, 2, v41
	;; [unrolled: 3-line block ×8, first 2 shown]
	s_barrier
	ds_write_b32 v49, v36
	ds_write_b32 v50, v35
	;; [unrolled: 1-line block ×8, first 2 shown]
	s_waitcnt lgkmcnt(0)
	s_barrier
	ds_read_b32 v41, v20
	ds_read_b32 v42, v21 offset:256
	ds_read_b32 v43, v22 offset:512
	;; [unrolled: 1-line block ×7, first 2 shown]
	s_waitcnt lgkmcnt(0)
	s_barrier
	ds_write_b32 v49, v15
	ds_write_b32 v50, v13
	;; [unrolled: 1-line block ×8, first 2 shown]
	s_waitcnt lgkmcnt(0)
	s_barrier
	ds_read_b32 v49, v20
	ds_read_b32 v50, v21 offset:256
	ds_read_b32 v51, v22 offset:512
	;; [unrolled: 1-line block ×7, first 2 shown]
	v_add_u32_e32 v14, 8, v14
	s_mov_b64 s[26:27], 0
	s_waitcnt lgkmcnt(0)
	s_barrier
	s_branch .LBB215_3
.LBB215_28:
	s_add_u32 s0, s30, s34
	s_addc_u32 s1, s31, s35
	v_lshlrev_b32_e32 v0, 2, v0
	s_waitcnt lgkmcnt(3)
	v_add_u32_e32 v1, v7, v11
	v_add_u32_e32 v2, v8, v12
	s_waitcnt lgkmcnt(2)
	v_add_u32_e32 v7, v9, v13
	v_add_u32_e32 v8, v10, v14
	v_mov_b32_e32 v9, s1
	v_add_co_u32_e32 v10, vcc, s0, v0
	v_addc_co_u32_e32 v9, vcc, 0, v9, vcc
	s_waitcnt lgkmcnt(1)
	v_add_u32_e32 v3, v3, v15
	v_add_u32_e32 v4, v4, v16
	global_store_dword v0, v1, s[0:1]
	global_store_dword v0, v2, s[0:1] offset:768
	global_store_dword v0, v7, s[0:1] offset:1536
	;; [unrolled: 1-line block ×5, first 2 shown]
	v_add_co_u32_e32 v0, vcc, 0x1000, v10
	s_waitcnt lgkmcnt(0)
	v_add_u32_e32 v5, v5, v17
	v_addc_co_u32_e32 v1, vcc, 0, v9, vcc
	v_add_u32_e32 v6, v6, v18
	global_store_dword v[0:1], v5, off offset:512
	global_store_dword v[0:1], v6, off offset:1280
	s_endpgm
	.section	.rodata,"a",@progbits
	.p2align	6, 0x0
	.amdhsa_kernel _Z17sort_pairs_kernelI22helper_blocked_stripediLj192ELj8ELj10EEvPKT0_PS1_
		.amdhsa_group_segment_fixed_size 6336
		.amdhsa_private_segment_fixed_size 0
		.amdhsa_kernarg_size 272
		.amdhsa_user_sgpr_count 6
		.amdhsa_user_sgpr_private_segment_buffer 1
		.amdhsa_user_sgpr_dispatch_ptr 0
		.amdhsa_user_sgpr_queue_ptr 0
		.amdhsa_user_sgpr_kernarg_segment_ptr 1
		.amdhsa_user_sgpr_dispatch_id 0
		.amdhsa_user_sgpr_flat_scratch_init 0
		.amdhsa_user_sgpr_private_segment_size 0
		.amdhsa_uses_dynamic_stack 0
		.amdhsa_system_sgpr_private_segment_wavefront_offset 0
		.amdhsa_system_sgpr_workgroup_id_x 1
		.amdhsa_system_sgpr_workgroup_id_y 0
		.amdhsa_system_sgpr_workgroup_id_z 0
		.amdhsa_system_sgpr_workgroup_info 0
		.amdhsa_system_vgpr_workitem_id 2
		.amdhsa_next_free_vgpr 63
		.amdhsa_next_free_sgpr 61
		.amdhsa_reserve_vcc 1
		.amdhsa_reserve_flat_scratch 0
		.amdhsa_float_round_mode_32 0
		.amdhsa_float_round_mode_16_64 0
		.amdhsa_float_denorm_mode_32 3
		.amdhsa_float_denorm_mode_16_64 3
		.amdhsa_dx10_clamp 1
		.amdhsa_ieee_mode 1
		.amdhsa_fp16_overflow 0
		.amdhsa_exception_fp_ieee_invalid_op 0
		.amdhsa_exception_fp_denorm_src 0
		.amdhsa_exception_fp_ieee_div_zero 0
		.amdhsa_exception_fp_ieee_overflow 0
		.amdhsa_exception_fp_ieee_underflow 0
		.amdhsa_exception_fp_ieee_inexact 0
		.amdhsa_exception_int_div_zero 0
	.end_amdhsa_kernel
	.section	.text._Z17sort_pairs_kernelI22helper_blocked_stripediLj192ELj8ELj10EEvPKT0_PS1_,"axG",@progbits,_Z17sort_pairs_kernelI22helper_blocked_stripediLj192ELj8ELj10EEvPKT0_PS1_,comdat
.Lfunc_end215:
	.size	_Z17sort_pairs_kernelI22helper_blocked_stripediLj192ELj8ELj10EEvPKT0_PS1_, .Lfunc_end215-_Z17sort_pairs_kernelI22helper_blocked_stripediLj192ELj8ELj10EEvPKT0_PS1_
                                        ; -- End function
	.set _Z17sort_pairs_kernelI22helper_blocked_stripediLj192ELj8ELj10EEvPKT0_PS1_.num_vgpr, 63
	.set _Z17sort_pairs_kernelI22helper_blocked_stripediLj192ELj8ELj10EEvPKT0_PS1_.num_agpr, 0
	.set _Z17sort_pairs_kernelI22helper_blocked_stripediLj192ELj8ELj10EEvPKT0_PS1_.numbered_sgpr, 38
	.set _Z17sort_pairs_kernelI22helper_blocked_stripediLj192ELj8ELj10EEvPKT0_PS1_.num_named_barrier, 0
	.set _Z17sort_pairs_kernelI22helper_blocked_stripediLj192ELj8ELj10EEvPKT0_PS1_.private_seg_size, 0
	.set _Z17sort_pairs_kernelI22helper_blocked_stripediLj192ELj8ELj10EEvPKT0_PS1_.uses_vcc, 1
	.set _Z17sort_pairs_kernelI22helper_blocked_stripediLj192ELj8ELj10EEvPKT0_PS1_.uses_flat_scratch, 0
	.set _Z17sort_pairs_kernelI22helper_blocked_stripediLj192ELj8ELj10EEvPKT0_PS1_.has_dyn_sized_stack, 0
	.set _Z17sort_pairs_kernelI22helper_blocked_stripediLj192ELj8ELj10EEvPKT0_PS1_.has_recursion, 0
	.set _Z17sort_pairs_kernelI22helper_blocked_stripediLj192ELj8ELj10EEvPKT0_PS1_.has_indirect_call, 0
	.section	.AMDGPU.csdata,"",@progbits
; Kernel info:
; codeLenInByte = 5396
; TotalNumSgprs: 42
; NumVgprs: 63
; ScratchSize: 0
; MemoryBound: 0
; FloatMode: 240
; IeeeMode: 1
; LDSByteSize: 6336 bytes/workgroup (compile time only)
; SGPRBlocks: 8
; VGPRBlocks: 15
; NumSGPRsForWavesPerEU: 65
; NumVGPRsForWavesPerEU: 63
; Occupancy: 4
; WaveLimiterHint : 1
; COMPUTE_PGM_RSRC2:SCRATCH_EN: 0
; COMPUTE_PGM_RSRC2:USER_SGPR: 6
; COMPUTE_PGM_RSRC2:TRAP_HANDLER: 0
; COMPUTE_PGM_RSRC2:TGID_X_EN: 1
; COMPUTE_PGM_RSRC2:TGID_Y_EN: 0
; COMPUTE_PGM_RSRC2:TGID_Z_EN: 0
; COMPUTE_PGM_RSRC2:TIDIG_COMP_CNT: 2
	.section	.text._Z16sort_keys_kernelI22helper_blocked_stripediLj256ELj1ELj10EEvPKT0_PS1_,"axG",@progbits,_Z16sort_keys_kernelI22helper_blocked_stripediLj256ELj1ELj10EEvPKT0_PS1_,comdat
	.protected	_Z16sort_keys_kernelI22helper_blocked_stripediLj256ELj1ELj10EEvPKT0_PS1_ ; -- Begin function _Z16sort_keys_kernelI22helper_blocked_stripediLj256ELj1ELj10EEvPKT0_PS1_
	.globl	_Z16sort_keys_kernelI22helper_blocked_stripediLj256ELj1ELj10EEvPKT0_PS1_
	.p2align	8
	.type	_Z16sort_keys_kernelI22helper_blocked_stripediLj256ELj1ELj10EEvPKT0_PS1_,@function
_Z16sort_keys_kernelI22helper_blocked_stripediLj256ELj1ELj10EEvPKT0_PS1_: ; @_Z16sort_keys_kernelI22helper_blocked_stripediLj256ELj1ELj10EEvPKT0_PS1_
; %bb.0:
	s_load_dwordx4 s[28:31], s[4:5], 0x0
	s_load_dword s26, s[4:5], 0x1c
	s_lshl_b32 s34, s6, 8
	s_mov_b32 s35, 0
	s_lshl_b64 s[36:37], s[34:35], 2
	s_waitcnt lgkmcnt(0)
	s_add_u32 s0, s28, s36
	s_addc_u32 s1, s29, s37
	v_lshlrev_b32_e32 v3, 2, v0
	global_load_dword v3, v3, s[0:1]
	v_mbcnt_lo_u32_b32 v4, -1, 0
	v_mbcnt_hi_u32_b32 v4, -1, v4
	v_subrev_co_u32_e64 v24, s[4:5], 1, v4
	v_and_b32_e32 v25, 64, v4
	v_and_b32_e32 v9, 15, v4
	v_cmp_lt_i32_e64 s[24:25], v24, v25
	v_cmp_eq_u32_e64 s[8:9], 0, v9
	v_cmp_lt_u32_e64 s[10:11], 1, v9
	v_cmp_lt_u32_e64 s[12:13], 3, v9
	;; [unrolled: 1-line block ×3, first 2 shown]
	v_cndmask_b32_e64 v9, v24, v4, s[24:25]
	s_lshr_b32 s24, s26, 16
	s_and_b32 s25, s26, 0xffff
	v_mad_u32_u24 v1, v2, s24, v1
	v_mad_u64_u32 v[1:2], s[24:25], v1, s25, v[0:1]
	v_and_b32_e32 v6, 0xc0, v0
	v_lshlrev_b32_e32 v20, 4, v0
	v_lshrrev_b32_e32 v7, 4, v0
	v_mul_i32_i24_e32 v8, -12, v0
	s_mov_b32 s28, s35
	v_and_b32_e32 v10, 16, v4
	s_mov_b32 s34, s35
	s_mov_b32 s29, s35
	v_or_b32_e32 v23, 63, v6
	v_and_b32_e32 v26, 3, v4
	v_lshlrev_b32_e32 v6, 2, v6
	v_and_b32_e32 v21, 12, v7
	v_add_u32_e32 v22, v20, v8
	v_cmp_eq_u32_e64 s[16:17], 0, v10
	v_mov_b32_e32 v7, s34
	v_lshlrev_b32_e32 v25, 2, v9
	v_lshrrev_b32_e32 v1, 4, v1
	v_mov_b32_e32 v9, s28
	v_mov_b32_e32 v5, 0
	s_mov_b32 s33, 10
	s_movk_i32 s38, 0xff
	v_mov_b32_e32 v11, 4
	v_mov_b32_e32 v12, 1
	;; [unrolled: 1-line block ×9, first 2 shown]
	v_cmp_gt_u32_e32 vcc, 4, v0
	v_cmp_lt_u32_e64 s[0:1], 63, v0
	v_cmp_eq_u32_e64 s[2:3], 0, v0
	v_cmp_lt_u32_e64 s[6:7], 31, v4
	v_cmp_eq_u32_e64 s[18:19], v0, v23
	v_cmp_eq_u32_e64 s[20:21], 0, v26
	v_cmp_lt_u32_e64 s[22:23], 1, v26
	v_lshl_add_u32 v23, v4, 2, v6
	v_add_u32_e32 v24, -4, v21
	v_mov_b32_e32 v8, s35
	v_and_b32_e32 v26, 0xffffffc, v1
	v_mov_b32_e32 v10, s29
	s_waitcnt vmcnt(0)
	v_xor_b32_e32 v27, 0x80000000, v3
	s_branch .LBB216_2
.LBB216_1:                              ;   in Loop: Header=BB216_2 Depth=1
	s_or_b64 exec, exec, s[24:25]
	s_waitcnt lgkmcnt(0)
	v_add_u32_e32 v4, v29, v4
	ds_bpermute_b32 v4, v25, v4
	s_add_i32 s33, s33, -1
	s_cmp_eq_u32 s33, 0
	s_waitcnt lgkmcnt(0)
	v_cndmask_b32_e64 v4, v4, v29, s[4:5]
	v_cndmask_b32_e64 v29, v4, 0, s[2:3]
	v_add_u32_e32 v30, v29, v1
	v_add_u32_e32 v1, v30, v2
	;; [unrolled: 1-line block ×3, first 2 shown]
	ds_write2_b64 v20, v[29:30], v[1:2] offset0:2 offset1:3
	s_waitcnt lgkmcnt(0)
	s_barrier
	ds_read_b32 v1, v28 offset:16
	v_lshlrev_b32_e32 v2, 2, v6
	s_waitcnt lgkmcnt(0)
	s_barrier
	v_lshl_add_u32 v1, v1, 2, v2
	ds_write_b32 v1, v27
	s_waitcnt lgkmcnt(0)
	s_barrier
	ds_read_b32 v27, v22
	s_cbranch_scc1 .LBB216_34
.LBB216_2:                              ; =>This Inner Loop Header: Depth=1
	s_waitcnt lgkmcnt(0)
	v_and_b32_e32 v1, 1, v27
	v_add_co_u32_e64 v2, s[24:25], -1, v1
	v_addc_co_u32_e64 v4, s[24:25], 0, -1, s[24:25]
	v_cmp_ne_u32_e64 s[24:25], 0, v1
	v_lshlrev_b32_e32 v6, 30, v27
	v_xor_b32_e32 v1, s25, v4
	v_xor_b32_e32 v2, s24, v2
	v_cmp_gt_i64_e64 s[24:25], 0, v[5:6]
	v_not_b32_e32 v4, v6
	v_ashrrev_i32_e32 v4, 31, v4
	v_and_b32_e32 v1, exec_hi, v1
	v_xor_b32_e32 v6, s25, v4
	v_and_b32_e32 v2, exec_lo, v2
	v_xor_b32_e32 v4, s24, v4
	v_and_b32_e32 v1, v1, v6
	v_lshlrev_b32_e32 v6, 29, v27
	v_and_b32_e32 v2, v2, v4
	v_cmp_gt_i64_e64 s[24:25], 0, v[5:6]
	v_not_b32_e32 v4, v6
	v_ashrrev_i32_e32 v4, 31, v4
	v_xor_b32_e32 v6, s25, v4
	v_xor_b32_e32 v4, s24, v4
	v_and_b32_e32 v1, v1, v6
	v_lshlrev_b32_e32 v6, 28, v27
	v_and_b32_e32 v2, v2, v4
	v_cmp_gt_i64_e64 s[24:25], 0, v[5:6]
	v_not_b32_e32 v4, v6
	v_ashrrev_i32_e32 v4, 31, v4
	v_xor_b32_e32 v6, s25, v4
	;; [unrolled: 8-line block ×6, first 2 shown]
	v_xor_b32_e32 v28, s24, v2
	v_and_b32_e32 v2, v1, v6
	v_and_b32_e32 v1, v4, v28
	v_mbcnt_lo_u32_b32 v4, v1, 0
	v_mbcnt_hi_u32_b32 v6, v2, v4
	v_cmp_ne_u64_e64 s[24:25], 0, v[1:2]
	v_lshlrev_b32_sdwa v3, v11, v27 dst_sel:DWORD dst_unused:UNUSED_PAD src0_sel:DWORD src1_sel:BYTE_0
	v_cmp_eq_u32_e64 s[26:27], 0, v6
	s_and_b64 s[26:27], s[24:25], s[26:27]
	v_add_u32_e32 v28, v26, v3
	ds_write2_b64 v20, v[7:8], v[9:10] offset0:2 offset1:3
	s_waitcnt lgkmcnt(0)
	s_barrier
	; wave barrier
	s_and_saveexec_b64 s[24:25], s[26:27]
; %bb.3:                                ;   in Loop: Header=BB216_2 Depth=1
	v_bcnt_u32_b32 v1, v1, 0
	v_bcnt_u32_b32 v1, v2, v1
	ds_write_b32 v28, v1 offset:16
; %bb.4:                                ;   in Loop: Header=BB216_2 Depth=1
	s_or_b64 exec, exec, s[24:25]
	; wave barrier
	s_waitcnt lgkmcnt(0)
	s_barrier
	ds_read2_b64 v[1:4], v20 offset0:2 offset1:3
	s_waitcnt lgkmcnt(0)
	v_add_u32_e32 v29, v2, v1
	v_add3_u32 v4, v29, v3, v4
	s_nop 1
	v_mov_b32_dpp v29, v4 row_shr:1 row_mask:0xf bank_mask:0xf
	v_cndmask_b32_e64 v29, v29, 0, s[8:9]
	v_add_u32_e32 v4, v29, v4
	s_nop 1
	v_mov_b32_dpp v29, v4 row_shr:2 row_mask:0xf bank_mask:0xf
	v_cndmask_b32_e64 v29, 0, v29, s[10:11]
	v_add_u32_e32 v4, v4, v29
	;; [unrolled: 4-line block ×4, first 2 shown]
	s_nop 1
	v_mov_b32_dpp v29, v4 row_bcast:15 row_mask:0xf bank_mask:0xf
	v_cndmask_b32_e64 v29, v29, 0, s[16:17]
	v_add_u32_e32 v4, v4, v29
	s_nop 1
	v_mov_b32_dpp v29, v4 row_bcast:31 row_mask:0xf bank_mask:0xf
	v_cndmask_b32_e64 v29, 0, v29, s[6:7]
	v_add_u32_e32 v4, v4, v29
	s_and_saveexec_b64 s[24:25], s[18:19]
; %bb.5:                                ;   in Loop: Header=BB216_2 Depth=1
	ds_write_b32 v21, v4
; %bb.6:                                ;   in Loop: Header=BB216_2 Depth=1
	s_or_b64 exec, exec, s[24:25]
	s_waitcnt lgkmcnt(0)
	s_barrier
	s_and_saveexec_b64 s[24:25], vcc
	s_cbranch_execz .LBB216_8
; %bb.7:                                ;   in Loop: Header=BB216_2 Depth=1
	ds_read_b32 v29, v22
	s_waitcnt lgkmcnt(0)
	s_nop 0
	v_mov_b32_dpp v30, v29 row_shr:1 row_mask:0xf bank_mask:0xf
	v_cndmask_b32_e64 v30, v30, 0, s[20:21]
	v_add_u32_e32 v29, v30, v29
	s_nop 1
	v_mov_b32_dpp v30, v29 row_shr:2 row_mask:0xf bank_mask:0xf
	v_cndmask_b32_e64 v30, 0, v30, s[22:23]
	v_add_u32_e32 v29, v29, v30
	ds_write_b32 v22, v29
.LBB216_8:                              ;   in Loop: Header=BB216_2 Depth=1
	s_or_b64 exec, exec, s[24:25]
	v_mov_b32_e32 v29, 0
	s_waitcnt lgkmcnt(0)
	s_barrier
	s_and_saveexec_b64 s[24:25], s[0:1]
; %bb.9:                                ;   in Loop: Header=BB216_2 Depth=1
	ds_read_b32 v29, v24
; %bb.10:                               ;   in Loop: Header=BB216_2 Depth=1
	s_or_b64 exec, exec, s[24:25]
	s_waitcnt lgkmcnt(0)
	v_add_u32_e32 v4, v29, v4
	ds_bpermute_b32 v4, v25, v4
	s_waitcnt lgkmcnt(0)
	v_cndmask_b32_e64 v4, v4, v29, s[4:5]
	v_cndmask_b32_e64 v29, v4, 0, s[2:3]
	v_add_u32_e32 v30, v29, v1
	v_add_u32_e32 v1, v30, v2
	;; [unrolled: 1-line block ×3, first 2 shown]
	ds_write2_b64 v20, v[29:30], v[1:2] offset0:2 offset1:3
	s_waitcnt lgkmcnt(0)
	s_barrier
	ds_read_b32 v1, v28 offset:16
	v_lshlrev_b32_e32 v2, 2, v6
	s_waitcnt lgkmcnt(0)
	s_barrier
	v_lshl_add_u32 v1, v1, 2, v2
	ds_write_b32 v1, v27
	s_waitcnt lgkmcnt(0)
	s_barrier
	ds_read_b32 v27, v23
	s_waitcnt lgkmcnt(0)
	s_barrier
	ds_write2_b64 v20, v[7:8], v[9:10] offset0:2 offset1:3
	v_lshrrev_b32_e32 v1, 8, v27
	v_and_b32_e32 v2, 1, v1
	v_add_co_u32_e64 v4, s[24:25], -1, v2
	v_addc_co_u32_e64 v6, s[24:25], 0, -1, s[24:25]
	v_cmp_ne_u32_e64 s[24:25], 0, v2
	v_xor_b32_e32 v2, s25, v6
	v_lshlrev_b32_e32 v6, 30, v1
	v_xor_b32_e32 v4, s24, v4
	v_cmp_gt_i64_e64 s[24:25], 0, v[5:6]
	v_not_b32_e32 v6, v6
	v_ashrrev_i32_e32 v6, 31, v6
	v_and_b32_e32 v4, exec_lo, v4
	v_xor_b32_e32 v28, s25, v6
	v_xor_b32_e32 v6, s24, v6
	v_and_b32_e32 v4, v4, v6
	v_lshlrev_b32_e32 v6, 29, v1
	v_cmp_gt_i64_e64 s[24:25], 0, v[5:6]
	v_not_b32_e32 v6, v6
	v_and_b32_e32 v2, exec_hi, v2
	v_ashrrev_i32_e32 v6, 31, v6
	v_and_b32_e32 v2, v2, v28
	v_xor_b32_e32 v28, s25, v6
	v_xor_b32_e32 v6, s24, v6
	v_and_b32_e32 v4, v4, v6
	v_lshlrev_b32_e32 v6, 28, v1
	v_cmp_gt_i64_e64 s[24:25], 0, v[5:6]
	v_not_b32_e32 v6, v6
	v_ashrrev_i32_e32 v6, 31, v6
	v_and_b32_e32 v2, v2, v28
	v_xor_b32_e32 v28, s25, v6
	v_xor_b32_e32 v6, s24, v6
	v_and_b32_e32 v4, v4, v6
	v_lshlrev_b32_e32 v6, 27, v1
	v_cmp_gt_i64_e64 s[24:25], 0, v[5:6]
	v_not_b32_e32 v6, v6
	;; [unrolled: 8-line block ×4, first 2 shown]
	v_ashrrev_i32_e32 v6, 31, v6
	v_and_b32_e32 v2, v2, v28
	v_xor_b32_e32 v28, s25, v6
	v_xor_b32_e32 v6, s24, v6
	v_and_b32_e32 v4, v4, v6
	v_lshlrev_b32_e32 v6, 24, v1
	v_lshlrev_b32_sdwa v3, v11, v1 dst_sel:DWORD dst_unused:UNUSED_PAD src0_sel:DWORD src1_sel:BYTE_0
	v_cmp_gt_i64_e64 s[24:25], 0, v[5:6]
	v_not_b32_e32 v1, v6
	v_ashrrev_i32_e32 v1, 31, v1
	v_xor_b32_e32 v6, s25, v1
	v_xor_b32_e32 v1, s24, v1
	v_and_b32_e32 v2, v2, v28
	v_and_b32_e32 v1, v4, v1
	;; [unrolled: 1-line block ×3, first 2 shown]
	v_mbcnt_lo_u32_b32 v4, v1, 0
	v_mbcnt_hi_u32_b32 v6, v2, v4
	v_cmp_ne_u64_e64 s[24:25], 0, v[1:2]
	v_cmp_eq_u32_e64 s[26:27], 0, v6
	s_and_b64 s[26:27], s[24:25], s[26:27]
	v_add_u32_e32 v28, v26, v3
	s_waitcnt lgkmcnt(0)
	s_barrier
	; wave barrier
	s_and_saveexec_b64 s[24:25], s[26:27]
; %bb.11:                               ;   in Loop: Header=BB216_2 Depth=1
	v_bcnt_u32_b32 v1, v1, 0
	v_bcnt_u32_b32 v1, v2, v1
	ds_write_b32 v28, v1 offset:16
; %bb.12:                               ;   in Loop: Header=BB216_2 Depth=1
	s_or_b64 exec, exec, s[24:25]
	; wave barrier
	s_waitcnt lgkmcnt(0)
	s_barrier
	ds_read2_b64 v[1:4], v20 offset0:2 offset1:3
	s_waitcnt lgkmcnt(0)
	v_add_u32_e32 v29, v2, v1
	v_add3_u32 v4, v29, v3, v4
	s_nop 1
	v_mov_b32_dpp v29, v4 row_shr:1 row_mask:0xf bank_mask:0xf
	v_cndmask_b32_e64 v29, v29, 0, s[8:9]
	v_add_u32_e32 v4, v29, v4
	s_nop 1
	v_mov_b32_dpp v29, v4 row_shr:2 row_mask:0xf bank_mask:0xf
	v_cndmask_b32_e64 v29, 0, v29, s[10:11]
	v_add_u32_e32 v4, v4, v29
	;; [unrolled: 4-line block ×4, first 2 shown]
	s_nop 1
	v_mov_b32_dpp v29, v4 row_bcast:15 row_mask:0xf bank_mask:0xf
	v_cndmask_b32_e64 v29, v29, 0, s[16:17]
	v_add_u32_e32 v4, v4, v29
	s_nop 1
	v_mov_b32_dpp v29, v4 row_bcast:31 row_mask:0xf bank_mask:0xf
	v_cndmask_b32_e64 v29, 0, v29, s[6:7]
	v_add_u32_e32 v4, v4, v29
	s_and_saveexec_b64 s[24:25], s[18:19]
; %bb.13:                               ;   in Loop: Header=BB216_2 Depth=1
	ds_write_b32 v21, v4
; %bb.14:                               ;   in Loop: Header=BB216_2 Depth=1
	s_or_b64 exec, exec, s[24:25]
	s_waitcnt lgkmcnt(0)
	s_barrier
	s_and_saveexec_b64 s[24:25], vcc
	s_cbranch_execz .LBB216_16
; %bb.15:                               ;   in Loop: Header=BB216_2 Depth=1
	ds_read_b32 v29, v22
	s_waitcnt lgkmcnt(0)
	s_nop 0
	v_mov_b32_dpp v30, v29 row_shr:1 row_mask:0xf bank_mask:0xf
	v_cndmask_b32_e64 v30, v30, 0, s[20:21]
	v_add_u32_e32 v29, v30, v29
	s_nop 1
	v_mov_b32_dpp v30, v29 row_shr:2 row_mask:0xf bank_mask:0xf
	v_cndmask_b32_e64 v30, 0, v30, s[22:23]
	v_add_u32_e32 v29, v29, v30
	ds_write_b32 v22, v29
.LBB216_16:                             ;   in Loop: Header=BB216_2 Depth=1
	s_or_b64 exec, exec, s[24:25]
	v_mov_b32_e32 v29, 0
	s_waitcnt lgkmcnt(0)
	s_barrier
	s_and_saveexec_b64 s[24:25], s[0:1]
; %bb.17:                               ;   in Loop: Header=BB216_2 Depth=1
	ds_read_b32 v29, v24
; %bb.18:                               ;   in Loop: Header=BB216_2 Depth=1
	s_or_b64 exec, exec, s[24:25]
	s_waitcnt lgkmcnt(0)
	v_add_u32_e32 v4, v29, v4
	ds_bpermute_b32 v4, v25, v4
	s_waitcnt lgkmcnt(0)
	v_cndmask_b32_e64 v4, v4, v29, s[4:5]
	v_cndmask_b32_e64 v29, v4, 0, s[2:3]
	v_add_u32_e32 v30, v29, v1
	v_add_u32_e32 v1, v30, v2
	;; [unrolled: 1-line block ×3, first 2 shown]
	ds_write2_b64 v20, v[29:30], v[1:2] offset0:2 offset1:3
	s_waitcnt lgkmcnt(0)
	s_barrier
	ds_read_b32 v1, v28 offset:16
	v_lshlrev_b32_e32 v2, 2, v6
	s_waitcnt lgkmcnt(0)
	s_barrier
	v_lshl_add_u32 v1, v1, 2, v2
	ds_write_b32 v1, v27
	s_waitcnt lgkmcnt(0)
	s_barrier
	ds_read_b32 v27, v23
	v_mov_b32_e32 v1, s34
	v_mov_b32_e32 v3, s28
	;; [unrolled: 1-line block ×4, first 2 shown]
	s_waitcnt lgkmcnt(0)
	s_barrier
	ds_write2_b64 v20, v[1:2], v[3:4] offset0:2 offset1:3
	v_and_b32_sdwa v1, v27, s38 dst_sel:DWORD dst_unused:UNUSED_PAD src0_sel:WORD_1 src1_sel:DWORD
	v_lshlrev_b32_e32 v3, 4, v1
	v_and_b32_sdwa v1, v27, v12 dst_sel:DWORD dst_unused:UNUSED_PAD src0_sel:WORD_1 src1_sel:DWORD
	v_add_co_u32_e64 v2, s[24:25], -1, v1
	v_addc_co_u32_e64 v4, s[24:25], 0, -1, s[24:25]
	v_cmp_ne_u32_e64 s[24:25], 0, v1
	v_lshlrev_b32_sdwa v6, v13, v27 dst_sel:DWORD dst_unused:UNUSED_PAD src0_sel:DWORD src1_sel:WORD_1
	v_xor_b32_e32 v1, s25, v4
	v_xor_b32_e32 v2, s24, v2
	v_cmp_gt_i64_e64 s[24:25], 0, v[5:6]
	v_not_b32_e32 v4, v6
	v_ashrrev_i32_e32 v4, 31, v4
	v_and_b32_e32 v1, exec_hi, v1
	v_xor_b32_e32 v6, s25, v4
	v_and_b32_e32 v2, exec_lo, v2
	v_xor_b32_e32 v4, s24, v4
	v_and_b32_e32 v1, v1, v6
	v_lshlrev_b32_sdwa v6, v14, v27 dst_sel:DWORD dst_unused:UNUSED_PAD src0_sel:DWORD src1_sel:WORD_1
	v_and_b32_e32 v2, v2, v4
	v_cmp_gt_i64_e64 s[24:25], 0, v[5:6]
	v_not_b32_e32 v4, v6
	v_ashrrev_i32_e32 v4, 31, v4
	v_xor_b32_e32 v6, s25, v4
	v_xor_b32_e32 v4, s24, v4
	v_and_b32_e32 v1, v1, v6
	v_lshlrev_b32_sdwa v6, v15, v27 dst_sel:DWORD dst_unused:UNUSED_PAD src0_sel:DWORD src1_sel:WORD_1
	v_and_b32_e32 v2, v2, v4
	v_cmp_gt_i64_e64 s[24:25], 0, v[5:6]
	v_not_b32_e32 v4, v6
	v_ashrrev_i32_e32 v4, 31, v4
	v_xor_b32_e32 v6, s25, v4
	;; [unrolled: 8-line block ×6, first 2 shown]
	v_xor_b32_e32 v28, s24, v2
	v_and_b32_e32 v2, v1, v6
	v_and_b32_e32 v1, v4, v28
	v_mbcnt_lo_u32_b32 v4, v1, 0
	v_mbcnt_hi_u32_b32 v6, v2, v4
	v_cmp_ne_u64_e64 s[24:25], 0, v[1:2]
	v_cmp_eq_u32_e64 s[26:27], 0, v6
	s_and_b64 s[26:27], s[24:25], s[26:27]
	v_add_u32_e32 v28, v26, v3
	s_waitcnt lgkmcnt(0)
	s_barrier
	; wave barrier
	s_and_saveexec_b64 s[24:25], s[26:27]
; %bb.19:                               ;   in Loop: Header=BB216_2 Depth=1
	v_bcnt_u32_b32 v1, v1, 0
	v_bcnt_u32_b32 v1, v2, v1
	ds_write_b32 v28, v1 offset:16
; %bb.20:                               ;   in Loop: Header=BB216_2 Depth=1
	s_or_b64 exec, exec, s[24:25]
	; wave barrier
	s_waitcnt lgkmcnt(0)
	s_barrier
	ds_read2_b64 v[1:4], v20 offset0:2 offset1:3
	s_waitcnt lgkmcnt(0)
	v_add_u32_e32 v29, v2, v1
	v_add3_u32 v4, v29, v3, v4
	s_nop 1
	v_mov_b32_dpp v29, v4 row_shr:1 row_mask:0xf bank_mask:0xf
	v_cndmask_b32_e64 v29, v29, 0, s[8:9]
	v_add_u32_e32 v4, v29, v4
	s_nop 1
	v_mov_b32_dpp v29, v4 row_shr:2 row_mask:0xf bank_mask:0xf
	v_cndmask_b32_e64 v29, 0, v29, s[10:11]
	v_add_u32_e32 v4, v4, v29
	;; [unrolled: 4-line block ×4, first 2 shown]
	s_nop 1
	v_mov_b32_dpp v29, v4 row_bcast:15 row_mask:0xf bank_mask:0xf
	v_cndmask_b32_e64 v29, v29, 0, s[16:17]
	v_add_u32_e32 v4, v4, v29
	s_nop 1
	v_mov_b32_dpp v29, v4 row_bcast:31 row_mask:0xf bank_mask:0xf
	v_cndmask_b32_e64 v29, 0, v29, s[6:7]
	v_add_u32_e32 v4, v4, v29
	s_and_saveexec_b64 s[24:25], s[18:19]
; %bb.21:                               ;   in Loop: Header=BB216_2 Depth=1
	ds_write_b32 v21, v4
; %bb.22:                               ;   in Loop: Header=BB216_2 Depth=1
	s_or_b64 exec, exec, s[24:25]
	s_waitcnt lgkmcnt(0)
	s_barrier
	s_and_saveexec_b64 s[24:25], vcc
	s_cbranch_execz .LBB216_24
; %bb.23:                               ;   in Loop: Header=BB216_2 Depth=1
	ds_read_b32 v29, v22
	s_waitcnt lgkmcnt(0)
	s_nop 0
	v_mov_b32_dpp v30, v29 row_shr:1 row_mask:0xf bank_mask:0xf
	v_cndmask_b32_e64 v30, v30, 0, s[20:21]
	v_add_u32_e32 v29, v30, v29
	s_nop 1
	v_mov_b32_dpp v30, v29 row_shr:2 row_mask:0xf bank_mask:0xf
	v_cndmask_b32_e64 v30, 0, v30, s[22:23]
	v_add_u32_e32 v29, v29, v30
	ds_write_b32 v22, v29
.LBB216_24:                             ;   in Loop: Header=BB216_2 Depth=1
	s_or_b64 exec, exec, s[24:25]
	v_mov_b32_e32 v29, 0
	s_waitcnt lgkmcnt(0)
	s_barrier
	s_and_saveexec_b64 s[24:25], s[0:1]
; %bb.25:                               ;   in Loop: Header=BB216_2 Depth=1
	ds_read_b32 v29, v24
; %bb.26:                               ;   in Loop: Header=BB216_2 Depth=1
	s_or_b64 exec, exec, s[24:25]
	s_waitcnt lgkmcnt(0)
	v_add_u32_e32 v4, v29, v4
	ds_bpermute_b32 v4, v25, v4
	s_waitcnt lgkmcnt(0)
	v_cndmask_b32_e64 v4, v4, v29, s[4:5]
	v_cndmask_b32_e64 v29, v4, 0, s[2:3]
	v_add_u32_e32 v30, v29, v1
	v_add_u32_e32 v1, v30, v2
	;; [unrolled: 1-line block ×3, first 2 shown]
	ds_write2_b64 v20, v[29:30], v[1:2] offset0:2 offset1:3
	s_waitcnt lgkmcnt(0)
	s_barrier
	ds_read_b32 v1, v28 offset:16
	v_lshlrev_b32_e32 v2, 2, v6
	s_waitcnt lgkmcnt(0)
	s_barrier
	v_lshl_add_u32 v1, v1, 2, v2
	ds_write_b32 v1, v27
	s_waitcnt lgkmcnt(0)
	s_barrier
	ds_read_b32 v27, v23
	v_mov_b32_e32 v1, s34
	v_mov_b32_e32 v3, s28
	;; [unrolled: 1-line block ×4, first 2 shown]
	s_waitcnt lgkmcnt(0)
	s_barrier
	ds_write2_b64 v20, v[1:2], v[3:4] offset0:2 offset1:3
	v_and_b32_sdwa v1, v27, v12 dst_sel:DWORD dst_unused:UNUSED_PAD src0_sel:BYTE_3 src1_sel:DWORD
	v_add_co_u32_e64 v2, s[24:25], -1, v1
	v_addc_co_u32_e64 v4, s[24:25], 0, -1, s[24:25]
	v_cmp_ne_u32_e64 s[24:25], 0, v1
	v_lshlrev_b32_sdwa v6, v13, v27 dst_sel:DWORD dst_unused:UNUSED_PAD src0_sel:DWORD src1_sel:BYTE_3
	v_xor_b32_e32 v1, s25, v4
	v_xor_b32_e32 v2, s24, v2
	v_cmp_gt_i64_e64 s[24:25], 0, v[5:6]
	v_not_b32_e32 v4, v6
	v_ashrrev_i32_e32 v4, 31, v4
	v_and_b32_e32 v1, exec_hi, v1
	v_xor_b32_e32 v6, s25, v4
	v_and_b32_e32 v2, exec_lo, v2
	v_xor_b32_e32 v4, s24, v4
	v_and_b32_e32 v1, v1, v6
	v_lshlrev_b32_sdwa v6, v14, v27 dst_sel:DWORD dst_unused:UNUSED_PAD src0_sel:DWORD src1_sel:BYTE_3
	v_and_b32_e32 v2, v2, v4
	v_cmp_gt_i64_e64 s[24:25], 0, v[5:6]
	v_not_b32_e32 v4, v6
	v_ashrrev_i32_e32 v4, 31, v4
	v_xor_b32_e32 v6, s25, v4
	v_xor_b32_e32 v4, s24, v4
	v_and_b32_e32 v1, v1, v6
	v_lshlrev_b32_sdwa v6, v15, v27 dst_sel:DWORD dst_unused:UNUSED_PAD src0_sel:DWORD src1_sel:BYTE_3
	v_and_b32_e32 v2, v2, v4
	v_cmp_gt_i64_e64 s[24:25], 0, v[5:6]
	v_not_b32_e32 v4, v6
	v_ashrrev_i32_e32 v4, 31, v4
	v_xor_b32_e32 v6, s25, v4
	;; [unrolled: 8-line block ×6, first 2 shown]
	v_xor_b32_e32 v28, s24, v2
	v_and_b32_e32 v2, v1, v6
	v_and_b32_e32 v1, v4, v28
	v_mbcnt_lo_u32_b32 v4, v1, 0
	v_mbcnt_hi_u32_b32 v6, v2, v4
	v_cmp_ne_u64_e64 s[24:25], 0, v[1:2]
	v_lshlrev_b32_sdwa v3, v11, v27 dst_sel:DWORD dst_unused:UNUSED_PAD src0_sel:DWORD src1_sel:BYTE_3
	v_cmp_eq_u32_e64 s[26:27], 0, v6
	s_and_b64 s[26:27], s[24:25], s[26:27]
	v_add_u32_e32 v28, v26, v3
	s_waitcnt lgkmcnt(0)
	s_barrier
	; wave barrier
	s_and_saveexec_b64 s[24:25], s[26:27]
; %bb.27:                               ;   in Loop: Header=BB216_2 Depth=1
	v_bcnt_u32_b32 v1, v1, 0
	v_bcnt_u32_b32 v1, v2, v1
	ds_write_b32 v28, v1 offset:16
; %bb.28:                               ;   in Loop: Header=BB216_2 Depth=1
	s_or_b64 exec, exec, s[24:25]
	; wave barrier
	s_waitcnt lgkmcnt(0)
	s_barrier
	ds_read2_b64 v[1:4], v20 offset0:2 offset1:3
	s_waitcnt lgkmcnt(0)
	v_add_u32_e32 v29, v2, v1
	v_add3_u32 v4, v29, v3, v4
	s_nop 1
	v_mov_b32_dpp v29, v4 row_shr:1 row_mask:0xf bank_mask:0xf
	v_cndmask_b32_e64 v29, v29, 0, s[8:9]
	v_add_u32_e32 v4, v29, v4
	s_nop 1
	v_mov_b32_dpp v29, v4 row_shr:2 row_mask:0xf bank_mask:0xf
	v_cndmask_b32_e64 v29, 0, v29, s[10:11]
	v_add_u32_e32 v4, v4, v29
	s_nop 1
	v_mov_b32_dpp v29, v4 row_shr:4 row_mask:0xf bank_mask:0xf
	v_cndmask_b32_e64 v29, 0, v29, s[12:13]
	v_add_u32_e32 v4, v4, v29
	s_nop 1
	v_mov_b32_dpp v29, v4 row_shr:8 row_mask:0xf bank_mask:0xf
	v_cndmask_b32_e64 v29, 0, v29, s[14:15]
	v_add_u32_e32 v4, v4, v29
	s_nop 1
	v_mov_b32_dpp v29, v4 row_bcast:15 row_mask:0xf bank_mask:0xf
	v_cndmask_b32_e64 v29, v29, 0, s[16:17]
	v_add_u32_e32 v4, v4, v29
	s_nop 1
	v_mov_b32_dpp v29, v4 row_bcast:31 row_mask:0xf bank_mask:0xf
	v_cndmask_b32_e64 v29, 0, v29, s[6:7]
	v_add_u32_e32 v4, v4, v29
	s_and_saveexec_b64 s[24:25], s[18:19]
; %bb.29:                               ;   in Loop: Header=BB216_2 Depth=1
	ds_write_b32 v21, v4
; %bb.30:                               ;   in Loop: Header=BB216_2 Depth=1
	s_or_b64 exec, exec, s[24:25]
	s_waitcnt lgkmcnt(0)
	s_barrier
	s_and_saveexec_b64 s[24:25], vcc
	s_cbranch_execz .LBB216_32
; %bb.31:                               ;   in Loop: Header=BB216_2 Depth=1
	ds_read_b32 v29, v22
	s_waitcnt lgkmcnt(0)
	s_nop 0
	v_mov_b32_dpp v30, v29 row_shr:1 row_mask:0xf bank_mask:0xf
	v_cndmask_b32_e64 v30, v30, 0, s[20:21]
	v_add_u32_e32 v29, v30, v29
	s_nop 1
	v_mov_b32_dpp v30, v29 row_shr:2 row_mask:0xf bank_mask:0xf
	v_cndmask_b32_e64 v30, 0, v30, s[22:23]
	v_add_u32_e32 v29, v29, v30
	ds_write_b32 v22, v29
.LBB216_32:                             ;   in Loop: Header=BB216_2 Depth=1
	s_or_b64 exec, exec, s[24:25]
	v_mov_b32_e32 v29, 0
	s_waitcnt lgkmcnt(0)
	s_barrier
	s_and_saveexec_b64 s[24:25], s[0:1]
	s_cbranch_execz .LBB216_1
; %bb.33:                               ;   in Loop: Header=BB216_2 Depth=1
	ds_read_b32 v29, v24
	s_branch .LBB216_1
.LBB216_34:
	s_add_u32 s0, s30, s36
	s_waitcnt lgkmcnt(0)
	v_xor_b32_e32 v1, 0x80000000, v27
	s_addc_u32 s1, s31, s37
	v_lshlrev_b32_e32 v0, 2, v0
	global_store_dword v0, v1, s[0:1]
	s_endpgm
	.section	.rodata,"a",@progbits
	.p2align	6, 0x0
	.amdhsa_kernel _Z16sort_keys_kernelI22helper_blocked_stripediLj256ELj1ELj10EEvPKT0_PS1_
		.amdhsa_group_segment_fixed_size 4112
		.amdhsa_private_segment_fixed_size 0
		.amdhsa_kernarg_size 272
		.amdhsa_user_sgpr_count 6
		.amdhsa_user_sgpr_private_segment_buffer 1
		.amdhsa_user_sgpr_dispatch_ptr 0
		.amdhsa_user_sgpr_queue_ptr 0
		.amdhsa_user_sgpr_kernarg_segment_ptr 1
		.amdhsa_user_sgpr_dispatch_id 0
		.amdhsa_user_sgpr_flat_scratch_init 0
		.amdhsa_user_sgpr_private_segment_size 0
		.amdhsa_uses_dynamic_stack 0
		.amdhsa_system_sgpr_private_segment_wavefront_offset 0
		.amdhsa_system_sgpr_workgroup_id_x 1
		.amdhsa_system_sgpr_workgroup_id_y 0
		.amdhsa_system_sgpr_workgroup_id_z 0
		.amdhsa_system_sgpr_workgroup_info 0
		.amdhsa_system_vgpr_workitem_id 2
		.amdhsa_next_free_vgpr 31
		.amdhsa_next_free_sgpr 39
		.amdhsa_reserve_vcc 1
		.amdhsa_reserve_flat_scratch 0
		.amdhsa_float_round_mode_32 0
		.amdhsa_float_round_mode_16_64 0
		.amdhsa_float_denorm_mode_32 3
		.amdhsa_float_denorm_mode_16_64 3
		.amdhsa_dx10_clamp 1
		.amdhsa_ieee_mode 1
		.amdhsa_fp16_overflow 0
		.amdhsa_exception_fp_ieee_invalid_op 0
		.amdhsa_exception_fp_denorm_src 0
		.amdhsa_exception_fp_ieee_div_zero 0
		.amdhsa_exception_fp_ieee_overflow 0
		.amdhsa_exception_fp_ieee_underflow 0
		.amdhsa_exception_fp_ieee_inexact 0
		.amdhsa_exception_int_div_zero 0
	.end_amdhsa_kernel
	.section	.text._Z16sort_keys_kernelI22helper_blocked_stripediLj256ELj1ELj10EEvPKT0_PS1_,"axG",@progbits,_Z16sort_keys_kernelI22helper_blocked_stripediLj256ELj1ELj10EEvPKT0_PS1_,comdat
.Lfunc_end216:
	.size	_Z16sort_keys_kernelI22helper_blocked_stripediLj256ELj1ELj10EEvPKT0_PS1_, .Lfunc_end216-_Z16sort_keys_kernelI22helper_blocked_stripediLj256ELj1ELj10EEvPKT0_PS1_
                                        ; -- End function
	.set _Z16sort_keys_kernelI22helper_blocked_stripediLj256ELj1ELj10EEvPKT0_PS1_.num_vgpr, 31
	.set _Z16sort_keys_kernelI22helper_blocked_stripediLj256ELj1ELj10EEvPKT0_PS1_.num_agpr, 0
	.set _Z16sort_keys_kernelI22helper_blocked_stripediLj256ELj1ELj10EEvPKT0_PS1_.numbered_sgpr, 39
	.set _Z16sort_keys_kernelI22helper_blocked_stripediLj256ELj1ELj10EEvPKT0_PS1_.num_named_barrier, 0
	.set _Z16sort_keys_kernelI22helper_blocked_stripediLj256ELj1ELj10EEvPKT0_PS1_.private_seg_size, 0
	.set _Z16sort_keys_kernelI22helper_blocked_stripediLj256ELj1ELj10EEvPKT0_PS1_.uses_vcc, 1
	.set _Z16sort_keys_kernelI22helper_blocked_stripediLj256ELj1ELj10EEvPKT0_PS1_.uses_flat_scratch, 0
	.set _Z16sort_keys_kernelI22helper_blocked_stripediLj256ELj1ELj10EEvPKT0_PS1_.has_dyn_sized_stack, 0
	.set _Z16sort_keys_kernelI22helper_blocked_stripediLj256ELj1ELj10EEvPKT0_PS1_.has_recursion, 0
	.set _Z16sort_keys_kernelI22helper_blocked_stripediLj256ELj1ELj10EEvPKT0_PS1_.has_indirect_call, 0
	.section	.AMDGPU.csdata,"",@progbits
; Kernel info:
; codeLenInByte = 3836
; TotalNumSgprs: 43
; NumVgprs: 31
; ScratchSize: 0
; MemoryBound: 0
; FloatMode: 240
; IeeeMode: 1
; LDSByteSize: 4112 bytes/workgroup (compile time only)
; SGPRBlocks: 5
; VGPRBlocks: 7
; NumSGPRsForWavesPerEU: 43
; NumVGPRsForWavesPerEU: 31
; Occupancy: 8
; WaveLimiterHint : 0
; COMPUTE_PGM_RSRC2:SCRATCH_EN: 0
; COMPUTE_PGM_RSRC2:USER_SGPR: 6
; COMPUTE_PGM_RSRC2:TRAP_HANDLER: 0
; COMPUTE_PGM_RSRC2:TGID_X_EN: 1
; COMPUTE_PGM_RSRC2:TGID_Y_EN: 0
; COMPUTE_PGM_RSRC2:TGID_Z_EN: 0
; COMPUTE_PGM_RSRC2:TIDIG_COMP_CNT: 2
	.section	.text._Z17sort_pairs_kernelI22helper_blocked_stripediLj256ELj1ELj10EEvPKT0_PS1_,"axG",@progbits,_Z17sort_pairs_kernelI22helper_blocked_stripediLj256ELj1ELj10EEvPKT0_PS1_,comdat
	.protected	_Z17sort_pairs_kernelI22helper_blocked_stripediLj256ELj1ELj10EEvPKT0_PS1_ ; -- Begin function _Z17sort_pairs_kernelI22helper_blocked_stripediLj256ELj1ELj10EEvPKT0_PS1_
	.globl	_Z17sort_pairs_kernelI22helper_blocked_stripediLj256ELj1ELj10EEvPKT0_PS1_
	.p2align	8
	.type	_Z17sort_pairs_kernelI22helper_blocked_stripediLj256ELj1ELj10EEvPKT0_PS1_,@function
_Z17sort_pairs_kernelI22helper_blocked_stripediLj256ELj1ELj10EEvPKT0_PS1_: ; @_Z17sort_pairs_kernelI22helper_blocked_stripediLj256ELj1ELj10EEvPKT0_PS1_
; %bb.0:
	s_load_dwordx4 s[28:31], s[4:5], 0x0
	s_load_dword s26, s[4:5], 0x1c
	s_lshl_b32 s36, s6, 8
	s_mov_b32 s37, 0
	s_lshl_b64 s[34:35], s[36:37], 2
	s_waitcnt lgkmcnt(0)
	s_add_u32 s0, s28, s34
	s_addc_u32 s1, s29, s35
	v_lshlrev_b32_e32 v3, 2, v0
	global_load_dword v3, v3, s[0:1]
	v_mbcnt_lo_u32_b32 v4, -1, 0
	v_mbcnt_hi_u32_b32 v4, -1, v4
	v_subrev_co_u32_e64 v24, s[4:5], 1, v4
	v_and_b32_e32 v25, 64, v4
	v_and_b32_e32 v9, 15, v4
	v_cmp_lt_i32_e64 s[24:25], v24, v25
	v_cmp_eq_u32_e64 s[8:9], 0, v9
	v_cmp_lt_u32_e64 s[10:11], 1, v9
	v_cmp_lt_u32_e64 s[12:13], 3, v9
	;; [unrolled: 1-line block ×3, first 2 shown]
	v_cndmask_b32_e64 v9, v24, v4, s[24:25]
	s_lshr_b32 s24, s26, 16
	s_and_b32 s25, s26, 0xffff
	v_mad_u32_u24 v1, v2, s24, v1
	v_mad_u64_u32 v[1:2], s[24:25], v1, s25, v[0:1]
	v_lshlrev_b32_e32 v20, 4, v0
	v_and_b32_e32 v6, 0xc0, v0
	v_lshrrev_b32_e32 v7, 4, v0
	v_mul_i32_i24_e32 v8, -12, v0
	s_mov_b32 s28, s37
	v_and_b32_e32 v10, 16, v4
	s_mov_b32 s36, s37
	s_mov_b32 s29, s37
	v_or_b32_e32 v23, 63, v6
	v_and_b32_e32 v26, 3, v4
	v_and_b32_e32 v21, 12, v7
	v_lshlrev_b32_e32 v6, 2, v6
	v_add_u32_e32 v22, v20, v8
	v_cmp_eq_u32_e64 s[16:17], 0, v10
	v_mov_b32_e32 v7, s36
	v_lshlrev_b32_e32 v25, 2, v9
	v_lshrrev_b32_e32 v1, 4, v1
	v_mov_b32_e32 v9, s28
	s_mov_b32 s33, 10
	s_movk_i32 s38, 0xff
	v_mov_b32_e32 v11, 4
	v_mov_b32_e32 v12, 1
	;; [unrolled: 1-line block ×10, first 2 shown]
	v_cmp_gt_u32_e32 vcc, 4, v0
	v_cmp_lt_u32_e64 s[0:1], 63, v0
	v_cmp_eq_u32_e64 s[2:3], 0, v0
	v_cmp_lt_u32_e64 s[6:7], 31, v4
	v_cmp_eq_u32_e64 s[18:19], v0, v23
	v_cmp_eq_u32_e64 s[20:21], 0, v26
	v_cmp_lt_u32_e64 s[22:23], 1, v26
	v_lshl_add_u32 v23, v4, 2, v6
	v_add_u32_e32 v24, -4, v21
	v_mov_b32_e32 v8, s37
	v_and_b32_e32 v26, 0xffffffc, v1
	v_mov_b32_e32 v10, s29
	s_waitcnt vmcnt(0)
	v_add_u32_e32 v27, 1, v3
	v_xor_b32_e32 v28, 0x80000000, v3
	s_branch .LBB217_2
.LBB217_1:                              ;   in Loop: Header=BB217_2 Depth=1
	s_or_b64 exec, exec, s[24:25]
	s_waitcnt lgkmcnt(0)
	v_add_u32_e32 v4, v30, v4
	ds_bpermute_b32 v4, v25, v4
	s_add_i32 s33, s33, -1
	s_cmp_eq_u32 s33, 0
	s_waitcnt lgkmcnt(0)
	v_cndmask_b32_e64 v4, v4, v30, s[4:5]
	v_cndmask_b32_e64 v30, v4, 0, s[2:3]
	v_add_u32_e32 v31, v30, v1
	v_add_u32_e32 v1, v31, v2
	;; [unrolled: 1-line block ×3, first 2 shown]
	ds_write2_b64 v20, v[30:31], v[1:2] offset0:2 offset1:3
	s_waitcnt lgkmcnt(0)
	s_barrier
	ds_read_b32 v1, v28 offset:16
	v_lshlrev_b32_e32 v2, 2, v6
	s_waitcnt lgkmcnt(0)
	s_barrier
	v_lshl_add_u32 v1, v1, 2, v2
	ds_write_b32 v1, v27
	s_waitcnt lgkmcnt(0)
	s_barrier
	ds_read_b32 v28, v22
	s_waitcnt lgkmcnt(0)
	s_barrier
	ds_write_b32 v1, v29
	s_waitcnt lgkmcnt(0)
	s_barrier
	ds_read_b32 v27, v22
	s_cbranch_scc1 .LBB217_34
.LBB217_2:                              ; =>This Inner Loop Header: Depth=1
	v_and_b32_e32 v1, 1, v28
	v_add_co_u32_e64 v2, s[24:25], -1, v1
	v_addc_co_u32_e64 v4, s[24:25], 0, -1, s[24:25]
	v_cmp_ne_u32_e64 s[24:25], 0, v1
	v_lshlrev_b32_e32 v6, 30, v28
	v_xor_b32_e32 v1, s25, v4
	v_xor_b32_e32 v2, s24, v2
	v_cmp_gt_i64_e64 s[24:25], 0, v[5:6]
	v_not_b32_e32 v4, v6
	v_ashrrev_i32_e32 v4, 31, v4
	v_and_b32_e32 v1, exec_hi, v1
	v_xor_b32_e32 v6, s25, v4
	v_and_b32_e32 v2, exec_lo, v2
	v_xor_b32_e32 v4, s24, v4
	v_and_b32_e32 v1, v1, v6
	v_lshlrev_b32_e32 v6, 29, v28
	v_and_b32_e32 v2, v2, v4
	v_cmp_gt_i64_e64 s[24:25], 0, v[5:6]
	v_not_b32_e32 v4, v6
	v_ashrrev_i32_e32 v4, 31, v4
	v_xor_b32_e32 v6, s25, v4
	v_xor_b32_e32 v4, s24, v4
	v_and_b32_e32 v1, v1, v6
	v_lshlrev_b32_e32 v6, 28, v28
	v_and_b32_e32 v2, v2, v4
	v_cmp_gt_i64_e64 s[24:25], 0, v[5:6]
	v_not_b32_e32 v4, v6
	v_ashrrev_i32_e32 v4, 31, v4
	v_xor_b32_e32 v6, s25, v4
	;; [unrolled: 8-line block ×6, first 2 shown]
	v_xor_b32_e32 v29, s24, v2
	v_and_b32_e32 v2, v1, v6
	v_and_b32_e32 v1, v4, v29
	v_mbcnt_lo_u32_b32 v4, v1, 0
	v_mbcnt_hi_u32_b32 v6, v2, v4
	v_cmp_ne_u64_e64 s[24:25], 0, v[1:2]
	v_lshlrev_b32_sdwa v3, v11, v28 dst_sel:DWORD dst_unused:UNUSED_PAD src0_sel:DWORD src1_sel:BYTE_0
	v_cmp_eq_u32_e64 s[26:27], 0, v6
	s_and_b64 s[26:27], s[24:25], s[26:27]
	v_add_u32_e32 v29, v26, v3
	ds_write2_b64 v20, v[7:8], v[9:10] offset0:2 offset1:3
	s_waitcnt lgkmcnt(0)
	s_barrier
	; wave barrier
	s_and_saveexec_b64 s[24:25], s[26:27]
; %bb.3:                                ;   in Loop: Header=BB217_2 Depth=1
	v_bcnt_u32_b32 v1, v1, 0
	v_bcnt_u32_b32 v1, v2, v1
	ds_write_b32 v29, v1 offset:16
; %bb.4:                                ;   in Loop: Header=BB217_2 Depth=1
	s_or_b64 exec, exec, s[24:25]
	; wave barrier
	s_waitcnt lgkmcnt(0)
	s_barrier
	ds_read2_b64 v[1:4], v20 offset0:2 offset1:3
	s_waitcnt lgkmcnt(0)
	v_add_u32_e32 v30, v2, v1
	v_add3_u32 v4, v30, v3, v4
	s_nop 1
	v_mov_b32_dpp v30, v4 row_shr:1 row_mask:0xf bank_mask:0xf
	v_cndmask_b32_e64 v30, v30, 0, s[8:9]
	v_add_u32_e32 v4, v30, v4
	s_nop 1
	v_mov_b32_dpp v30, v4 row_shr:2 row_mask:0xf bank_mask:0xf
	v_cndmask_b32_e64 v30, 0, v30, s[10:11]
	v_add_u32_e32 v4, v4, v30
	;; [unrolled: 4-line block ×4, first 2 shown]
	s_nop 1
	v_mov_b32_dpp v30, v4 row_bcast:15 row_mask:0xf bank_mask:0xf
	v_cndmask_b32_e64 v30, v30, 0, s[16:17]
	v_add_u32_e32 v4, v4, v30
	s_nop 1
	v_mov_b32_dpp v30, v4 row_bcast:31 row_mask:0xf bank_mask:0xf
	v_cndmask_b32_e64 v30, 0, v30, s[6:7]
	v_add_u32_e32 v4, v4, v30
	s_and_saveexec_b64 s[24:25], s[18:19]
; %bb.5:                                ;   in Loop: Header=BB217_2 Depth=1
	ds_write_b32 v21, v4
; %bb.6:                                ;   in Loop: Header=BB217_2 Depth=1
	s_or_b64 exec, exec, s[24:25]
	s_waitcnt lgkmcnt(0)
	s_barrier
	s_and_saveexec_b64 s[24:25], vcc
	s_cbranch_execz .LBB217_8
; %bb.7:                                ;   in Loop: Header=BB217_2 Depth=1
	ds_read_b32 v30, v22
	s_waitcnt lgkmcnt(0)
	s_nop 0
	v_mov_b32_dpp v31, v30 row_shr:1 row_mask:0xf bank_mask:0xf
	v_cndmask_b32_e64 v31, v31, 0, s[20:21]
	v_add_u32_e32 v30, v31, v30
	s_nop 1
	v_mov_b32_dpp v31, v30 row_shr:2 row_mask:0xf bank_mask:0xf
	v_cndmask_b32_e64 v31, 0, v31, s[22:23]
	v_add_u32_e32 v30, v30, v31
	ds_write_b32 v22, v30
.LBB217_8:                              ;   in Loop: Header=BB217_2 Depth=1
	s_or_b64 exec, exec, s[24:25]
	v_mov_b32_e32 v30, 0
	s_waitcnt lgkmcnt(0)
	s_barrier
	s_and_saveexec_b64 s[24:25], s[0:1]
; %bb.9:                                ;   in Loop: Header=BB217_2 Depth=1
	ds_read_b32 v30, v24
; %bb.10:                               ;   in Loop: Header=BB217_2 Depth=1
	s_or_b64 exec, exec, s[24:25]
	s_waitcnt lgkmcnt(0)
	v_add_u32_e32 v4, v30, v4
	ds_bpermute_b32 v4, v25, v4
	s_waitcnt lgkmcnt(0)
	v_cndmask_b32_e64 v4, v4, v30, s[4:5]
	v_cndmask_b32_e64 v30, v4, 0, s[2:3]
	v_add_u32_e32 v31, v30, v1
	v_add_u32_e32 v1, v31, v2
	;; [unrolled: 1-line block ×3, first 2 shown]
	ds_write2_b64 v20, v[30:31], v[1:2] offset0:2 offset1:3
	s_waitcnt lgkmcnt(0)
	s_barrier
	ds_read_b32 v1, v29 offset:16
	v_lshlrev_b32_e32 v2, 2, v6
	s_waitcnt lgkmcnt(0)
	s_barrier
	v_lshl_add_u32 v1, v1, 2, v2
	ds_write_b32 v1, v28
	s_waitcnt lgkmcnt(0)
	s_barrier
	ds_read_b32 v28, v23
	s_waitcnt lgkmcnt(0)
	s_barrier
	ds_write_b32 v1, v27
	v_lshrrev_b32_e32 v1, 8, v28
	v_and_b32_e32 v2, 1, v1
	v_add_co_u32_e64 v4, s[24:25], -1, v2
	v_addc_co_u32_e64 v6, s[24:25], 0, -1, s[24:25]
	v_cmp_ne_u32_e64 s[24:25], 0, v2
	v_xor_b32_e32 v2, s25, v6
	v_lshlrev_b32_e32 v6, 30, v1
	v_xor_b32_e32 v4, s24, v4
	v_cmp_gt_i64_e64 s[24:25], 0, v[5:6]
	v_not_b32_e32 v6, v6
	v_ashrrev_i32_e32 v6, 31, v6
	v_and_b32_e32 v4, exec_lo, v4
	v_xor_b32_e32 v27, s25, v6
	v_xor_b32_e32 v6, s24, v6
	v_and_b32_e32 v4, v4, v6
	v_lshlrev_b32_e32 v6, 29, v1
	v_cmp_gt_i64_e64 s[24:25], 0, v[5:6]
	v_not_b32_e32 v6, v6
	v_and_b32_e32 v2, exec_hi, v2
	v_ashrrev_i32_e32 v6, 31, v6
	v_and_b32_e32 v2, v2, v27
	v_xor_b32_e32 v27, s25, v6
	v_xor_b32_e32 v6, s24, v6
	v_and_b32_e32 v4, v4, v6
	v_lshlrev_b32_e32 v6, 28, v1
	v_cmp_gt_i64_e64 s[24:25], 0, v[5:6]
	v_not_b32_e32 v6, v6
	v_ashrrev_i32_e32 v6, 31, v6
	v_and_b32_e32 v2, v2, v27
	v_xor_b32_e32 v27, s25, v6
	v_xor_b32_e32 v6, s24, v6
	v_and_b32_e32 v4, v4, v6
	v_lshlrev_b32_e32 v6, 27, v1
	v_cmp_gt_i64_e64 s[24:25], 0, v[5:6]
	v_not_b32_e32 v6, v6
	;; [unrolled: 8-line block ×4, first 2 shown]
	v_ashrrev_i32_e32 v6, 31, v6
	v_and_b32_e32 v2, v2, v27
	v_xor_b32_e32 v27, s25, v6
	v_xor_b32_e32 v6, s24, v6
	v_and_b32_e32 v4, v4, v6
	v_lshlrev_b32_e32 v6, 24, v1
	v_lshlrev_b32_sdwa v3, v11, v1 dst_sel:DWORD dst_unused:UNUSED_PAD src0_sel:DWORD src1_sel:BYTE_0
	v_cmp_gt_i64_e64 s[24:25], 0, v[5:6]
	v_not_b32_e32 v1, v6
	v_ashrrev_i32_e32 v1, 31, v1
	v_xor_b32_e32 v6, s25, v1
	v_xor_b32_e32 v1, s24, v1
	s_waitcnt lgkmcnt(0)
	s_barrier
	ds_read_b32 v29, v23
	v_and_b32_e32 v2, v2, v27
	v_and_b32_e32 v1, v4, v1
	;; [unrolled: 1-line block ×3, first 2 shown]
	v_mbcnt_lo_u32_b32 v4, v1, 0
	v_mbcnt_hi_u32_b32 v6, v2, v4
	v_cmp_ne_u64_e64 s[24:25], 0, v[1:2]
	v_cmp_eq_u32_e64 s[26:27], 0, v6
	s_and_b64 s[26:27], s[24:25], s[26:27]
	v_add_u32_e32 v27, v26, v3
	s_waitcnt lgkmcnt(0)
	s_barrier
	ds_write2_b64 v20, v[7:8], v[9:10] offset0:2 offset1:3
	s_waitcnt lgkmcnt(0)
	s_barrier
	; wave barrier
	s_and_saveexec_b64 s[24:25], s[26:27]
; %bb.11:                               ;   in Loop: Header=BB217_2 Depth=1
	v_bcnt_u32_b32 v1, v1, 0
	v_bcnt_u32_b32 v1, v2, v1
	ds_write_b32 v27, v1 offset:16
; %bb.12:                               ;   in Loop: Header=BB217_2 Depth=1
	s_or_b64 exec, exec, s[24:25]
	; wave barrier
	s_waitcnt lgkmcnt(0)
	s_barrier
	ds_read2_b64 v[1:4], v20 offset0:2 offset1:3
	s_waitcnt lgkmcnt(0)
	v_add_u32_e32 v30, v2, v1
	v_add3_u32 v4, v30, v3, v4
	s_nop 1
	v_mov_b32_dpp v30, v4 row_shr:1 row_mask:0xf bank_mask:0xf
	v_cndmask_b32_e64 v30, v30, 0, s[8:9]
	v_add_u32_e32 v4, v30, v4
	s_nop 1
	v_mov_b32_dpp v30, v4 row_shr:2 row_mask:0xf bank_mask:0xf
	v_cndmask_b32_e64 v30, 0, v30, s[10:11]
	v_add_u32_e32 v4, v4, v30
	;; [unrolled: 4-line block ×4, first 2 shown]
	s_nop 1
	v_mov_b32_dpp v30, v4 row_bcast:15 row_mask:0xf bank_mask:0xf
	v_cndmask_b32_e64 v30, v30, 0, s[16:17]
	v_add_u32_e32 v4, v4, v30
	s_nop 1
	v_mov_b32_dpp v30, v4 row_bcast:31 row_mask:0xf bank_mask:0xf
	v_cndmask_b32_e64 v30, 0, v30, s[6:7]
	v_add_u32_e32 v4, v4, v30
	s_and_saveexec_b64 s[24:25], s[18:19]
; %bb.13:                               ;   in Loop: Header=BB217_2 Depth=1
	ds_write_b32 v21, v4
; %bb.14:                               ;   in Loop: Header=BB217_2 Depth=1
	s_or_b64 exec, exec, s[24:25]
	s_waitcnt lgkmcnt(0)
	s_barrier
	s_and_saveexec_b64 s[24:25], vcc
	s_cbranch_execz .LBB217_16
; %bb.15:                               ;   in Loop: Header=BB217_2 Depth=1
	ds_read_b32 v30, v22
	s_waitcnt lgkmcnt(0)
	s_nop 0
	v_mov_b32_dpp v31, v30 row_shr:1 row_mask:0xf bank_mask:0xf
	v_cndmask_b32_e64 v31, v31, 0, s[20:21]
	v_add_u32_e32 v30, v31, v30
	s_nop 1
	v_mov_b32_dpp v31, v30 row_shr:2 row_mask:0xf bank_mask:0xf
	v_cndmask_b32_e64 v31, 0, v31, s[22:23]
	v_add_u32_e32 v30, v30, v31
	ds_write_b32 v22, v30
.LBB217_16:                             ;   in Loop: Header=BB217_2 Depth=1
	s_or_b64 exec, exec, s[24:25]
	v_mov_b32_e32 v30, 0
	s_waitcnt lgkmcnt(0)
	s_barrier
	s_and_saveexec_b64 s[24:25], s[0:1]
; %bb.17:                               ;   in Loop: Header=BB217_2 Depth=1
	ds_read_b32 v30, v24
; %bb.18:                               ;   in Loop: Header=BB217_2 Depth=1
	s_or_b64 exec, exec, s[24:25]
	s_waitcnt lgkmcnt(0)
	v_add_u32_e32 v4, v30, v4
	ds_bpermute_b32 v4, v25, v4
	s_waitcnt lgkmcnt(0)
	v_cndmask_b32_e64 v4, v4, v30, s[4:5]
	v_cndmask_b32_e64 v30, v4, 0, s[2:3]
	v_add_u32_e32 v31, v30, v1
	v_add_u32_e32 v1, v31, v2
	;; [unrolled: 1-line block ×3, first 2 shown]
	ds_write2_b64 v20, v[30:31], v[1:2] offset0:2 offset1:3
	s_waitcnt lgkmcnt(0)
	s_barrier
	ds_read_b32 v1, v27 offset:16
	v_lshlrev_b32_e32 v2, 2, v6
	s_waitcnt lgkmcnt(0)
	s_barrier
	v_lshl_add_u32 v1, v1, 2, v2
	ds_write_b32 v1, v28
	s_waitcnt lgkmcnt(0)
	s_barrier
	ds_read_b32 v27, v23
	s_waitcnt lgkmcnt(0)
	s_barrier
	ds_write_b32 v1, v29
	v_mov_b32_e32 v1, s36
	v_mov_b32_e32 v3, s28
	;; [unrolled: 1-line block ×4, first 2 shown]
	s_waitcnt lgkmcnt(0)
	s_barrier
	ds_read_b32 v28, v23
	s_waitcnt lgkmcnt(0)
	s_barrier
	ds_write2_b64 v20, v[1:2], v[3:4] offset0:2 offset1:3
	v_and_b32_sdwa v1, v27, s38 dst_sel:DWORD dst_unused:UNUSED_PAD src0_sel:WORD_1 src1_sel:DWORD
	v_lshlrev_b32_e32 v3, 4, v1
	v_and_b32_sdwa v1, v27, v12 dst_sel:DWORD dst_unused:UNUSED_PAD src0_sel:WORD_1 src1_sel:DWORD
	v_add_co_u32_e64 v2, s[24:25], -1, v1
	v_addc_co_u32_e64 v4, s[24:25], 0, -1, s[24:25]
	v_cmp_ne_u32_e64 s[24:25], 0, v1
	v_lshlrev_b32_sdwa v6, v13, v27 dst_sel:DWORD dst_unused:UNUSED_PAD src0_sel:DWORD src1_sel:WORD_1
	v_xor_b32_e32 v1, s25, v4
	v_xor_b32_e32 v2, s24, v2
	v_cmp_gt_i64_e64 s[24:25], 0, v[5:6]
	v_not_b32_e32 v4, v6
	v_ashrrev_i32_e32 v4, 31, v4
	v_and_b32_e32 v1, exec_hi, v1
	v_xor_b32_e32 v6, s25, v4
	v_and_b32_e32 v2, exec_lo, v2
	v_xor_b32_e32 v4, s24, v4
	v_and_b32_e32 v1, v1, v6
	v_lshlrev_b32_sdwa v6, v14, v27 dst_sel:DWORD dst_unused:UNUSED_PAD src0_sel:DWORD src1_sel:WORD_1
	v_and_b32_e32 v2, v2, v4
	v_cmp_gt_i64_e64 s[24:25], 0, v[5:6]
	v_not_b32_e32 v4, v6
	v_ashrrev_i32_e32 v4, 31, v4
	v_xor_b32_e32 v6, s25, v4
	v_xor_b32_e32 v4, s24, v4
	v_and_b32_e32 v1, v1, v6
	v_lshlrev_b32_sdwa v6, v15, v27 dst_sel:DWORD dst_unused:UNUSED_PAD src0_sel:DWORD src1_sel:WORD_1
	v_and_b32_e32 v2, v2, v4
	v_cmp_gt_i64_e64 s[24:25], 0, v[5:6]
	v_not_b32_e32 v4, v6
	v_ashrrev_i32_e32 v4, 31, v4
	v_xor_b32_e32 v6, s25, v4
	;; [unrolled: 8-line block ×6, first 2 shown]
	v_xor_b32_e32 v29, s24, v2
	v_and_b32_e32 v2, v1, v6
	v_and_b32_e32 v1, v4, v29
	v_mbcnt_lo_u32_b32 v4, v1, 0
	v_mbcnt_hi_u32_b32 v6, v2, v4
	v_cmp_ne_u64_e64 s[24:25], 0, v[1:2]
	v_cmp_eq_u32_e64 s[26:27], 0, v6
	s_and_b64 s[26:27], s[24:25], s[26:27]
	v_add_u32_e32 v29, v26, v3
	s_waitcnt lgkmcnt(0)
	s_barrier
	; wave barrier
	s_and_saveexec_b64 s[24:25], s[26:27]
; %bb.19:                               ;   in Loop: Header=BB217_2 Depth=1
	v_bcnt_u32_b32 v1, v1, 0
	v_bcnt_u32_b32 v1, v2, v1
	ds_write_b32 v29, v1 offset:16
; %bb.20:                               ;   in Loop: Header=BB217_2 Depth=1
	s_or_b64 exec, exec, s[24:25]
	; wave barrier
	s_waitcnt lgkmcnt(0)
	s_barrier
	ds_read2_b64 v[1:4], v20 offset0:2 offset1:3
	s_waitcnt lgkmcnt(0)
	v_add_u32_e32 v30, v2, v1
	v_add3_u32 v4, v30, v3, v4
	s_nop 1
	v_mov_b32_dpp v30, v4 row_shr:1 row_mask:0xf bank_mask:0xf
	v_cndmask_b32_e64 v30, v30, 0, s[8:9]
	v_add_u32_e32 v4, v30, v4
	s_nop 1
	v_mov_b32_dpp v30, v4 row_shr:2 row_mask:0xf bank_mask:0xf
	v_cndmask_b32_e64 v30, 0, v30, s[10:11]
	v_add_u32_e32 v4, v4, v30
	;; [unrolled: 4-line block ×4, first 2 shown]
	s_nop 1
	v_mov_b32_dpp v30, v4 row_bcast:15 row_mask:0xf bank_mask:0xf
	v_cndmask_b32_e64 v30, v30, 0, s[16:17]
	v_add_u32_e32 v4, v4, v30
	s_nop 1
	v_mov_b32_dpp v30, v4 row_bcast:31 row_mask:0xf bank_mask:0xf
	v_cndmask_b32_e64 v30, 0, v30, s[6:7]
	v_add_u32_e32 v4, v4, v30
	s_and_saveexec_b64 s[24:25], s[18:19]
; %bb.21:                               ;   in Loop: Header=BB217_2 Depth=1
	ds_write_b32 v21, v4
; %bb.22:                               ;   in Loop: Header=BB217_2 Depth=1
	s_or_b64 exec, exec, s[24:25]
	s_waitcnt lgkmcnt(0)
	s_barrier
	s_and_saveexec_b64 s[24:25], vcc
	s_cbranch_execz .LBB217_24
; %bb.23:                               ;   in Loop: Header=BB217_2 Depth=1
	ds_read_b32 v30, v22
	s_waitcnt lgkmcnt(0)
	s_nop 0
	v_mov_b32_dpp v31, v30 row_shr:1 row_mask:0xf bank_mask:0xf
	v_cndmask_b32_e64 v31, v31, 0, s[20:21]
	v_add_u32_e32 v30, v31, v30
	s_nop 1
	v_mov_b32_dpp v31, v30 row_shr:2 row_mask:0xf bank_mask:0xf
	v_cndmask_b32_e64 v31, 0, v31, s[22:23]
	v_add_u32_e32 v30, v30, v31
	ds_write_b32 v22, v30
.LBB217_24:                             ;   in Loop: Header=BB217_2 Depth=1
	s_or_b64 exec, exec, s[24:25]
	v_mov_b32_e32 v30, 0
	s_waitcnt lgkmcnt(0)
	s_barrier
	s_and_saveexec_b64 s[24:25], s[0:1]
; %bb.25:                               ;   in Loop: Header=BB217_2 Depth=1
	ds_read_b32 v30, v24
; %bb.26:                               ;   in Loop: Header=BB217_2 Depth=1
	s_or_b64 exec, exec, s[24:25]
	s_waitcnt lgkmcnt(0)
	v_add_u32_e32 v4, v30, v4
	ds_bpermute_b32 v4, v25, v4
	s_waitcnt lgkmcnt(0)
	v_cndmask_b32_e64 v4, v4, v30, s[4:5]
	v_cndmask_b32_e64 v30, v4, 0, s[2:3]
	v_add_u32_e32 v31, v30, v1
	v_add_u32_e32 v1, v31, v2
	;; [unrolled: 1-line block ×3, first 2 shown]
	ds_write2_b64 v20, v[30:31], v[1:2] offset0:2 offset1:3
	s_waitcnt lgkmcnt(0)
	s_barrier
	ds_read_b32 v1, v29 offset:16
	v_lshlrev_b32_e32 v2, 2, v6
	s_waitcnt lgkmcnt(0)
	s_barrier
	v_lshl_add_u32 v1, v1, 2, v2
	ds_write_b32 v1, v27
	s_waitcnt lgkmcnt(0)
	s_barrier
	ds_read_b32 v27, v23
	s_waitcnt lgkmcnt(0)
	s_barrier
	ds_write_b32 v1, v28
	v_mov_b32_e32 v1, s36
	v_mov_b32_e32 v3, s28
	;; [unrolled: 1-line block ×4, first 2 shown]
	s_waitcnt lgkmcnt(0)
	s_barrier
	ds_read_b32 v29, v23
	s_waitcnt lgkmcnt(0)
	s_barrier
	ds_write2_b64 v20, v[1:2], v[3:4] offset0:2 offset1:3
	v_and_b32_sdwa v1, v27, v12 dst_sel:DWORD dst_unused:UNUSED_PAD src0_sel:BYTE_3 src1_sel:DWORD
	v_add_co_u32_e64 v2, s[24:25], -1, v1
	v_addc_co_u32_e64 v4, s[24:25], 0, -1, s[24:25]
	v_cmp_ne_u32_e64 s[24:25], 0, v1
	v_lshlrev_b32_sdwa v6, v13, v27 dst_sel:DWORD dst_unused:UNUSED_PAD src0_sel:DWORD src1_sel:BYTE_3
	v_xor_b32_e32 v1, s25, v4
	v_xor_b32_e32 v2, s24, v2
	v_cmp_gt_i64_e64 s[24:25], 0, v[5:6]
	v_not_b32_e32 v4, v6
	v_ashrrev_i32_e32 v4, 31, v4
	v_and_b32_e32 v1, exec_hi, v1
	v_xor_b32_e32 v6, s25, v4
	v_and_b32_e32 v2, exec_lo, v2
	v_xor_b32_e32 v4, s24, v4
	v_and_b32_e32 v1, v1, v6
	v_lshlrev_b32_sdwa v6, v14, v27 dst_sel:DWORD dst_unused:UNUSED_PAD src0_sel:DWORD src1_sel:BYTE_3
	v_and_b32_e32 v2, v2, v4
	v_cmp_gt_i64_e64 s[24:25], 0, v[5:6]
	v_not_b32_e32 v4, v6
	v_ashrrev_i32_e32 v4, 31, v4
	v_xor_b32_e32 v6, s25, v4
	v_xor_b32_e32 v4, s24, v4
	v_and_b32_e32 v1, v1, v6
	v_lshlrev_b32_sdwa v6, v15, v27 dst_sel:DWORD dst_unused:UNUSED_PAD src0_sel:DWORD src1_sel:BYTE_3
	v_and_b32_e32 v2, v2, v4
	v_cmp_gt_i64_e64 s[24:25], 0, v[5:6]
	v_not_b32_e32 v4, v6
	v_ashrrev_i32_e32 v4, 31, v4
	v_xor_b32_e32 v6, s25, v4
	;; [unrolled: 8-line block ×6, first 2 shown]
	v_xor_b32_e32 v28, s24, v2
	v_and_b32_e32 v2, v1, v6
	v_and_b32_e32 v1, v4, v28
	v_mbcnt_lo_u32_b32 v4, v1, 0
	v_mbcnt_hi_u32_b32 v6, v2, v4
	v_cmp_ne_u64_e64 s[24:25], 0, v[1:2]
	v_lshlrev_b32_sdwa v3, v11, v27 dst_sel:DWORD dst_unused:UNUSED_PAD src0_sel:DWORD src1_sel:BYTE_3
	v_cmp_eq_u32_e64 s[26:27], 0, v6
	s_and_b64 s[26:27], s[24:25], s[26:27]
	v_add_u32_e32 v28, v26, v3
	s_waitcnt lgkmcnt(0)
	s_barrier
	; wave barrier
	s_and_saveexec_b64 s[24:25], s[26:27]
; %bb.27:                               ;   in Loop: Header=BB217_2 Depth=1
	v_bcnt_u32_b32 v1, v1, 0
	v_bcnt_u32_b32 v1, v2, v1
	ds_write_b32 v28, v1 offset:16
; %bb.28:                               ;   in Loop: Header=BB217_2 Depth=1
	s_or_b64 exec, exec, s[24:25]
	; wave barrier
	s_waitcnt lgkmcnt(0)
	s_barrier
	ds_read2_b64 v[1:4], v20 offset0:2 offset1:3
	s_waitcnt lgkmcnt(0)
	v_add_u32_e32 v30, v2, v1
	v_add3_u32 v4, v30, v3, v4
	s_nop 1
	v_mov_b32_dpp v30, v4 row_shr:1 row_mask:0xf bank_mask:0xf
	v_cndmask_b32_e64 v30, v30, 0, s[8:9]
	v_add_u32_e32 v4, v30, v4
	s_nop 1
	v_mov_b32_dpp v30, v4 row_shr:2 row_mask:0xf bank_mask:0xf
	v_cndmask_b32_e64 v30, 0, v30, s[10:11]
	v_add_u32_e32 v4, v4, v30
	;; [unrolled: 4-line block ×4, first 2 shown]
	s_nop 1
	v_mov_b32_dpp v30, v4 row_bcast:15 row_mask:0xf bank_mask:0xf
	v_cndmask_b32_e64 v30, v30, 0, s[16:17]
	v_add_u32_e32 v4, v4, v30
	s_nop 1
	v_mov_b32_dpp v30, v4 row_bcast:31 row_mask:0xf bank_mask:0xf
	v_cndmask_b32_e64 v30, 0, v30, s[6:7]
	v_add_u32_e32 v4, v4, v30
	s_and_saveexec_b64 s[24:25], s[18:19]
; %bb.29:                               ;   in Loop: Header=BB217_2 Depth=1
	ds_write_b32 v21, v4
; %bb.30:                               ;   in Loop: Header=BB217_2 Depth=1
	s_or_b64 exec, exec, s[24:25]
	s_waitcnt lgkmcnt(0)
	s_barrier
	s_and_saveexec_b64 s[24:25], vcc
	s_cbranch_execz .LBB217_32
; %bb.31:                               ;   in Loop: Header=BB217_2 Depth=1
	ds_read_b32 v30, v22
	s_waitcnt lgkmcnt(0)
	s_nop 0
	v_mov_b32_dpp v31, v30 row_shr:1 row_mask:0xf bank_mask:0xf
	v_cndmask_b32_e64 v31, v31, 0, s[20:21]
	v_add_u32_e32 v30, v31, v30
	s_nop 1
	v_mov_b32_dpp v31, v30 row_shr:2 row_mask:0xf bank_mask:0xf
	v_cndmask_b32_e64 v31, 0, v31, s[22:23]
	v_add_u32_e32 v30, v30, v31
	ds_write_b32 v22, v30
.LBB217_32:                             ;   in Loop: Header=BB217_2 Depth=1
	s_or_b64 exec, exec, s[24:25]
	v_mov_b32_e32 v30, 0
	s_waitcnt lgkmcnt(0)
	s_barrier
	s_and_saveexec_b64 s[24:25], s[0:1]
	s_cbranch_execz .LBB217_1
; %bb.33:                               ;   in Loop: Header=BB217_2 Depth=1
	ds_read_b32 v30, v24
	s_branch .LBB217_1
.LBB217_34:
	s_brev_b32 s0, 1
	s_waitcnt lgkmcnt(0)
	v_add3_u32 v1, v27, v28, s0
	s_add_u32 s0, s30, s34
	s_addc_u32 s1, s31, s35
	v_lshlrev_b32_e32 v0, 2, v0
	global_store_dword v0, v1, s[0:1]
	s_endpgm
	.section	.rodata,"a",@progbits
	.p2align	6, 0x0
	.amdhsa_kernel _Z17sort_pairs_kernelI22helper_blocked_stripediLj256ELj1ELj10EEvPKT0_PS1_
		.amdhsa_group_segment_fixed_size 4112
		.amdhsa_private_segment_fixed_size 0
		.amdhsa_kernarg_size 272
		.amdhsa_user_sgpr_count 6
		.amdhsa_user_sgpr_private_segment_buffer 1
		.amdhsa_user_sgpr_dispatch_ptr 0
		.amdhsa_user_sgpr_queue_ptr 0
		.amdhsa_user_sgpr_kernarg_segment_ptr 1
		.amdhsa_user_sgpr_dispatch_id 0
		.amdhsa_user_sgpr_flat_scratch_init 0
		.amdhsa_user_sgpr_private_segment_size 0
		.amdhsa_uses_dynamic_stack 0
		.amdhsa_system_sgpr_private_segment_wavefront_offset 0
		.amdhsa_system_sgpr_workgroup_id_x 1
		.amdhsa_system_sgpr_workgroup_id_y 0
		.amdhsa_system_sgpr_workgroup_id_z 0
		.amdhsa_system_sgpr_workgroup_info 0
		.amdhsa_system_vgpr_workitem_id 2
		.amdhsa_next_free_vgpr 32
		.amdhsa_next_free_sgpr 39
		.amdhsa_reserve_vcc 1
		.amdhsa_reserve_flat_scratch 0
		.amdhsa_float_round_mode_32 0
		.amdhsa_float_round_mode_16_64 0
		.amdhsa_float_denorm_mode_32 3
		.amdhsa_float_denorm_mode_16_64 3
		.amdhsa_dx10_clamp 1
		.amdhsa_ieee_mode 1
		.amdhsa_fp16_overflow 0
		.amdhsa_exception_fp_ieee_invalid_op 0
		.amdhsa_exception_fp_denorm_src 0
		.amdhsa_exception_fp_ieee_div_zero 0
		.amdhsa_exception_fp_ieee_overflow 0
		.amdhsa_exception_fp_ieee_underflow 0
		.amdhsa_exception_fp_ieee_inexact 0
		.amdhsa_exception_int_div_zero 0
	.end_amdhsa_kernel
	.section	.text._Z17sort_pairs_kernelI22helper_blocked_stripediLj256ELj1ELj10EEvPKT0_PS1_,"axG",@progbits,_Z17sort_pairs_kernelI22helper_blocked_stripediLj256ELj1ELj10EEvPKT0_PS1_,comdat
.Lfunc_end217:
	.size	_Z17sort_pairs_kernelI22helper_blocked_stripediLj256ELj1ELj10EEvPKT0_PS1_, .Lfunc_end217-_Z17sort_pairs_kernelI22helper_blocked_stripediLj256ELj1ELj10EEvPKT0_PS1_
                                        ; -- End function
	.set _Z17sort_pairs_kernelI22helper_blocked_stripediLj256ELj1ELj10EEvPKT0_PS1_.num_vgpr, 32
	.set _Z17sort_pairs_kernelI22helper_blocked_stripediLj256ELj1ELj10EEvPKT0_PS1_.num_agpr, 0
	.set _Z17sort_pairs_kernelI22helper_blocked_stripediLj256ELj1ELj10EEvPKT0_PS1_.numbered_sgpr, 39
	.set _Z17sort_pairs_kernelI22helper_blocked_stripediLj256ELj1ELj10EEvPKT0_PS1_.num_named_barrier, 0
	.set _Z17sort_pairs_kernelI22helper_blocked_stripediLj256ELj1ELj10EEvPKT0_PS1_.private_seg_size, 0
	.set _Z17sort_pairs_kernelI22helper_blocked_stripediLj256ELj1ELj10EEvPKT0_PS1_.uses_vcc, 1
	.set _Z17sort_pairs_kernelI22helper_blocked_stripediLj256ELj1ELj10EEvPKT0_PS1_.uses_flat_scratch, 0
	.set _Z17sort_pairs_kernelI22helper_blocked_stripediLj256ELj1ELj10EEvPKT0_PS1_.has_dyn_sized_stack, 0
	.set _Z17sort_pairs_kernelI22helper_blocked_stripediLj256ELj1ELj10EEvPKT0_PS1_.has_recursion, 0
	.set _Z17sort_pairs_kernelI22helper_blocked_stripediLj256ELj1ELj10EEvPKT0_PS1_.has_indirect_call, 0
	.section	.AMDGPU.csdata,"",@progbits
; Kernel info:
; codeLenInByte = 3968
; TotalNumSgprs: 43
; NumVgprs: 32
; ScratchSize: 0
; MemoryBound: 0
; FloatMode: 240
; IeeeMode: 1
; LDSByteSize: 4112 bytes/workgroup (compile time only)
; SGPRBlocks: 5
; VGPRBlocks: 7
; NumSGPRsForWavesPerEU: 43
; NumVGPRsForWavesPerEU: 32
; Occupancy: 8
; WaveLimiterHint : 0
; COMPUTE_PGM_RSRC2:SCRATCH_EN: 0
; COMPUTE_PGM_RSRC2:USER_SGPR: 6
; COMPUTE_PGM_RSRC2:TRAP_HANDLER: 0
; COMPUTE_PGM_RSRC2:TGID_X_EN: 1
; COMPUTE_PGM_RSRC2:TGID_Y_EN: 0
; COMPUTE_PGM_RSRC2:TGID_Z_EN: 0
; COMPUTE_PGM_RSRC2:TIDIG_COMP_CNT: 2
	.section	.text._Z16sort_keys_kernelI22helper_blocked_stripediLj256ELj3ELj10EEvPKT0_PS1_,"axG",@progbits,_Z16sort_keys_kernelI22helper_blocked_stripediLj256ELj3ELj10EEvPKT0_PS1_,comdat
	.protected	_Z16sort_keys_kernelI22helper_blocked_stripediLj256ELj3ELj10EEvPKT0_PS1_ ; -- Begin function _Z16sort_keys_kernelI22helper_blocked_stripediLj256ELj3ELj10EEvPKT0_PS1_
	.globl	_Z16sort_keys_kernelI22helper_blocked_stripediLj256ELj3ELj10EEvPKT0_PS1_
	.p2align	8
	.type	_Z16sort_keys_kernelI22helper_blocked_stripediLj256ELj3ELj10EEvPKT0_PS1_,@function
_Z16sort_keys_kernelI22helper_blocked_stripediLj256ELj3ELj10EEvPKT0_PS1_: ; @_Z16sort_keys_kernelI22helper_blocked_stripediLj256ELj3ELj10EEvPKT0_PS1_
; %bb.0:
	s_load_dwordx4 s[28:31], s[4:5], 0x0
	s_load_dword s2, s[4:5], 0x1c
	s_mul_i32 s34, s6, 0x300
	s_mov_b32 s35, 0
	s_lshl_b64 s[36:37], s[34:35], 2
	s_waitcnt lgkmcnt(0)
	s_add_u32 s0, s28, s36
	v_mul_u32_u24_e32 v3, 3, v0
	s_addc_u32 s1, s29, s37
	v_lshlrev_b32_e32 v3, 2, v3
	global_load_dwordx3 v[3:5], v3, s[0:1]
	s_lshr_b32 s0, s2, 16
	v_mbcnt_lo_u32_b32 v6, -1, 0
	s_and_b32 s1, s2, 0xffff
	v_mad_u32_u24 v1, v2, s0, v1
	v_mbcnt_hi_u32_b32 v6, -1, v6
	v_mad_u64_u32 v[1:2], s[0:1], v1, s1, v[0:1]
	v_lshrrev_b32_e32 v7, 6, v0
	v_and_b32_e32 v2, 15, v6
	v_mul_u32_u24_e32 v8, 0xc0, v7
	v_cmp_eq_u32_e64 s[0:1], 0, v2
	v_cmp_lt_u32_e64 s[2:3], 1, v2
	v_cmp_lt_u32_e64 s[4:5], 3, v2
	;; [unrolled: 1-line block ×3, first 2 shown]
	v_and_b32_e32 v2, 16, v6
	v_lshlrev_b32_e32 v8, 2, v8
	v_lshlrev_b32_e32 v10, 2, v6
	v_cmp_eq_u32_e64 s[8:9], 0, v2
	v_and_b32_e32 v2, 0xc0, v0
	v_mad_u32_u24 v12, v6, 12, v8
	v_add_u32_e32 v13, v10, v8
	v_or_b32_e32 v8, 63, v2
	v_cmp_eq_u32_e64 s[12:13], v0, v8
	v_subrev_co_u32_e64 v8, s[18:19], 1, v6
	v_and_b32_e32 v9, 64, v6
	v_cmp_lt_i32_e32 vcc, v8, v9
	v_cmp_lt_u32_e64 s[10:11], 31, v6
	v_cndmask_b32_e32 v8, v8, v6, vcc
	v_and_b32_e32 v6, 3, v6
	s_mov_b32 s34, s35
	s_mov_b32 s26, s35
	v_lshlrev_b32_e32 v15, 2, v8
	v_lshlrev_b32_e32 v16, 2, v7
	v_cmp_eq_u32_e64 s[22:23], 0, v6
	v_cmp_lt_u32_e64 s[24:25], 1, v6
	v_mul_u32_u24_e32 v2, 12, v2
	v_lshrrev_b32_e32 v1, 4, v1
	s_mov_b32 s27, s35
	v_mov_b32_e32 v6, s34
	v_mov_b32_e32 v8, s26
	v_lshlrev_b32_e32 v14, 4, v0
	v_cmp_gt_u32_e64 s[14:15], 4, v0
	v_cmp_lt_u32_e64 s[16:17], 63, v0
	v_cmp_eq_u32_e64 s[20:21], 0, v0
	v_mul_i32_i24_e32 v17, -12, v0
	v_add_u32_e32 v18, -4, v16
	v_and_b32_e32 v19, 0xffffffc, v1
	v_mov_b32_e32 v7, s35
	v_mov_b32_e32 v9, s27
	v_add_u32_e32 v20, v10, v2
	v_mov_b32_e32 v10, 0
	v_mov_b32_e32 v21, 4
	s_branch .LBB218_2
.LBB218_1:                              ;   in Loop: Header=BB218_2 Depth=1
	v_lshlrev_b32_e32 v1, 2, v25
	s_barrier
	ds_write_b32 v1, v24
	v_lshlrev_b32_e32 v1, 2, v4
	ds_write_b32 v1, v22
	v_lshlrev_b32_e32 v1, 2, v3
	v_add_u32_e32 v3, v14, v17
	ds_write_b32 v1, v5
	s_waitcnt lgkmcnt(0)
	s_barrier
	ds_read2st64_b32 v[1:2], v3 offset1:4
	ds_read_b32 v5, v3 offset:2048
	s_add_i32 s35, s35, 1
	s_cmp_eq_u32 s35, 10
	s_waitcnt lgkmcnt(1)
	v_xor_b32_e32 v3, 0x80000000, v1
	v_xor_b32_e32 v4, 0x80000000, v2
	s_waitcnt lgkmcnt(0)
	v_xor_b32_e32 v5, 0x80000000, v5
	s_cbranch_scc1 .LBB218_18
.LBB218_2:                              ; =>This Loop Header: Depth=1
                                        ;     Child Loop BB218_4 Depth 2
	s_waitcnt vmcnt(0)
	v_xor_b32_e32 v1, 0x80000000, v3
	v_xor_b32_e32 v2, 0x80000000, v4
	;; [unrolled: 1-line block ×3, first 2 shown]
	ds_write2_b32 v12, v1, v2 offset1:1
	ds_write_b32 v12, v3 offset:8
	; wave barrier
	ds_read2st64_b32 v[1:2], v13 offset1:1
	ds_read_b32 v11, v13 offset:512
	v_mov_b32_e32 v23, v10
	s_waitcnt lgkmcnt(0)
	s_barrier
	; wave barrier
	s_barrier
	s_branch .LBB218_4
.LBB218_3:                              ;   in Loop: Header=BB218_4 Depth=2
	s_andn2_b64 vcc, exec, s[26:27]
	s_cbranch_vccz .LBB218_1
.LBB218_4:                              ;   Parent Loop BB218_2 Depth=1
                                        ; =>  This Inner Loop Header: Depth=2
	v_mov_b32_e32 v24, v1
	v_lshrrev_b32_e32 v1, v23, v24
	v_mov_b32_e32 v22, v2
	v_and_b32_e32 v2, 1, v1
	v_add_co_u32_e32 v4, vcc, -1, v2
	v_mov_b32_e32 v5, v11
	v_addc_co_u32_e64 v11, s[26:27], 0, -1, vcc
	v_cmp_ne_u32_e32 vcc, 0, v2
	v_xor_b32_e32 v2, vcc_hi, v11
	v_lshlrev_b32_e32 v11, 30, v1
	v_xor_b32_e32 v4, vcc_lo, v4
	v_cmp_gt_i64_e32 vcc, 0, v[10:11]
	v_not_b32_e32 v11, v11
	v_ashrrev_i32_e32 v11, 31, v11
	v_and_b32_e32 v4, exec_lo, v4
	v_xor_b32_e32 v25, vcc_hi, v11
	v_xor_b32_e32 v11, vcc_lo, v11
	v_and_b32_e32 v4, v4, v11
	v_lshlrev_b32_e32 v11, 29, v1
	v_cmp_gt_i64_e32 vcc, 0, v[10:11]
	v_not_b32_e32 v11, v11
	v_and_b32_e32 v2, exec_hi, v2
	v_ashrrev_i32_e32 v11, 31, v11
	v_and_b32_e32 v2, v2, v25
	v_xor_b32_e32 v25, vcc_hi, v11
	v_xor_b32_e32 v11, vcc_lo, v11
	v_and_b32_e32 v4, v4, v11
	v_lshlrev_b32_e32 v11, 28, v1
	v_cmp_gt_i64_e32 vcc, 0, v[10:11]
	v_not_b32_e32 v11, v11
	v_ashrrev_i32_e32 v11, 31, v11
	v_and_b32_e32 v2, v2, v25
	v_xor_b32_e32 v25, vcc_hi, v11
	v_xor_b32_e32 v11, vcc_lo, v11
	v_and_b32_e32 v4, v4, v11
	v_lshlrev_b32_e32 v11, 27, v1
	v_cmp_gt_i64_e32 vcc, 0, v[10:11]
	v_not_b32_e32 v11, v11
	;; [unrolled: 8-line block ×4, first 2 shown]
	v_ashrrev_i32_e32 v11, 31, v11
	v_and_b32_e32 v2, v2, v25
	v_xor_b32_e32 v25, vcc_hi, v11
	v_xor_b32_e32 v11, vcc_lo, v11
	v_and_b32_e32 v4, v4, v11
	v_lshlrev_b32_e32 v11, 24, v1
	v_lshlrev_b32_sdwa v3, v21, v1 dst_sel:DWORD dst_unused:UNUSED_PAD src0_sel:DWORD src1_sel:BYTE_0
	v_cmp_gt_i64_e32 vcc, 0, v[10:11]
	v_not_b32_e32 v1, v11
	v_ashrrev_i32_e32 v1, 31, v1
	v_xor_b32_e32 v11, vcc_hi, v1
	v_xor_b32_e32 v1, vcc_lo, v1
	v_and_b32_e32 v2, v2, v25
	v_and_b32_e32 v1, v4, v1
	;; [unrolled: 1-line block ×3, first 2 shown]
	v_mbcnt_lo_u32_b32 v4, v1, 0
	v_mbcnt_hi_u32_b32 v25, v2, v4
	v_cmp_ne_u64_e32 vcc, 0, v[1:2]
	v_cmp_eq_u32_e64 s[26:27], 0, v25
	s_and_b64 s[28:29], vcc, s[26:27]
	v_add_u32_e32 v26, v19, v3
	ds_write2_b64 v14, v[6:7], v[8:9] offset0:2 offset1:3
	s_waitcnt lgkmcnt(0)
	s_barrier
	; wave barrier
	s_and_saveexec_b64 s[26:27], s[28:29]
; %bb.5:                                ;   in Loop: Header=BB218_4 Depth=2
	v_bcnt_u32_b32 v1, v1, 0
	v_bcnt_u32_b32 v1, v2, v1
	ds_write_b32 v26, v1 offset:16
; %bb.6:                                ;   in Loop: Header=BB218_4 Depth=2
	s_or_b64 exec, exec, s[26:27]
	v_lshrrev_b32_e32 v1, v23, v22
	v_lshlrev_b32_sdwa v2, v21, v1 dst_sel:DWORD dst_unused:UNUSED_PAD src0_sel:DWORD src1_sel:BYTE_0
	v_add_u32_e32 v28, v19, v2
	v_and_b32_e32 v2, 1, v1
	v_add_co_u32_e32 v3, vcc, -1, v2
	v_addc_co_u32_e64 v4, s[26:27], 0, -1, vcc
	v_cmp_ne_u32_e32 vcc, 0, v2
	v_lshlrev_b32_e32 v11, 30, v1
	v_xor_b32_e32 v2, vcc_hi, v4
	v_xor_b32_e32 v3, vcc_lo, v3
	v_cmp_gt_i64_e32 vcc, 0, v[10:11]
	v_not_b32_e32 v4, v11
	v_ashrrev_i32_e32 v4, 31, v4
	v_and_b32_e32 v2, exec_hi, v2
	v_xor_b32_e32 v11, vcc_hi, v4
	v_and_b32_e32 v3, exec_lo, v3
	v_xor_b32_e32 v4, vcc_lo, v4
	v_and_b32_e32 v2, v2, v11
	v_lshlrev_b32_e32 v11, 29, v1
	v_and_b32_e32 v3, v3, v4
	v_cmp_gt_i64_e32 vcc, 0, v[10:11]
	v_not_b32_e32 v4, v11
	v_ashrrev_i32_e32 v4, 31, v4
	v_xor_b32_e32 v11, vcc_hi, v4
	v_xor_b32_e32 v4, vcc_lo, v4
	v_and_b32_e32 v2, v2, v11
	v_lshlrev_b32_e32 v11, 28, v1
	v_and_b32_e32 v3, v3, v4
	v_cmp_gt_i64_e32 vcc, 0, v[10:11]
	v_not_b32_e32 v4, v11
	v_ashrrev_i32_e32 v4, 31, v4
	v_xor_b32_e32 v11, vcc_hi, v4
	;; [unrolled: 8-line block ×5, first 2 shown]
	v_and_b32_e32 v2, v2, v11
	v_lshlrev_b32_e32 v11, 24, v1
	v_xor_b32_e32 v4, vcc_lo, v4
	v_cmp_gt_i64_e32 vcc, 0, v[10:11]
	v_not_b32_e32 v1, v11
	v_ashrrev_i32_e32 v1, 31, v1
	v_and_b32_e32 v3, v3, v4
	v_xor_b32_e32 v4, vcc_hi, v1
	v_xor_b32_e32 v1, vcc_lo, v1
	; wave barrier
	ds_read_b32 v27, v28 offset:16
	v_and_b32_e32 v1, v3, v1
	v_and_b32_e32 v2, v2, v4
	v_mbcnt_lo_u32_b32 v3, v1, 0
	v_mbcnt_hi_u32_b32 v29, v2, v3
	v_cmp_ne_u64_e32 vcc, 0, v[1:2]
	v_cmp_eq_u32_e64 s[26:27], 0, v29
	s_and_b64 s[28:29], vcc, s[26:27]
	; wave barrier
	s_and_saveexec_b64 s[26:27], s[28:29]
	s_cbranch_execz .LBB218_8
; %bb.7:                                ;   in Loop: Header=BB218_4 Depth=2
	v_bcnt_u32_b32 v1, v1, 0
	v_bcnt_u32_b32 v1, v2, v1
	s_waitcnt lgkmcnt(0)
	v_add_u32_e32 v1, v27, v1
	ds_write_b32 v28, v1 offset:16
.LBB218_8:                              ;   in Loop: Header=BB218_4 Depth=2
	s_or_b64 exec, exec, s[26:27]
	v_lshrrev_b32_e32 v1, v23, v5
	v_lshlrev_b32_sdwa v2, v21, v1 dst_sel:DWORD dst_unused:UNUSED_PAD src0_sel:DWORD src1_sel:BYTE_0
	v_add_u32_e32 v31, v19, v2
	v_and_b32_e32 v2, 1, v1
	v_add_co_u32_e32 v3, vcc, -1, v2
	v_addc_co_u32_e64 v4, s[26:27], 0, -1, vcc
	v_cmp_ne_u32_e32 vcc, 0, v2
	v_lshlrev_b32_e32 v11, 30, v1
	v_xor_b32_e32 v2, vcc_hi, v4
	v_xor_b32_e32 v3, vcc_lo, v3
	v_cmp_gt_i64_e32 vcc, 0, v[10:11]
	v_not_b32_e32 v4, v11
	v_ashrrev_i32_e32 v4, 31, v4
	v_and_b32_e32 v2, exec_hi, v2
	v_xor_b32_e32 v11, vcc_hi, v4
	v_and_b32_e32 v3, exec_lo, v3
	v_xor_b32_e32 v4, vcc_lo, v4
	v_and_b32_e32 v2, v2, v11
	v_lshlrev_b32_e32 v11, 29, v1
	v_and_b32_e32 v3, v3, v4
	v_cmp_gt_i64_e32 vcc, 0, v[10:11]
	v_not_b32_e32 v4, v11
	v_ashrrev_i32_e32 v4, 31, v4
	v_xor_b32_e32 v11, vcc_hi, v4
	v_xor_b32_e32 v4, vcc_lo, v4
	v_and_b32_e32 v2, v2, v11
	v_lshlrev_b32_e32 v11, 28, v1
	v_and_b32_e32 v3, v3, v4
	v_cmp_gt_i64_e32 vcc, 0, v[10:11]
	v_not_b32_e32 v4, v11
	v_ashrrev_i32_e32 v4, 31, v4
	v_xor_b32_e32 v11, vcc_hi, v4
	;; [unrolled: 8-line block ×5, first 2 shown]
	v_and_b32_e32 v2, v2, v11
	v_lshlrev_b32_e32 v11, 24, v1
	v_xor_b32_e32 v4, vcc_lo, v4
	v_cmp_gt_i64_e32 vcc, 0, v[10:11]
	v_not_b32_e32 v1, v11
	v_ashrrev_i32_e32 v1, 31, v1
	v_and_b32_e32 v3, v3, v4
	v_xor_b32_e32 v4, vcc_hi, v1
	v_xor_b32_e32 v1, vcc_lo, v1
	; wave barrier
	ds_read_b32 v30, v31 offset:16
	v_and_b32_e32 v1, v3, v1
	v_and_b32_e32 v2, v2, v4
	v_mbcnt_lo_u32_b32 v3, v1, 0
	v_mbcnt_hi_u32_b32 v11, v2, v3
	v_cmp_ne_u64_e32 vcc, 0, v[1:2]
	v_cmp_eq_u32_e64 s[26:27], 0, v11
	s_and_b64 s[28:29], vcc, s[26:27]
	; wave barrier
	s_and_saveexec_b64 s[26:27], s[28:29]
	s_cbranch_execz .LBB218_10
; %bb.9:                                ;   in Loop: Header=BB218_4 Depth=2
	v_bcnt_u32_b32 v1, v1, 0
	v_bcnt_u32_b32 v1, v2, v1
	s_waitcnt lgkmcnt(0)
	v_add_u32_e32 v1, v30, v1
	ds_write_b32 v31, v1 offset:16
.LBB218_10:                             ;   in Loop: Header=BB218_4 Depth=2
	s_or_b64 exec, exec, s[26:27]
	; wave barrier
	s_waitcnt lgkmcnt(0)
	s_barrier
	ds_read2_b64 v[1:4], v14 offset0:2 offset1:3
	s_waitcnt lgkmcnt(0)
	v_add_u32_e32 v32, v2, v1
	v_add3_u32 v4, v32, v3, v4
	s_nop 1
	v_mov_b32_dpp v32, v4 row_shr:1 row_mask:0xf bank_mask:0xf
	v_cndmask_b32_e64 v32, v32, 0, s[0:1]
	v_add_u32_e32 v4, v32, v4
	s_nop 1
	v_mov_b32_dpp v32, v4 row_shr:2 row_mask:0xf bank_mask:0xf
	v_cndmask_b32_e64 v32, 0, v32, s[2:3]
	v_add_u32_e32 v4, v4, v32
	;; [unrolled: 4-line block ×4, first 2 shown]
	s_nop 1
	v_mov_b32_dpp v32, v4 row_bcast:15 row_mask:0xf bank_mask:0xf
	v_cndmask_b32_e64 v32, v32, 0, s[8:9]
	v_add_u32_e32 v4, v4, v32
	s_nop 1
	v_mov_b32_dpp v32, v4 row_bcast:31 row_mask:0xf bank_mask:0xf
	v_cndmask_b32_e64 v32, 0, v32, s[10:11]
	v_add_u32_e32 v4, v4, v32
	s_and_saveexec_b64 s[26:27], s[12:13]
; %bb.11:                               ;   in Loop: Header=BB218_4 Depth=2
	ds_write_b32 v16, v4
; %bb.12:                               ;   in Loop: Header=BB218_4 Depth=2
	s_or_b64 exec, exec, s[26:27]
	s_waitcnt lgkmcnt(0)
	s_barrier
	s_and_saveexec_b64 s[26:27], s[14:15]
	s_cbranch_execz .LBB218_14
; %bb.13:                               ;   in Loop: Header=BB218_4 Depth=2
	v_add_u32_e32 v32, v14, v17
	ds_read_b32 v33, v32
	s_waitcnt lgkmcnt(0)
	s_nop 0
	v_mov_b32_dpp v34, v33 row_shr:1 row_mask:0xf bank_mask:0xf
	v_cndmask_b32_e64 v34, v34, 0, s[22:23]
	v_add_u32_e32 v33, v34, v33
	s_nop 1
	v_mov_b32_dpp v34, v33 row_shr:2 row_mask:0xf bank_mask:0xf
	v_cndmask_b32_e64 v34, 0, v34, s[24:25]
	v_add_u32_e32 v33, v33, v34
	ds_write_b32 v32, v33
.LBB218_14:                             ;   in Loop: Header=BB218_4 Depth=2
	s_or_b64 exec, exec, s[26:27]
	v_mov_b32_e32 v32, 0
	s_waitcnt lgkmcnt(0)
	s_barrier
	s_and_saveexec_b64 s[26:27], s[16:17]
; %bb.15:                               ;   in Loop: Header=BB218_4 Depth=2
	ds_read_b32 v32, v18
; %bb.16:                               ;   in Loop: Header=BB218_4 Depth=2
	s_or_b64 exec, exec, s[26:27]
	s_waitcnt lgkmcnt(0)
	v_add_u32_e32 v4, v32, v4
	ds_bpermute_b32 v4, v15, v4
	v_cmp_lt_u32_e32 vcc, 23, v23
	s_and_b64 vcc, exec, vcc
	s_mov_b64 s[26:27], -1
	s_waitcnt lgkmcnt(0)
	v_cndmask_b32_e64 v4, v4, v32, s[18:19]
	v_cndmask_b32_e64 v32, v4, 0, s[20:21]
	v_add_u32_e32 v33, v32, v1
	v_add_u32_e32 v1, v33, v2
	;; [unrolled: 1-line block ×3, first 2 shown]
	ds_write2_b64 v14, v[32:33], v[1:2] offset0:2 offset1:3
	s_waitcnt lgkmcnt(0)
	s_barrier
	ds_read_b32 v1, v26 offset:16
	ds_read_b32 v2, v28 offset:16
	;; [unrolled: 1-line block ×3, first 2 shown]
	s_waitcnt lgkmcnt(2)
	v_add_u32_e32 v25, v1, v25
	s_waitcnt lgkmcnt(1)
	v_add3_u32 v4, v29, v27, v2
	s_waitcnt lgkmcnt(0)
	v_add3_u32 v3, v11, v30, v3
                                        ; implicit-def: $vgpr11
                                        ; implicit-def: $vgpr2
	s_cbranch_vccnz .LBB218_3
; %bb.17:                               ;   in Loop: Header=BB218_4 Depth=2
	v_lshlrev_b32_e32 v1, 2, v25
	s_barrier
	ds_write_b32 v1, v24
	v_lshlrev_b32_e32 v1, 2, v4
	ds_write_b32 v1, v22
	v_lshlrev_b32_e32 v1, 2, v3
	ds_write_b32 v1, v5
	s_waitcnt lgkmcnt(0)
	s_barrier
	ds_read2st64_b32 v[1:2], v20 offset1:1
	ds_read_b32 v11, v20 offset:512
	v_add_u32_e32 v23, 8, v23
	s_mov_b64 s[26:27], 0
	s_waitcnt lgkmcnt(0)
	s_barrier
	s_branch .LBB218_3
.LBB218_18:
	s_add_u32 s0, s30, s36
	s_addc_u32 s1, s31, s37
	v_lshlrev_b32_e32 v0, 2, v0
	global_store_dword v0, v3, s[0:1]
	global_store_dword v0, v4, s[0:1] offset:1024
	global_store_dword v0, v5, s[0:1] offset:2048
	s_endpgm
	.section	.rodata,"a",@progbits
	.p2align	6, 0x0
	.amdhsa_kernel _Z16sort_keys_kernelI22helper_blocked_stripediLj256ELj3ELj10EEvPKT0_PS1_
		.amdhsa_group_segment_fixed_size 4112
		.amdhsa_private_segment_fixed_size 0
		.amdhsa_kernarg_size 272
		.amdhsa_user_sgpr_count 6
		.amdhsa_user_sgpr_private_segment_buffer 1
		.amdhsa_user_sgpr_dispatch_ptr 0
		.amdhsa_user_sgpr_queue_ptr 0
		.amdhsa_user_sgpr_kernarg_segment_ptr 1
		.amdhsa_user_sgpr_dispatch_id 0
		.amdhsa_user_sgpr_flat_scratch_init 0
		.amdhsa_user_sgpr_private_segment_size 0
		.amdhsa_uses_dynamic_stack 0
		.amdhsa_system_sgpr_private_segment_wavefront_offset 0
		.amdhsa_system_sgpr_workgroup_id_x 1
		.amdhsa_system_sgpr_workgroup_id_y 0
		.amdhsa_system_sgpr_workgroup_id_z 0
		.amdhsa_system_sgpr_workgroup_info 0
		.amdhsa_system_vgpr_workitem_id 2
		.amdhsa_next_free_vgpr 35
		.amdhsa_next_free_sgpr 38
		.amdhsa_reserve_vcc 1
		.amdhsa_reserve_flat_scratch 0
		.amdhsa_float_round_mode_32 0
		.amdhsa_float_round_mode_16_64 0
		.amdhsa_float_denorm_mode_32 3
		.amdhsa_float_denorm_mode_16_64 3
		.amdhsa_dx10_clamp 1
		.amdhsa_ieee_mode 1
		.amdhsa_fp16_overflow 0
		.amdhsa_exception_fp_ieee_invalid_op 0
		.amdhsa_exception_fp_denorm_src 0
		.amdhsa_exception_fp_ieee_div_zero 0
		.amdhsa_exception_fp_ieee_overflow 0
		.amdhsa_exception_fp_ieee_underflow 0
		.amdhsa_exception_fp_ieee_inexact 0
		.amdhsa_exception_int_div_zero 0
	.end_amdhsa_kernel
	.section	.text._Z16sort_keys_kernelI22helper_blocked_stripediLj256ELj3ELj10EEvPKT0_PS1_,"axG",@progbits,_Z16sort_keys_kernelI22helper_blocked_stripediLj256ELj3ELj10EEvPKT0_PS1_,comdat
.Lfunc_end218:
	.size	_Z16sort_keys_kernelI22helper_blocked_stripediLj256ELj3ELj10EEvPKT0_PS1_, .Lfunc_end218-_Z16sort_keys_kernelI22helper_blocked_stripediLj256ELj3ELj10EEvPKT0_PS1_
                                        ; -- End function
	.set _Z16sort_keys_kernelI22helper_blocked_stripediLj256ELj3ELj10EEvPKT0_PS1_.num_vgpr, 35
	.set _Z16sort_keys_kernelI22helper_blocked_stripediLj256ELj3ELj10EEvPKT0_PS1_.num_agpr, 0
	.set _Z16sort_keys_kernelI22helper_blocked_stripediLj256ELj3ELj10EEvPKT0_PS1_.numbered_sgpr, 38
	.set _Z16sort_keys_kernelI22helper_blocked_stripediLj256ELj3ELj10EEvPKT0_PS1_.num_named_barrier, 0
	.set _Z16sort_keys_kernelI22helper_blocked_stripediLj256ELj3ELj10EEvPKT0_PS1_.private_seg_size, 0
	.set _Z16sort_keys_kernelI22helper_blocked_stripediLj256ELj3ELj10EEvPKT0_PS1_.uses_vcc, 1
	.set _Z16sort_keys_kernelI22helper_blocked_stripediLj256ELj3ELj10EEvPKT0_PS1_.uses_flat_scratch, 0
	.set _Z16sort_keys_kernelI22helper_blocked_stripediLj256ELj3ELj10EEvPKT0_PS1_.has_dyn_sized_stack, 0
	.set _Z16sort_keys_kernelI22helper_blocked_stripediLj256ELj3ELj10EEvPKT0_PS1_.has_recursion, 0
	.set _Z16sort_keys_kernelI22helper_blocked_stripediLj256ELj3ELj10EEvPKT0_PS1_.has_indirect_call, 0
	.section	.AMDGPU.csdata,"",@progbits
; Kernel info:
; codeLenInByte = 2216
; TotalNumSgprs: 42
; NumVgprs: 35
; ScratchSize: 0
; MemoryBound: 0
; FloatMode: 240
; IeeeMode: 1
; LDSByteSize: 4112 bytes/workgroup (compile time only)
; SGPRBlocks: 5
; VGPRBlocks: 8
; NumSGPRsForWavesPerEU: 42
; NumVGPRsForWavesPerEU: 35
; Occupancy: 7
; WaveLimiterHint : 1
; COMPUTE_PGM_RSRC2:SCRATCH_EN: 0
; COMPUTE_PGM_RSRC2:USER_SGPR: 6
; COMPUTE_PGM_RSRC2:TRAP_HANDLER: 0
; COMPUTE_PGM_RSRC2:TGID_X_EN: 1
; COMPUTE_PGM_RSRC2:TGID_Y_EN: 0
; COMPUTE_PGM_RSRC2:TGID_Z_EN: 0
; COMPUTE_PGM_RSRC2:TIDIG_COMP_CNT: 2
	.section	.text._Z17sort_pairs_kernelI22helper_blocked_stripediLj256ELj3ELj10EEvPKT0_PS1_,"axG",@progbits,_Z17sort_pairs_kernelI22helper_blocked_stripediLj256ELj3ELj10EEvPKT0_PS1_,comdat
	.protected	_Z17sort_pairs_kernelI22helper_blocked_stripediLj256ELj3ELj10EEvPKT0_PS1_ ; -- Begin function _Z17sort_pairs_kernelI22helper_blocked_stripediLj256ELj3ELj10EEvPKT0_PS1_
	.globl	_Z17sort_pairs_kernelI22helper_blocked_stripediLj256ELj3ELj10EEvPKT0_PS1_
	.p2align	8
	.type	_Z17sort_pairs_kernelI22helper_blocked_stripediLj256ELj3ELj10EEvPKT0_PS1_,@function
_Z17sort_pairs_kernelI22helper_blocked_stripediLj256ELj3ELj10EEvPKT0_PS1_: ; @_Z17sort_pairs_kernelI22helper_blocked_stripediLj256ELj3ELj10EEvPKT0_PS1_
; %bb.0:
	s_load_dwordx4 s[28:31], s[4:5], 0x0
	s_load_dword s26, s[4:5], 0x1c
	s_mul_i32 s36, s6, 0x300
	s_mov_b32 s37, 0
	s_lshl_b64 s[34:35], s[36:37], 2
	s_waitcnt lgkmcnt(0)
	s_add_u32 s0, s28, s34
	v_mul_u32_u24_e32 v3, 3, v0
	s_addc_u32 s1, s29, s35
	v_lshlrev_b32_e32 v3, 2, v3
	global_load_dwordx3 v[3:5], v3, s[0:1]
	s_lshr_b32 s27, s26, 16
	s_and_b32 s26, s26, 0xffff
	v_mad_u32_u24 v1, v2, s27, v1
	v_mbcnt_lo_u32_b32 v6, -1, 0
	v_mad_u64_u32 v[1:2], s[26:27], v1, s26, v[0:1]
	v_mbcnt_hi_u32_b32 v10, -1, v6
	v_lshrrev_b32_e32 v6, 6, v0
	v_and_b32_e32 v7, 0xc0, v0
	s_mov_b32 s10, s37
	v_subrev_co_u32_e64 v18, s[8:9], 1, v10
	v_and_b32_e32 v19, 64, v10
	s_mov_b32 s11, s37
	v_mul_u32_u24_e32 v8, 0xc0, v6
	v_and_b32_e32 v9, 15, v10
	v_and_b32_e32 v12, 16, v10
	v_or_b32_e32 v17, 63, v7
	v_lshlrev_b32_e32 v16, 2, v6
	v_mul_u32_u24_e32 v21, 12, v7
	s_mov_b32 s36, s37
	v_mov_b32_e32 v6, s10
	v_cmp_lt_i32_e32 vcc, v18, v19
	v_lshlrev_b32_e32 v11, 2, v10
	v_and_b32_e32 v20, 3, v10
	v_mov_b32_e32 v7, s11
	v_cmp_eq_u32_e64 s[10:11], 0, v9
	v_cmp_lt_u32_e64 s[12:13], 1, v9
	v_cmp_lt_u32_e64 s[14:15], 3, v9
	;; [unrolled: 1-line block ×3, first 2 shown]
	v_cmp_eq_u32_e64 s[18:19], 0, v12
	v_lshlrev_b32_e32 v12, 2, v8
	v_cndmask_b32_e32 v22, v18, v10, vcc
	v_mov_b32_e32 v8, s36
	v_lshrrev_b32_e32 v1, 4, v1
	v_mov_b32_e32 v13, 4
	v_lshlrev_b32_e32 v14, 4, v0
	v_cmp_gt_u32_e64 s[0:1], 4, v0
	v_cmp_lt_u32_e64 s[2:3], 63, v0
	v_cmp_eq_u32_e64 s[4:5], 0, v0
	v_mul_i32_i24_e32 v15, -12, v0
	v_cmp_lt_u32_e64 s[6:7], 31, v10
	v_cmp_eq_u32_e64 s[20:21], v0, v17
	v_cmp_eq_u32_e64 s[22:23], 0, v20
	v_cmp_lt_u32_e64 s[24:25], 1, v20
	v_add_u32_e32 v17, -4, v16
	v_add_u32_e32 v18, v11, v21
	v_mov_b32_e32 v9, s37
	v_mad_u32_u24 v19, v10, 12, v12
	v_add_u32_e32 v20, v11, v12
	v_lshlrev_b32_e32 v21, 2, v22
	v_and_b32_e32 v22, 0xffffffc, v1
	v_mov_b32_e32 v10, 0
	s_waitcnt vmcnt(0)
	v_add_u32_e32 v11, 1, v3
	v_add_u32_e32 v12, 1, v4
	;; [unrolled: 1-line block ×3, first 2 shown]
	s_branch .LBB219_2
.LBB219_1:                              ;   in Loop: Header=BB219_2 Depth=1
	v_lshlrev_b32_e32 v3, 2, v31
	s_barrier
	ds_write_b32 v3, v23
	v_lshlrev_b32_e32 v4, 2, v12
	v_lshlrev_b32_e32 v5, 2, v11
	v_add_u32_e32 v23, v14, v15
	ds_write_b32 v4, v28
	ds_write_b32 v5, v27
	s_waitcnt lgkmcnt(0)
	s_barrier
	ds_read2st64_b32 v[1:2], v23 offset1:4
	ds_read_b32 v27, v23 offset:2048
	s_waitcnt lgkmcnt(0)
	s_barrier
	ds_write_b32 v3, v26
	ds_write_b32 v4, v25
	;; [unrolled: 1-line block ×3, first 2 shown]
	s_waitcnt lgkmcnt(0)
	s_barrier
	ds_read2st64_b32 v[11:12], v23 offset1:4
	ds_read_b32 v23, v23 offset:2048
	s_add_i32 s37, s37, 1
	v_xor_b32_e32 v3, 0x80000000, v1
	v_xor_b32_e32 v4, 0x80000000, v2
	s_cmp_eq_u32 s37, 10
	v_xor_b32_e32 v5, 0x80000000, v27
	s_cbranch_scc1 .LBB219_18
.LBB219_2:                              ; =>This Loop Header: Depth=1
                                        ;     Child Loop BB219_4 Depth 2
	v_xor_b32_e32 v1, 0x80000000, v3
	v_xor_b32_e32 v2, 0x80000000, v4
	;; [unrolled: 1-line block ×3, first 2 shown]
	ds_write2_b32 v19, v1, v2 offset1:1
	ds_write_b32 v19, v3 offset:8
	; wave barrier
	ds_read2st64_b32 v[1:2], v20 offset1:1
	ds_read_b32 v29, v20 offset:512
	; wave barrier
	s_waitcnt lgkmcnt(5)
	ds_write2_b32 v19, v11, v12 offset1:1
	s_waitcnt lgkmcnt(5)
	ds_write_b32 v19, v23 offset:8
	; wave barrier
	ds_read2st64_b32 v[3:4], v20 offset1:1
	ds_read_b32 v30, v20 offset:512
	v_mov_b32_e32 v5, v10
	s_waitcnt lgkmcnt(0)
	s_barrier
	s_branch .LBB219_4
.LBB219_3:                              ;   in Loop: Header=BB219_4 Depth=2
	s_andn2_b64 vcc, exec, s[26:27]
	s_cbranch_vccz .LBB219_1
.LBB219_4:                              ;   Parent Loop BB219_2 Depth=1
                                        ; =>  This Inner Loop Header: Depth=2
	v_mov_b32_e32 v23, v1
	v_lshrrev_b32_e32 v1, v5, v23
	v_and_b32_e32 v11, 1, v1
	v_add_co_u32_e64 v12, s[26:27], -1, v11
	v_cmp_ne_u32_e32 vcc, 0, v11
	v_addc_co_u32_e64 v11, s[26:27], 0, -1, s[26:27]
	v_xor_b32_e32 v11, vcc_hi, v11
	v_and_b32_e32 v24, exec_hi, v11
	v_lshlrev_b32_e32 v11, 30, v1
	v_cmp_gt_i64_e64 s[26:27], 0, v[10:11]
	v_not_b32_e32 v11, v11
	v_ashrrev_i32_e32 v11, 31, v11
	v_xor_b32_e32 v12, vcc_lo, v12
	v_xor_b32_e32 v25, s27, v11
	v_and_b32_e32 v12, exec_lo, v12
	v_xor_b32_e32 v11, s26, v11
	v_and_b32_e32 v12, v12, v11
	v_lshlrev_b32_e32 v11, 29, v1
	v_cmp_gt_i64_e32 vcc, 0, v[10:11]
	v_not_b32_e32 v11, v11
	v_ashrrev_i32_e32 v11, 31, v11
	v_and_b32_e32 v24, v24, v25
	v_xor_b32_e32 v25, vcc_hi, v11
	v_xor_b32_e32 v11, vcc_lo, v11
	v_and_b32_e32 v12, v12, v11
	v_lshlrev_b32_e32 v11, 28, v1
	v_cmp_gt_i64_e32 vcc, 0, v[10:11]
	v_not_b32_e32 v11, v11
	v_ashrrev_i32_e32 v11, 31, v11
	v_and_b32_e32 v24, v24, v25
	v_xor_b32_e32 v25, vcc_hi, v11
	v_xor_b32_e32 v11, vcc_lo, v11
	;; [unrolled: 8-line block ×5, first 2 shown]
	v_and_b32_e32 v24, v24, v25
	v_and_b32_e32 v25, v12, v11
	v_lshlrev_b32_e32 v11, 24, v1
	v_cmp_gt_i64_e32 vcc, 0, v[10:11]
	v_not_b32_e32 v11, v11
	v_ashrrev_i32_e32 v11, 31, v11
	v_xor_b32_e32 v12, vcc_hi, v11
	v_xor_b32_e32 v11, vcc_lo, v11
	v_and_b32_e32 v11, v25, v11
	v_and_b32_e32 v12, v24, v12
	v_mov_b32_e32 v28, v2
	v_mbcnt_lo_u32_b32 v2, v11, 0
	v_mov_b32_e32 v27, v29
	v_mbcnt_hi_u32_b32 v29, v12, v2
	v_cmp_ne_u64_e32 vcc, 0, v[11:12]
	v_lshlrev_b32_sdwa v1, v13, v1 dst_sel:DWORD dst_unused:UNUSED_PAD src0_sel:DWORD src1_sel:BYTE_0
	v_cmp_eq_u32_e64 s[26:27], 0, v29
	v_mov_b32_e32 v24, v30
	v_mov_b32_e32 v25, v4
	;; [unrolled: 1-line block ×3, first 2 shown]
	s_and_b64 s[28:29], vcc, s[26:27]
	v_add_u32_e32 v30, v22, v1
	ds_write2_b64 v14, v[8:9], v[6:7] offset0:2 offset1:3
	s_waitcnt lgkmcnt(0)
	s_barrier
	; wave barrier
	s_and_saveexec_b64 s[26:27], s[28:29]
; %bb.5:                                ;   in Loop: Header=BB219_4 Depth=2
	v_bcnt_u32_b32 v1, v11, 0
	v_bcnt_u32_b32 v1, v12, v1
	ds_write_b32 v30, v1 offset:16
; %bb.6:                                ;   in Loop: Header=BB219_4 Depth=2
	s_or_b64 exec, exec, s[26:27]
	v_lshrrev_b32_e32 v1, v5, v28
	v_lshlrev_b32_sdwa v2, v13, v1 dst_sel:DWORD dst_unused:UNUSED_PAD src0_sel:DWORD src1_sel:BYTE_0
	v_add_u32_e32 v31, v22, v2
	v_and_b32_e32 v2, 1, v1
	v_add_co_u32_e32 v3, vcc, -1, v2
	v_addc_co_u32_e64 v4, s[26:27], 0, -1, vcc
	v_cmp_ne_u32_e32 vcc, 0, v2
	v_lshlrev_b32_e32 v11, 30, v1
	v_xor_b32_e32 v2, vcc_hi, v4
	v_xor_b32_e32 v3, vcc_lo, v3
	v_cmp_gt_i64_e32 vcc, 0, v[10:11]
	v_not_b32_e32 v4, v11
	v_ashrrev_i32_e32 v4, 31, v4
	v_and_b32_e32 v2, exec_hi, v2
	v_xor_b32_e32 v11, vcc_hi, v4
	v_and_b32_e32 v3, exec_lo, v3
	v_xor_b32_e32 v4, vcc_lo, v4
	v_and_b32_e32 v2, v2, v11
	v_lshlrev_b32_e32 v11, 29, v1
	v_and_b32_e32 v3, v3, v4
	v_cmp_gt_i64_e32 vcc, 0, v[10:11]
	v_not_b32_e32 v4, v11
	v_ashrrev_i32_e32 v4, 31, v4
	v_xor_b32_e32 v11, vcc_hi, v4
	v_xor_b32_e32 v4, vcc_lo, v4
	v_and_b32_e32 v2, v2, v11
	v_lshlrev_b32_e32 v11, 28, v1
	v_and_b32_e32 v3, v3, v4
	v_cmp_gt_i64_e32 vcc, 0, v[10:11]
	v_not_b32_e32 v4, v11
	v_ashrrev_i32_e32 v4, 31, v4
	v_xor_b32_e32 v11, vcc_hi, v4
	;; [unrolled: 8-line block ×5, first 2 shown]
	v_and_b32_e32 v2, v2, v11
	v_lshlrev_b32_e32 v11, 24, v1
	v_xor_b32_e32 v4, vcc_lo, v4
	v_cmp_gt_i64_e32 vcc, 0, v[10:11]
	v_not_b32_e32 v1, v11
	v_ashrrev_i32_e32 v1, 31, v1
	v_and_b32_e32 v3, v3, v4
	v_xor_b32_e32 v4, vcc_hi, v1
	v_xor_b32_e32 v1, vcc_lo, v1
	; wave barrier
	ds_read_b32 v12, v31 offset:16
	v_and_b32_e32 v1, v3, v1
	v_and_b32_e32 v2, v2, v4
	v_mbcnt_lo_u32_b32 v3, v1, 0
	v_mbcnt_hi_u32_b32 v32, v2, v3
	v_cmp_ne_u64_e32 vcc, 0, v[1:2]
	v_cmp_eq_u32_e64 s[26:27], 0, v32
	s_and_b64 s[28:29], vcc, s[26:27]
	; wave barrier
	s_and_saveexec_b64 s[26:27], s[28:29]
	s_cbranch_execz .LBB219_8
; %bb.7:                                ;   in Loop: Header=BB219_4 Depth=2
	v_bcnt_u32_b32 v1, v1, 0
	v_bcnt_u32_b32 v1, v2, v1
	s_waitcnt lgkmcnt(0)
	v_add_u32_e32 v1, v12, v1
	ds_write_b32 v31, v1 offset:16
.LBB219_8:                              ;   in Loop: Header=BB219_4 Depth=2
	s_or_b64 exec, exec, s[26:27]
	v_lshrrev_b32_e32 v1, v5, v27
	v_lshlrev_b32_sdwa v2, v13, v1 dst_sel:DWORD dst_unused:UNUSED_PAD src0_sel:DWORD src1_sel:BYTE_0
	v_add_u32_e32 v34, v22, v2
	v_and_b32_e32 v2, 1, v1
	v_add_co_u32_e32 v3, vcc, -1, v2
	v_addc_co_u32_e64 v4, s[26:27], 0, -1, vcc
	v_cmp_ne_u32_e32 vcc, 0, v2
	v_lshlrev_b32_e32 v11, 30, v1
	v_xor_b32_e32 v2, vcc_hi, v4
	v_xor_b32_e32 v3, vcc_lo, v3
	v_cmp_gt_i64_e32 vcc, 0, v[10:11]
	v_not_b32_e32 v4, v11
	v_ashrrev_i32_e32 v4, 31, v4
	v_and_b32_e32 v2, exec_hi, v2
	v_xor_b32_e32 v11, vcc_hi, v4
	v_and_b32_e32 v3, exec_lo, v3
	v_xor_b32_e32 v4, vcc_lo, v4
	v_and_b32_e32 v2, v2, v11
	v_lshlrev_b32_e32 v11, 29, v1
	v_and_b32_e32 v3, v3, v4
	v_cmp_gt_i64_e32 vcc, 0, v[10:11]
	v_not_b32_e32 v4, v11
	v_ashrrev_i32_e32 v4, 31, v4
	v_xor_b32_e32 v11, vcc_hi, v4
	v_xor_b32_e32 v4, vcc_lo, v4
	v_and_b32_e32 v2, v2, v11
	v_lshlrev_b32_e32 v11, 28, v1
	v_and_b32_e32 v3, v3, v4
	v_cmp_gt_i64_e32 vcc, 0, v[10:11]
	v_not_b32_e32 v4, v11
	v_ashrrev_i32_e32 v4, 31, v4
	v_xor_b32_e32 v11, vcc_hi, v4
	;; [unrolled: 8-line block ×5, first 2 shown]
	v_and_b32_e32 v2, v2, v11
	v_lshlrev_b32_e32 v11, 24, v1
	v_xor_b32_e32 v4, vcc_lo, v4
	v_cmp_gt_i64_e32 vcc, 0, v[10:11]
	v_not_b32_e32 v1, v11
	v_ashrrev_i32_e32 v1, 31, v1
	v_and_b32_e32 v3, v3, v4
	v_xor_b32_e32 v4, vcc_hi, v1
	v_xor_b32_e32 v1, vcc_lo, v1
	; wave barrier
	ds_read_b32 v33, v34 offset:16
	v_and_b32_e32 v1, v3, v1
	v_and_b32_e32 v2, v2, v4
	v_mbcnt_lo_u32_b32 v3, v1, 0
	v_mbcnt_hi_u32_b32 v11, v2, v3
	v_cmp_ne_u64_e32 vcc, 0, v[1:2]
	v_cmp_eq_u32_e64 s[26:27], 0, v11
	s_and_b64 s[28:29], vcc, s[26:27]
	; wave barrier
	s_and_saveexec_b64 s[26:27], s[28:29]
	s_cbranch_execz .LBB219_10
; %bb.9:                                ;   in Loop: Header=BB219_4 Depth=2
	v_bcnt_u32_b32 v1, v1, 0
	v_bcnt_u32_b32 v1, v2, v1
	s_waitcnt lgkmcnt(0)
	v_add_u32_e32 v1, v33, v1
	ds_write_b32 v34, v1 offset:16
.LBB219_10:                             ;   in Loop: Header=BB219_4 Depth=2
	s_or_b64 exec, exec, s[26:27]
	; wave barrier
	s_waitcnt lgkmcnt(0)
	s_barrier
	ds_read2_b64 v[1:4], v14 offset0:2 offset1:3
	s_waitcnt lgkmcnt(0)
	v_add_u32_e32 v35, v2, v1
	v_add3_u32 v4, v35, v3, v4
	s_nop 1
	v_mov_b32_dpp v35, v4 row_shr:1 row_mask:0xf bank_mask:0xf
	v_cndmask_b32_e64 v35, v35, 0, s[10:11]
	v_add_u32_e32 v4, v35, v4
	s_nop 1
	v_mov_b32_dpp v35, v4 row_shr:2 row_mask:0xf bank_mask:0xf
	v_cndmask_b32_e64 v35, 0, v35, s[12:13]
	v_add_u32_e32 v4, v4, v35
	;; [unrolled: 4-line block ×4, first 2 shown]
	s_nop 1
	v_mov_b32_dpp v35, v4 row_bcast:15 row_mask:0xf bank_mask:0xf
	v_cndmask_b32_e64 v35, v35, 0, s[18:19]
	v_add_u32_e32 v4, v4, v35
	s_nop 1
	v_mov_b32_dpp v35, v4 row_bcast:31 row_mask:0xf bank_mask:0xf
	v_cndmask_b32_e64 v35, 0, v35, s[6:7]
	v_add_u32_e32 v4, v4, v35
	s_and_saveexec_b64 s[26:27], s[20:21]
; %bb.11:                               ;   in Loop: Header=BB219_4 Depth=2
	ds_write_b32 v16, v4
; %bb.12:                               ;   in Loop: Header=BB219_4 Depth=2
	s_or_b64 exec, exec, s[26:27]
	s_waitcnt lgkmcnt(0)
	s_barrier
	s_and_saveexec_b64 s[26:27], s[0:1]
	s_cbranch_execz .LBB219_14
; %bb.13:                               ;   in Loop: Header=BB219_4 Depth=2
	v_add_u32_e32 v35, v14, v15
	ds_read_b32 v36, v35
	s_waitcnt lgkmcnt(0)
	s_nop 0
	v_mov_b32_dpp v37, v36 row_shr:1 row_mask:0xf bank_mask:0xf
	v_cndmask_b32_e64 v37, v37, 0, s[22:23]
	v_add_u32_e32 v36, v37, v36
	s_nop 1
	v_mov_b32_dpp v37, v36 row_shr:2 row_mask:0xf bank_mask:0xf
	v_cndmask_b32_e64 v37, 0, v37, s[24:25]
	v_add_u32_e32 v36, v36, v37
	ds_write_b32 v35, v36
.LBB219_14:                             ;   in Loop: Header=BB219_4 Depth=2
	s_or_b64 exec, exec, s[26:27]
	v_mov_b32_e32 v35, 0
	s_waitcnt lgkmcnt(0)
	s_barrier
	s_and_saveexec_b64 s[26:27], s[2:3]
; %bb.15:                               ;   in Loop: Header=BB219_4 Depth=2
	ds_read_b32 v35, v17
; %bb.16:                               ;   in Loop: Header=BB219_4 Depth=2
	s_or_b64 exec, exec, s[26:27]
	s_waitcnt lgkmcnt(0)
	v_add_u32_e32 v4, v35, v4
	ds_bpermute_b32 v4, v21, v4
	v_cmp_lt_u32_e32 vcc, 23, v5
	s_and_b64 vcc, exec, vcc
	s_mov_b64 s[26:27], -1
	s_waitcnt lgkmcnt(0)
	v_cndmask_b32_e64 v4, v4, v35, s[8:9]
	v_cndmask_b32_e64 v35, v4, 0, s[4:5]
	v_add_u32_e32 v36, v35, v1
	v_add_u32_e32 v1, v36, v2
	;; [unrolled: 1-line block ×3, first 2 shown]
	ds_write2_b64 v14, v[35:36], v[1:2] offset0:2 offset1:3
	s_waitcnt lgkmcnt(0)
	s_barrier
	ds_read_b32 v1, v30 offset:16
	ds_read_b32 v2, v31 offset:16
	;; [unrolled: 1-line block ×3, first 2 shown]
                                        ; implicit-def: $vgpr30
	s_waitcnt lgkmcnt(2)
	v_add_u32_e32 v31, v1, v29
	s_waitcnt lgkmcnt(1)
	v_add3_u32 v12, v32, v12, v2
	s_waitcnt lgkmcnt(0)
	v_add3_u32 v11, v11, v33, v3
                                        ; implicit-def: $vgpr29
                                        ; implicit-def: $vgpr2
                                        ; implicit-def: $vgpr4
	s_cbranch_vccnz .LBB219_3
; %bb.17:                               ;   in Loop: Header=BB219_4 Depth=2
	v_lshlrev_b32_e32 v3, 2, v31
	v_lshlrev_b32_e32 v4, 2, v12
	;; [unrolled: 1-line block ×3, first 2 shown]
	s_barrier
	ds_write_b32 v3, v23
	ds_write_b32 v4, v28
	;; [unrolled: 1-line block ×3, first 2 shown]
	s_waitcnt lgkmcnt(0)
	s_barrier
	ds_read2st64_b32 v[1:2], v18 offset1:1
	ds_read_b32 v29, v18 offset:512
	s_waitcnt lgkmcnt(0)
	s_barrier
	ds_write_b32 v3, v26
	ds_write_b32 v4, v25
	ds_write_b32 v30, v24
	s_waitcnt lgkmcnt(0)
	s_barrier
	ds_read2st64_b32 v[3:4], v18 offset1:1
	ds_read_b32 v30, v18 offset:512
	v_add_u32_e32 v5, 8, v5
	s_mov_b64 s[26:27], 0
	s_waitcnt lgkmcnt(0)
	s_barrier
	s_branch .LBB219_3
.LBB219_18:
	s_add_u32 s0, s30, s34
	s_waitcnt lgkmcnt(1)
	v_add_u32_e32 v1, v3, v11
	s_addc_u32 s1, s31, s35
	v_lshlrev_b32_e32 v0, 2, v0
	v_add_u32_e32 v2, v4, v12
	s_waitcnt lgkmcnt(0)
	v_add_u32_e32 v3, v5, v23
	global_store_dword v0, v1, s[0:1]
	global_store_dword v0, v2, s[0:1] offset:1024
	global_store_dword v0, v3, s[0:1] offset:2048
	s_endpgm
	.section	.rodata,"a",@progbits
	.p2align	6, 0x0
	.amdhsa_kernel _Z17sort_pairs_kernelI22helper_blocked_stripediLj256ELj3ELj10EEvPKT0_PS1_
		.amdhsa_group_segment_fixed_size 4112
		.amdhsa_private_segment_fixed_size 0
		.amdhsa_kernarg_size 272
		.amdhsa_user_sgpr_count 6
		.amdhsa_user_sgpr_private_segment_buffer 1
		.amdhsa_user_sgpr_dispatch_ptr 0
		.amdhsa_user_sgpr_queue_ptr 0
		.amdhsa_user_sgpr_kernarg_segment_ptr 1
		.amdhsa_user_sgpr_dispatch_id 0
		.amdhsa_user_sgpr_flat_scratch_init 0
		.amdhsa_user_sgpr_private_segment_size 0
		.amdhsa_uses_dynamic_stack 0
		.amdhsa_system_sgpr_private_segment_wavefront_offset 0
		.amdhsa_system_sgpr_workgroup_id_x 1
		.amdhsa_system_sgpr_workgroup_id_y 0
		.amdhsa_system_sgpr_workgroup_id_z 0
		.amdhsa_system_sgpr_workgroup_info 0
		.amdhsa_system_vgpr_workitem_id 2
		.amdhsa_next_free_vgpr 38
		.amdhsa_next_free_sgpr 38
		.amdhsa_reserve_vcc 1
		.amdhsa_reserve_flat_scratch 0
		.amdhsa_float_round_mode_32 0
		.amdhsa_float_round_mode_16_64 0
		.amdhsa_float_denorm_mode_32 3
		.amdhsa_float_denorm_mode_16_64 3
		.amdhsa_dx10_clamp 1
		.amdhsa_ieee_mode 1
		.amdhsa_fp16_overflow 0
		.amdhsa_exception_fp_ieee_invalid_op 0
		.amdhsa_exception_fp_denorm_src 0
		.amdhsa_exception_fp_ieee_div_zero 0
		.amdhsa_exception_fp_ieee_overflow 0
		.amdhsa_exception_fp_ieee_underflow 0
		.amdhsa_exception_fp_ieee_inexact 0
		.amdhsa_exception_int_div_zero 0
	.end_amdhsa_kernel
	.section	.text._Z17sort_pairs_kernelI22helper_blocked_stripediLj256ELj3ELj10EEvPKT0_PS1_,"axG",@progbits,_Z17sort_pairs_kernelI22helper_blocked_stripediLj256ELj3ELj10EEvPKT0_PS1_,comdat
.Lfunc_end219:
	.size	_Z17sort_pairs_kernelI22helper_blocked_stripediLj256ELj3ELj10EEvPKT0_PS1_, .Lfunc_end219-_Z17sort_pairs_kernelI22helper_blocked_stripediLj256ELj3ELj10EEvPKT0_PS1_
                                        ; -- End function
	.set _Z17sort_pairs_kernelI22helper_blocked_stripediLj256ELj3ELj10EEvPKT0_PS1_.num_vgpr, 38
	.set _Z17sort_pairs_kernelI22helper_blocked_stripediLj256ELj3ELj10EEvPKT0_PS1_.num_agpr, 0
	.set _Z17sort_pairs_kernelI22helper_blocked_stripediLj256ELj3ELj10EEvPKT0_PS1_.numbered_sgpr, 38
	.set _Z17sort_pairs_kernelI22helper_blocked_stripediLj256ELj3ELj10EEvPKT0_PS1_.num_named_barrier, 0
	.set _Z17sort_pairs_kernelI22helper_blocked_stripediLj256ELj3ELj10EEvPKT0_PS1_.private_seg_size, 0
	.set _Z17sort_pairs_kernelI22helper_blocked_stripediLj256ELj3ELj10EEvPKT0_PS1_.uses_vcc, 1
	.set _Z17sort_pairs_kernelI22helper_blocked_stripediLj256ELj3ELj10EEvPKT0_PS1_.uses_flat_scratch, 0
	.set _Z17sort_pairs_kernelI22helper_blocked_stripediLj256ELj3ELj10EEvPKT0_PS1_.has_dyn_sized_stack, 0
	.set _Z17sort_pairs_kernelI22helper_blocked_stripediLj256ELj3ELj10EEvPKT0_PS1_.has_recursion, 0
	.set _Z17sort_pairs_kernelI22helper_blocked_stripediLj256ELj3ELj10EEvPKT0_PS1_.has_indirect_call, 0
	.section	.AMDGPU.csdata,"",@progbits
; Kernel info:
; codeLenInByte = 2408
; TotalNumSgprs: 42
; NumVgprs: 38
; ScratchSize: 0
; MemoryBound: 0
; FloatMode: 240
; IeeeMode: 1
; LDSByteSize: 4112 bytes/workgroup (compile time only)
; SGPRBlocks: 5
; VGPRBlocks: 9
; NumSGPRsForWavesPerEU: 42
; NumVGPRsForWavesPerEU: 38
; Occupancy: 6
; WaveLimiterHint : 1
; COMPUTE_PGM_RSRC2:SCRATCH_EN: 0
; COMPUTE_PGM_RSRC2:USER_SGPR: 6
; COMPUTE_PGM_RSRC2:TRAP_HANDLER: 0
; COMPUTE_PGM_RSRC2:TGID_X_EN: 1
; COMPUTE_PGM_RSRC2:TGID_Y_EN: 0
; COMPUTE_PGM_RSRC2:TGID_Z_EN: 0
; COMPUTE_PGM_RSRC2:TIDIG_COMP_CNT: 2
	.section	.text._Z16sort_keys_kernelI22helper_blocked_stripediLj256ELj4ELj10EEvPKT0_PS1_,"axG",@progbits,_Z16sort_keys_kernelI22helper_blocked_stripediLj256ELj4ELj10EEvPKT0_PS1_,comdat
	.protected	_Z16sort_keys_kernelI22helper_blocked_stripediLj256ELj4ELj10EEvPKT0_PS1_ ; -- Begin function _Z16sort_keys_kernelI22helper_blocked_stripediLj256ELj4ELj10EEvPKT0_PS1_
	.globl	_Z16sort_keys_kernelI22helper_blocked_stripediLj256ELj4ELj10EEvPKT0_PS1_
	.p2align	8
	.type	_Z16sort_keys_kernelI22helper_blocked_stripediLj256ELj4ELj10EEvPKT0_PS1_,@function
_Z16sort_keys_kernelI22helper_blocked_stripediLj256ELj4ELj10EEvPKT0_PS1_: ; @_Z16sort_keys_kernelI22helper_blocked_stripediLj256ELj4ELj10EEvPKT0_PS1_
; %bb.0:
	s_load_dwordx4 s[36:39], s[4:5], 0x0
	s_load_dword s8, s[4:5], 0x1c
	s_lshl_b32 s40, s6, 10
	s_mov_b32 s41, 0
	s_lshl_b64 s[42:43], s[40:41], 2
	s_waitcnt lgkmcnt(0)
	s_add_u32 s0, s36, s42
	s_addc_u32 s1, s37, s43
	v_lshlrev_b32_e32 v13, 4, v0
	global_load_dwordx4 v[3:6], v13, s[0:1]
	s_lshr_b32 s9, s8, 16
	v_mbcnt_lo_u32_b32 v7, -1, 0
	s_and_b32 s8, s8, 0xffff
	v_mad_u32_u24 v1, v2, s9, v1
	v_mbcnt_hi_u32_b32 v7, -1, v7
	v_mad_u64_u32 v[1:2], s[8:9], v1, s8, v[0:1]
	v_and_b32_e32 v2, 15, v7
	v_cmp_eq_u32_e64 s[8:9], 0, v2
	v_cmp_lt_u32_e64 s[10:11], 1, v2
	v_cmp_lt_u32_e64 s[12:13], 3, v2
	;; [unrolled: 1-line block ×3, first 2 shown]
	v_and_b32_e32 v2, 16, v7
	v_cmp_eq_u32_e64 s[16:17], 0, v2
	v_or_b32_e32 v2, 63, v0
	v_and_b32_e32 v10, 64, v7
	v_cmp_eq_u32_e64 s[20:21], v0, v2
	v_subrev_co_u32_e64 v2, s[26:27], 1, v7
	v_cmp_lt_i32_e32 vcc, v2, v10
	v_lshrrev_b32_e32 v8, 2, v7
	v_cndmask_b32_e32 v2, v2, v7, vcc
	v_or_b32_e32 v11, v8, v10
	v_add_u32_e32 v8, 48, v8
	v_lshlrev_b32_e32 v18, 2, v2
	v_lshrrev_b32_e32 v2, 4, v0
	v_and_b32_e32 v9, 3, v7
	v_and_or_b32 v8, v8, 63, v10
	v_and_b32_e32 v19, 12, v2
	v_and_b32_e32 v2, 0xc00, v13
	s_mov_b32 s40, s41
	s_mov_b32 s34, s41
	v_cmp_eq_u32_e64 s[0:1], 3, v9
	v_cmp_eq_u32_e64 s[2:3], 2, v9
	;; [unrolled: 1-line block ×4, first 2 shown]
	v_lshlrev_b32_e32 v14, 2, v11
	v_lshlrev_b32_e32 v17, 2, v8
	v_cmp_lt_u32_e64 s[18:19], 31, v7
	v_cmp_lt_u32_e64 s[30:31], 1, v9
	v_lshl_or_b32 v22, v7, 2, v2
	v_lshrrev_b32_e32 v1, 4, v1
	s_mov_b32 s35, s41
	v_mov_b32_e32 v7, s40
	v_mov_b32_e32 v9, s34
	v_add_u32_e32 v15, 64, v14
	v_or_b32_e32 v16, 0x80, v14
	v_cmp_gt_u32_e64 s[22:23], 4, v0
	v_cmp_lt_u32_e64 s[24:25], 63, v0
	v_cmp_eq_u32_e64 s[28:29], 0, v0
	v_mul_i32_i24_e32 v20, -12, v0
	v_add_u32_e32 v21, -4, v19
	v_and_b32_e32 v23, 0xffffffc, v1
	v_mov_b32_e32 v8, s41
	v_mov_b32_e32 v10, s35
	v_mov_b32_e32 v11, 0
	v_mov_b32_e32 v24, 4
	s_branch .LBB220_2
.LBB220_1:                              ;   in Loop: Header=BB220_2 Depth=1
	v_lshlrev_b32_e32 v1, 2, v31
	s_barrier
	ds_write_b32 v1, v27
	v_lshlrev_b32_e32 v1, 2, v29
	ds_write_b32 v1, v26
	v_lshlrev_b32_e32 v1, 2, v28
	;; [unrolled: 2-line block ×3, first 2 shown]
	v_add_u32_e32 v3, v13, v20
	ds_write_b32 v1, v5
	s_waitcnt lgkmcnt(0)
	s_barrier
	ds_read2st64_b32 v[1:2], v3 offset1:4
	ds_read2st64_b32 v[5:6], v3 offset0:8 offset1:12
	s_add_i32 s41, s41, 1
	s_cmp_eq_u32 s41, 10
	s_waitcnt lgkmcnt(1)
	v_xor_b32_e32 v3, 0x80000000, v1
	v_xor_b32_e32 v4, 0x80000000, v2
	s_waitcnt lgkmcnt(0)
	v_xor_b32_e32 v5, 0x80000000, v5
	v_xor_b32_e32 v6, 0x80000000, v6
	s_cbranch_scc1 .LBB220_20
.LBB220_2:                              ; =>This Loop Header: Depth=1
                                        ;     Child Loop BB220_4 Depth 2
	s_waitcnt vmcnt(0)
	v_xor_b32_e32 v3, 0x80000000, v3
	ds_bpermute_b32 v1, v14, v3
	v_xor_b32_e32 v4, 0x80000000, v4
	v_xor_b32_e32 v5, 0x80000000, v5
	ds_bpermute_b32 v2, v14, v4
	v_xor_b32_e32 v6, 0x80000000, v6
	ds_bpermute_b32 v12, v14, v5
	ds_bpermute_b32 v25, v14, v6
	;; [unrolled: 1-line block ×3, first 2 shown]
	s_waitcnt lgkmcnt(4)
	v_cndmask_b32_e64 v1, 0, v1, s[6:7]
	ds_bpermute_b32 v27, v15, v4
	s_waitcnt lgkmcnt(4)
	v_cndmask_b32_e64 v1, v1, v2, s[4:5]
	s_waitcnt lgkmcnt(3)
	v_cndmask_b32_e64 v1, v1, v12, s[2:3]
	ds_bpermute_b32 v12, v15, v5
	s_waitcnt lgkmcnt(3)
	v_cndmask_b32_e64 v1, v1, v25, s[0:1]
	s_waitcnt lgkmcnt(2)
	v_cndmask_b32_e64 v2, 0, v26, s[6:7]
	ds_bpermute_b32 v25, v15, v6
	ds_bpermute_b32 v26, v16, v3
	s_waitcnt lgkmcnt(3)
	v_cndmask_b32_e64 v2, v2, v27, s[4:5]
	ds_bpermute_b32 v27, v16, v4
	ds_bpermute_b32 v28, v16, v5
	s_waitcnt lgkmcnt(4)
	v_cndmask_b32_e64 v2, v2, v12, s[2:3]
	s_waitcnt lgkmcnt(3)
	v_cndmask_b32_e64 v2, v2, v25, s[0:1]
	;; [unrolled: 2-line block ×3, first 2 shown]
	ds_bpermute_b32 v25, v16, v6
	ds_bpermute_b32 v26, v17, v3
	;; [unrolled: 1-line block ×4, first 2 shown]
	s_waitcnt lgkmcnt(5)
	v_cndmask_b32_e64 v12, v12, v27, s[4:5]
	ds_bpermute_b32 v6, v17, v6
	s_waitcnt lgkmcnt(5)
	v_cndmask_b32_e64 v12, v12, v28, s[2:3]
	s_waitcnt lgkmcnt(4)
	v_cndmask_b32_e64 v3, v12, v25, s[0:1]
	;; [unrolled: 2-line block ×6, first 2 shown]
	v_mov_b32_e32 v25, v11
	s_barrier
	s_branch .LBB220_4
.LBB220_3:                              ;   in Loop: Header=BB220_4 Depth=2
	s_andn2_b64 vcc, exec, s[34:35]
	s_cbranch_vccz .LBB220_1
.LBB220_4:                              ;   Parent Loop BB220_2 Depth=1
                                        ; =>  This Inner Loop Header: Depth=2
	v_mov_b32_e32 v27, v1
	v_lshrrev_b32_e32 v1, v25, v27
	v_mov_b32_e32 v26, v2
	v_and_b32_e32 v2, 1, v1
	v_mov_b32_e32 v5, v4
	v_add_co_u32_e32 v4, vcc, -1, v2
	v_addc_co_u32_e64 v12, s[34:35], 0, -1, vcc
	v_cmp_ne_u32_e32 vcc, 0, v2
	v_xor_b32_e32 v2, vcc_hi, v12
	v_lshlrev_b32_e32 v12, 30, v1
	v_xor_b32_e32 v4, vcc_lo, v4
	v_cmp_gt_i64_e32 vcc, 0, v[11:12]
	v_not_b32_e32 v12, v12
	v_ashrrev_i32_e32 v12, 31, v12
	v_and_b32_e32 v4, exec_lo, v4
	v_xor_b32_e32 v28, vcc_hi, v12
	v_xor_b32_e32 v12, vcc_lo, v12
	v_and_b32_e32 v4, v4, v12
	v_lshlrev_b32_e32 v12, 29, v1
	v_cmp_gt_i64_e32 vcc, 0, v[11:12]
	v_not_b32_e32 v12, v12
	v_and_b32_e32 v2, exec_hi, v2
	v_ashrrev_i32_e32 v12, 31, v12
	v_and_b32_e32 v2, v2, v28
	v_xor_b32_e32 v28, vcc_hi, v12
	v_xor_b32_e32 v12, vcc_lo, v12
	v_and_b32_e32 v4, v4, v12
	v_lshlrev_b32_e32 v12, 28, v1
	v_cmp_gt_i64_e32 vcc, 0, v[11:12]
	v_not_b32_e32 v12, v12
	v_ashrrev_i32_e32 v12, 31, v12
	v_and_b32_e32 v2, v2, v28
	v_xor_b32_e32 v28, vcc_hi, v12
	v_xor_b32_e32 v12, vcc_lo, v12
	v_and_b32_e32 v4, v4, v12
	v_lshlrev_b32_e32 v12, 27, v1
	v_cmp_gt_i64_e32 vcc, 0, v[11:12]
	v_not_b32_e32 v12, v12
	v_ashrrev_i32_e32 v12, 31, v12
	v_and_b32_e32 v2, v2, v28
	v_xor_b32_e32 v28, vcc_hi, v12
	v_xor_b32_e32 v12, vcc_lo, v12
	v_and_b32_e32 v4, v4, v12
	v_lshlrev_b32_e32 v12, 26, v1
	v_cmp_gt_i64_e32 vcc, 0, v[11:12]
	v_not_b32_e32 v12, v12
	v_ashrrev_i32_e32 v12, 31, v12
	v_and_b32_e32 v2, v2, v28
	v_xor_b32_e32 v28, vcc_hi, v12
	v_xor_b32_e32 v12, vcc_lo, v12
	v_and_b32_e32 v4, v4, v12
	v_lshlrev_b32_e32 v12, 25, v1
	v_cmp_gt_i64_e32 vcc, 0, v[11:12]
	v_not_b32_e32 v12, v12
	v_ashrrev_i32_e32 v12, 31, v12
	v_and_b32_e32 v2, v2, v28
	v_xor_b32_e32 v28, vcc_hi, v12
	v_xor_b32_e32 v12, vcc_lo, v12
	v_and_b32_e32 v4, v4, v12
	v_lshlrev_b32_e32 v12, 24, v1
	v_mov_b32_e32 v6, v3
	v_lshlrev_b32_sdwa v3, v24, v1 dst_sel:DWORD dst_unused:UNUSED_PAD src0_sel:DWORD src1_sel:BYTE_0
	v_cmp_gt_i64_e32 vcc, 0, v[11:12]
	v_not_b32_e32 v1, v12
	v_ashrrev_i32_e32 v1, 31, v1
	v_xor_b32_e32 v12, vcc_hi, v1
	v_xor_b32_e32 v1, vcc_lo, v1
	v_and_b32_e32 v2, v2, v28
	v_and_b32_e32 v1, v4, v1
	;; [unrolled: 1-line block ×3, first 2 shown]
	v_mbcnt_lo_u32_b32 v4, v1, 0
	v_mbcnt_hi_u32_b32 v28, v2, v4
	v_cmp_ne_u64_e32 vcc, 0, v[1:2]
	v_cmp_eq_u32_e64 s[34:35], 0, v28
	s_and_b64 s[36:37], vcc, s[34:35]
	v_add_u32_e32 v29, v23, v3
	ds_write2_b64 v13, v[7:8], v[9:10] offset0:2 offset1:3
	s_waitcnt lgkmcnt(0)
	s_barrier
	; wave barrier
	s_and_saveexec_b64 s[34:35], s[36:37]
; %bb.5:                                ;   in Loop: Header=BB220_4 Depth=2
	v_bcnt_u32_b32 v1, v1, 0
	v_bcnt_u32_b32 v1, v2, v1
	ds_write_b32 v29, v1 offset:16
; %bb.6:                                ;   in Loop: Header=BB220_4 Depth=2
	s_or_b64 exec, exec, s[34:35]
	v_lshrrev_b32_e32 v1, v25, v26
	v_lshlrev_b32_sdwa v2, v24, v1 dst_sel:DWORD dst_unused:UNUSED_PAD src0_sel:DWORD src1_sel:BYTE_0
	v_add_u32_e32 v31, v23, v2
	v_and_b32_e32 v2, 1, v1
	v_add_co_u32_e32 v3, vcc, -1, v2
	v_addc_co_u32_e64 v4, s[34:35], 0, -1, vcc
	v_cmp_ne_u32_e32 vcc, 0, v2
	v_lshlrev_b32_e32 v12, 30, v1
	v_xor_b32_e32 v2, vcc_hi, v4
	v_xor_b32_e32 v3, vcc_lo, v3
	v_cmp_gt_i64_e32 vcc, 0, v[11:12]
	v_not_b32_e32 v4, v12
	v_ashrrev_i32_e32 v4, 31, v4
	v_and_b32_e32 v2, exec_hi, v2
	v_xor_b32_e32 v12, vcc_hi, v4
	v_and_b32_e32 v3, exec_lo, v3
	v_xor_b32_e32 v4, vcc_lo, v4
	v_and_b32_e32 v2, v2, v12
	v_lshlrev_b32_e32 v12, 29, v1
	v_and_b32_e32 v3, v3, v4
	v_cmp_gt_i64_e32 vcc, 0, v[11:12]
	v_not_b32_e32 v4, v12
	v_ashrrev_i32_e32 v4, 31, v4
	v_xor_b32_e32 v12, vcc_hi, v4
	v_xor_b32_e32 v4, vcc_lo, v4
	v_and_b32_e32 v2, v2, v12
	v_lshlrev_b32_e32 v12, 28, v1
	v_and_b32_e32 v3, v3, v4
	v_cmp_gt_i64_e32 vcc, 0, v[11:12]
	v_not_b32_e32 v4, v12
	v_ashrrev_i32_e32 v4, 31, v4
	v_xor_b32_e32 v12, vcc_hi, v4
	;; [unrolled: 8-line block ×5, first 2 shown]
	v_and_b32_e32 v2, v2, v12
	v_lshlrev_b32_e32 v12, 24, v1
	v_xor_b32_e32 v4, vcc_lo, v4
	v_cmp_gt_i64_e32 vcc, 0, v[11:12]
	v_not_b32_e32 v1, v12
	v_ashrrev_i32_e32 v1, 31, v1
	v_and_b32_e32 v3, v3, v4
	v_xor_b32_e32 v4, vcc_hi, v1
	v_xor_b32_e32 v1, vcc_lo, v1
	; wave barrier
	ds_read_b32 v30, v31 offset:16
	v_and_b32_e32 v1, v3, v1
	v_and_b32_e32 v2, v2, v4
	v_mbcnt_lo_u32_b32 v3, v1, 0
	v_mbcnt_hi_u32_b32 v32, v2, v3
	v_cmp_ne_u64_e32 vcc, 0, v[1:2]
	v_cmp_eq_u32_e64 s[34:35], 0, v32
	s_and_b64 s[36:37], vcc, s[34:35]
	; wave barrier
	s_and_saveexec_b64 s[34:35], s[36:37]
	s_cbranch_execz .LBB220_8
; %bb.7:                                ;   in Loop: Header=BB220_4 Depth=2
	v_bcnt_u32_b32 v1, v1, 0
	v_bcnt_u32_b32 v1, v2, v1
	s_waitcnt lgkmcnt(0)
	v_add_u32_e32 v1, v30, v1
	ds_write_b32 v31, v1 offset:16
.LBB220_8:                              ;   in Loop: Header=BB220_4 Depth=2
	s_or_b64 exec, exec, s[34:35]
	v_lshrrev_b32_e32 v1, v25, v6
	v_lshlrev_b32_sdwa v2, v24, v1 dst_sel:DWORD dst_unused:UNUSED_PAD src0_sel:DWORD src1_sel:BYTE_0
	v_add_u32_e32 v34, v23, v2
	v_and_b32_e32 v2, 1, v1
	v_add_co_u32_e32 v3, vcc, -1, v2
	v_addc_co_u32_e64 v4, s[34:35], 0, -1, vcc
	v_cmp_ne_u32_e32 vcc, 0, v2
	v_lshlrev_b32_e32 v12, 30, v1
	v_xor_b32_e32 v2, vcc_hi, v4
	v_xor_b32_e32 v3, vcc_lo, v3
	v_cmp_gt_i64_e32 vcc, 0, v[11:12]
	v_not_b32_e32 v4, v12
	v_ashrrev_i32_e32 v4, 31, v4
	v_and_b32_e32 v2, exec_hi, v2
	v_xor_b32_e32 v12, vcc_hi, v4
	v_and_b32_e32 v3, exec_lo, v3
	v_xor_b32_e32 v4, vcc_lo, v4
	v_and_b32_e32 v2, v2, v12
	v_lshlrev_b32_e32 v12, 29, v1
	v_and_b32_e32 v3, v3, v4
	v_cmp_gt_i64_e32 vcc, 0, v[11:12]
	v_not_b32_e32 v4, v12
	v_ashrrev_i32_e32 v4, 31, v4
	v_xor_b32_e32 v12, vcc_hi, v4
	v_xor_b32_e32 v4, vcc_lo, v4
	v_and_b32_e32 v2, v2, v12
	v_lshlrev_b32_e32 v12, 28, v1
	v_and_b32_e32 v3, v3, v4
	v_cmp_gt_i64_e32 vcc, 0, v[11:12]
	v_not_b32_e32 v4, v12
	v_ashrrev_i32_e32 v4, 31, v4
	v_xor_b32_e32 v12, vcc_hi, v4
	;; [unrolled: 8-line block ×5, first 2 shown]
	v_and_b32_e32 v2, v2, v12
	v_lshlrev_b32_e32 v12, 24, v1
	v_xor_b32_e32 v4, vcc_lo, v4
	v_cmp_gt_i64_e32 vcc, 0, v[11:12]
	v_not_b32_e32 v1, v12
	v_ashrrev_i32_e32 v1, 31, v1
	v_and_b32_e32 v3, v3, v4
	v_xor_b32_e32 v4, vcc_hi, v1
	v_xor_b32_e32 v1, vcc_lo, v1
	; wave barrier
	ds_read_b32 v33, v34 offset:16
	v_and_b32_e32 v1, v3, v1
	v_and_b32_e32 v2, v2, v4
	v_mbcnt_lo_u32_b32 v3, v1, 0
	v_mbcnt_hi_u32_b32 v35, v2, v3
	v_cmp_ne_u64_e32 vcc, 0, v[1:2]
	v_cmp_eq_u32_e64 s[34:35], 0, v35
	s_and_b64 s[36:37], vcc, s[34:35]
	; wave barrier
	s_and_saveexec_b64 s[34:35], s[36:37]
	s_cbranch_execz .LBB220_10
; %bb.9:                                ;   in Loop: Header=BB220_4 Depth=2
	v_bcnt_u32_b32 v1, v1, 0
	v_bcnt_u32_b32 v1, v2, v1
	s_waitcnt lgkmcnt(0)
	v_add_u32_e32 v1, v33, v1
	ds_write_b32 v34, v1 offset:16
.LBB220_10:                             ;   in Loop: Header=BB220_4 Depth=2
	s_or_b64 exec, exec, s[34:35]
	v_lshrrev_b32_e32 v1, v25, v5
	v_lshlrev_b32_sdwa v2, v24, v1 dst_sel:DWORD dst_unused:UNUSED_PAD src0_sel:DWORD src1_sel:BYTE_0
	v_add_u32_e32 v37, v23, v2
	v_and_b32_e32 v2, 1, v1
	v_add_co_u32_e32 v3, vcc, -1, v2
	v_addc_co_u32_e64 v4, s[34:35], 0, -1, vcc
	v_cmp_ne_u32_e32 vcc, 0, v2
	v_lshlrev_b32_e32 v12, 30, v1
	v_xor_b32_e32 v2, vcc_hi, v4
	v_xor_b32_e32 v3, vcc_lo, v3
	v_cmp_gt_i64_e32 vcc, 0, v[11:12]
	v_not_b32_e32 v4, v12
	v_ashrrev_i32_e32 v4, 31, v4
	v_and_b32_e32 v2, exec_hi, v2
	v_xor_b32_e32 v12, vcc_hi, v4
	v_and_b32_e32 v3, exec_lo, v3
	v_xor_b32_e32 v4, vcc_lo, v4
	v_and_b32_e32 v2, v2, v12
	v_lshlrev_b32_e32 v12, 29, v1
	v_and_b32_e32 v3, v3, v4
	v_cmp_gt_i64_e32 vcc, 0, v[11:12]
	v_not_b32_e32 v4, v12
	v_ashrrev_i32_e32 v4, 31, v4
	v_xor_b32_e32 v12, vcc_hi, v4
	v_xor_b32_e32 v4, vcc_lo, v4
	v_and_b32_e32 v2, v2, v12
	v_lshlrev_b32_e32 v12, 28, v1
	v_and_b32_e32 v3, v3, v4
	v_cmp_gt_i64_e32 vcc, 0, v[11:12]
	v_not_b32_e32 v4, v12
	v_ashrrev_i32_e32 v4, 31, v4
	v_xor_b32_e32 v12, vcc_hi, v4
	v_xor_b32_e32 v4, vcc_lo, v4
	v_and_b32_e32 v2, v2, v12
	v_lshlrev_b32_e32 v12, 27, v1
	v_and_b32_e32 v3, v3, v4
	v_cmp_gt_i64_e32 vcc, 0, v[11:12]
	v_not_b32_e32 v4, v12
	v_ashrrev_i32_e32 v4, 31, v4
	v_xor_b32_e32 v12, vcc_hi, v4
	v_xor_b32_e32 v4, vcc_lo, v4
	v_and_b32_e32 v2, v2, v12
	v_lshlrev_b32_e32 v12, 26, v1
	v_and_b32_e32 v3, v3, v4
	v_cmp_gt_i64_e32 vcc, 0, v[11:12]
	v_not_b32_e32 v4, v12
	v_ashrrev_i32_e32 v4, 31, v4
	v_xor_b32_e32 v12, vcc_hi, v4
	v_xor_b32_e32 v4, vcc_lo, v4
	v_and_b32_e32 v2, v2, v12
	v_lshlrev_b32_e32 v12, 25, v1
	v_and_b32_e32 v3, v3, v4
	v_cmp_gt_i64_e32 vcc, 0, v[11:12]
	v_not_b32_e32 v4, v12
	v_ashrrev_i32_e32 v4, 31, v4
	v_xor_b32_e32 v12, vcc_hi, v4
	v_and_b32_e32 v2, v2, v12
	v_lshlrev_b32_e32 v12, 24, v1
	v_xor_b32_e32 v4, vcc_lo, v4
	v_cmp_gt_i64_e32 vcc, 0, v[11:12]
	v_not_b32_e32 v1, v12
	v_ashrrev_i32_e32 v1, 31, v1
	v_and_b32_e32 v3, v3, v4
	v_xor_b32_e32 v4, vcc_hi, v1
	v_xor_b32_e32 v1, vcc_lo, v1
	; wave barrier
	ds_read_b32 v36, v37 offset:16
	v_and_b32_e32 v1, v3, v1
	v_and_b32_e32 v2, v2, v4
	v_mbcnt_lo_u32_b32 v3, v1, 0
	v_mbcnt_hi_u32_b32 v12, v2, v3
	v_cmp_ne_u64_e32 vcc, 0, v[1:2]
	v_cmp_eq_u32_e64 s[34:35], 0, v12
	s_and_b64 s[36:37], vcc, s[34:35]
	; wave barrier
	s_and_saveexec_b64 s[34:35], s[36:37]
	s_cbranch_execz .LBB220_12
; %bb.11:                               ;   in Loop: Header=BB220_4 Depth=2
	v_bcnt_u32_b32 v1, v1, 0
	v_bcnt_u32_b32 v1, v2, v1
	s_waitcnt lgkmcnt(0)
	v_add_u32_e32 v1, v36, v1
	ds_write_b32 v37, v1 offset:16
.LBB220_12:                             ;   in Loop: Header=BB220_4 Depth=2
	s_or_b64 exec, exec, s[34:35]
	; wave barrier
	s_waitcnt lgkmcnt(0)
	s_barrier
	ds_read2_b64 v[1:4], v13 offset0:2 offset1:3
	s_waitcnt lgkmcnt(0)
	v_add_u32_e32 v38, v2, v1
	v_add3_u32 v4, v38, v3, v4
	s_nop 1
	v_mov_b32_dpp v38, v4 row_shr:1 row_mask:0xf bank_mask:0xf
	v_cndmask_b32_e64 v38, v38, 0, s[8:9]
	v_add_u32_e32 v4, v38, v4
	s_nop 1
	v_mov_b32_dpp v38, v4 row_shr:2 row_mask:0xf bank_mask:0xf
	v_cndmask_b32_e64 v38, 0, v38, s[10:11]
	v_add_u32_e32 v4, v4, v38
	;; [unrolled: 4-line block ×4, first 2 shown]
	s_nop 1
	v_mov_b32_dpp v38, v4 row_bcast:15 row_mask:0xf bank_mask:0xf
	v_cndmask_b32_e64 v38, v38, 0, s[16:17]
	v_add_u32_e32 v4, v4, v38
	s_nop 1
	v_mov_b32_dpp v38, v4 row_bcast:31 row_mask:0xf bank_mask:0xf
	v_cndmask_b32_e64 v38, 0, v38, s[18:19]
	v_add_u32_e32 v4, v4, v38
	s_and_saveexec_b64 s[34:35], s[20:21]
; %bb.13:                               ;   in Loop: Header=BB220_4 Depth=2
	ds_write_b32 v19, v4
; %bb.14:                               ;   in Loop: Header=BB220_4 Depth=2
	s_or_b64 exec, exec, s[34:35]
	s_waitcnt lgkmcnt(0)
	s_barrier
	s_and_saveexec_b64 s[34:35], s[22:23]
	s_cbranch_execz .LBB220_16
; %bb.15:                               ;   in Loop: Header=BB220_4 Depth=2
	v_add_u32_e32 v38, v13, v20
	ds_read_b32 v39, v38
	s_waitcnt lgkmcnt(0)
	s_nop 0
	v_mov_b32_dpp v40, v39 row_shr:1 row_mask:0xf bank_mask:0xf
	v_cndmask_b32_e64 v40, v40, 0, s[6:7]
	v_add_u32_e32 v39, v40, v39
	s_nop 1
	v_mov_b32_dpp v40, v39 row_shr:2 row_mask:0xf bank_mask:0xf
	v_cndmask_b32_e64 v40, 0, v40, s[30:31]
	v_add_u32_e32 v39, v39, v40
	ds_write_b32 v38, v39
.LBB220_16:                             ;   in Loop: Header=BB220_4 Depth=2
	s_or_b64 exec, exec, s[34:35]
	v_mov_b32_e32 v38, 0
	s_waitcnt lgkmcnt(0)
	s_barrier
	s_and_saveexec_b64 s[34:35], s[24:25]
; %bb.17:                               ;   in Loop: Header=BB220_4 Depth=2
	ds_read_b32 v38, v21
; %bb.18:                               ;   in Loop: Header=BB220_4 Depth=2
	s_or_b64 exec, exec, s[34:35]
	s_waitcnt lgkmcnt(0)
	v_add_u32_e32 v4, v38, v4
	ds_bpermute_b32 v4, v18, v4
	v_cmp_lt_u32_e32 vcc, 23, v25
	s_and_b64 vcc, exec, vcc
	s_mov_b64 s[34:35], -1
	s_waitcnt lgkmcnt(0)
	v_cndmask_b32_e64 v4, v4, v38, s[26:27]
	v_cndmask_b32_e64 v38, v4, 0, s[28:29]
	v_add_u32_e32 v39, v38, v1
	v_add_u32_e32 v1, v39, v2
	;; [unrolled: 1-line block ×3, first 2 shown]
	ds_write2_b64 v13, v[38:39], v[1:2] offset0:2 offset1:3
	s_waitcnt lgkmcnt(0)
	s_barrier
	ds_read_b32 v1, v29 offset:16
	ds_read_b32 v2, v31 offset:16
	;; [unrolled: 1-line block ×4, first 2 shown]
	s_waitcnt lgkmcnt(3)
	v_add_u32_e32 v31, v1, v28
	s_waitcnt lgkmcnt(2)
	v_add3_u32 v29, v32, v30, v2
	s_waitcnt lgkmcnt(1)
	v_add3_u32 v28, v35, v33, v3
	;; [unrolled: 2-line block ×3, first 2 shown]
                                        ; implicit-def: $vgpr4
                                        ; implicit-def: $vgpr2
	s_cbranch_vccnz .LBB220_3
; %bb.19:                               ;   in Loop: Header=BB220_4 Depth=2
	v_lshlrev_b32_e32 v1, 2, v31
	s_barrier
	ds_write_b32 v1, v27
	v_lshlrev_b32_e32 v1, 2, v29
	ds_write_b32 v1, v26
	v_lshlrev_b32_e32 v1, 2, v28
	;; [unrolled: 2-line block ×3, first 2 shown]
	ds_write_b32 v1, v5
	s_waitcnt lgkmcnt(0)
	s_barrier
	ds_read2st64_b32 v[1:2], v22 offset1:1
	ds_read2st64_b32 v[3:4], v22 offset0:2 offset1:3
	v_add_u32_e32 v25, 8, v25
	s_mov_b64 s[34:35], 0
	s_waitcnt lgkmcnt(0)
	s_barrier
	s_branch .LBB220_3
.LBB220_20:
	s_add_u32 s0, s38, s42
	s_addc_u32 s1, s39, s43
	v_lshlrev_b32_e32 v0, 2, v0
	global_store_dword v0, v3, s[0:1]
	global_store_dword v0, v4, s[0:1] offset:1024
	global_store_dword v0, v5, s[0:1] offset:2048
	;; [unrolled: 1-line block ×3, first 2 shown]
	s_endpgm
	.section	.rodata,"a",@progbits
	.p2align	6, 0x0
	.amdhsa_kernel _Z16sort_keys_kernelI22helper_blocked_stripediLj256ELj4ELj10EEvPKT0_PS1_
		.amdhsa_group_segment_fixed_size 4112
		.amdhsa_private_segment_fixed_size 0
		.amdhsa_kernarg_size 272
		.amdhsa_user_sgpr_count 6
		.amdhsa_user_sgpr_private_segment_buffer 1
		.amdhsa_user_sgpr_dispatch_ptr 0
		.amdhsa_user_sgpr_queue_ptr 0
		.amdhsa_user_sgpr_kernarg_segment_ptr 1
		.amdhsa_user_sgpr_dispatch_id 0
		.amdhsa_user_sgpr_flat_scratch_init 0
		.amdhsa_user_sgpr_private_segment_size 0
		.amdhsa_uses_dynamic_stack 0
		.amdhsa_system_sgpr_private_segment_wavefront_offset 0
		.amdhsa_system_sgpr_workgroup_id_x 1
		.amdhsa_system_sgpr_workgroup_id_y 0
		.amdhsa_system_sgpr_workgroup_id_z 0
		.amdhsa_system_sgpr_workgroup_info 0
		.amdhsa_system_vgpr_workitem_id 2
		.amdhsa_next_free_vgpr 41
		.amdhsa_next_free_sgpr 44
		.amdhsa_reserve_vcc 1
		.amdhsa_reserve_flat_scratch 0
		.amdhsa_float_round_mode_32 0
		.amdhsa_float_round_mode_16_64 0
		.amdhsa_float_denorm_mode_32 3
		.amdhsa_float_denorm_mode_16_64 3
		.amdhsa_dx10_clamp 1
		.amdhsa_ieee_mode 1
		.amdhsa_fp16_overflow 0
		.amdhsa_exception_fp_ieee_invalid_op 0
		.amdhsa_exception_fp_denorm_src 0
		.amdhsa_exception_fp_ieee_div_zero 0
		.amdhsa_exception_fp_ieee_overflow 0
		.amdhsa_exception_fp_ieee_underflow 0
		.amdhsa_exception_fp_ieee_inexact 0
		.amdhsa_exception_int_div_zero 0
	.end_amdhsa_kernel
	.section	.text._Z16sort_keys_kernelI22helper_blocked_stripediLj256ELj4ELj10EEvPKT0_PS1_,"axG",@progbits,_Z16sort_keys_kernelI22helper_blocked_stripediLj256ELj4ELj10EEvPKT0_PS1_,comdat
.Lfunc_end220:
	.size	_Z16sort_keys_kernelI22helper_blocked_stripediLj256ELj4ELj10EEvPKT0_PS1_, .Lfunc_end220-_Z16sort_keys_kernelI22helper_blocked_stripediLj256ELj4ELj10EEvPKT0_PS1_
                                        ; -- End function
	.set _Z16sort_keys_kernelI22helper_blocked_stripediLj256ELj4ELj10EEvPKT0_PS1_.num_vgpr, 41
	.set _Z16sort_keys_kernelI22helper_blocked_stripediLj256ELj4ELj10EEvPKT0_PS1_.num_agpr, 0
	.set _Z16sort_keys_kernelI22helper_blocked_stripediLj256ELj4ELj10EEvPKT0_PS1_.numbered_sgpr, 44
	.set _Z16sort_keys_kernelI22helper_blocked_stripediLj256ELj4ELj10EEvPKT0_PS1_.num_named_barrier, 0
	.set _Z16sort_keys_kernelI22helper_blocked_stripediLj256ELj4ELj10EEvPKT0_PS1_.private_seg_size, 0
	.set _Z16sort_keys_kernelI22helper_blocked_stripediLj256ELj4ELj10EEvPKT0_PS1_.uses_vcc, 1
	.set _Z16sort_keys_kernelI22helper_blocked_stripediLj256ELj4ELj10EEvPKT0_PS1_.uses_flat_scratch, 0
	.set _Z16sort_keys_kernelI22helper_blocked_stripediLj256ELj4ELj10EEvPKT0_PS1_.has_dyn_sized_stack, 0
	.set _Z16sort_keys_kernelI22helper_blocked_stripediLj256ELj4ELj10EEvPKT0_PS1_.has_recursion, 0
	.set _Z16sort_keys_kernelI22helper_blocked_stripediLj256ELj4ELj10EEvPKT0_PS1_.has_indirect_call, 0
	.section	.AMDGPU.csdata,"",@progbits
; Kernel info:
; codeLenInByte = 2952
; TotalNumSgprs: 48
; NumVgprs: 41
; ScratchSize: 0
; MemoryBound: 0
; FloatMode: 240
; IeeeMode: 1
; LDSByteSize: 4112 bytes/workgroup (compile time only)
; SGPRBlocks: 5
; VGPRBlocks: 10
; NumSGPRsForWavesPerEU: 48
; NumVGPRsForWavesPerEU: 41
; Occupancy: 5
; WaveLimiterHint : 1
; COMPUTE_PGM_RSRC2:SCRATCH_EN: 0
; COMPUTE_PGM_RSRC2:USER_SGPR: 6
; COMPUTE_PGM_RSRC2:TRAP_HANDLER: 0
; COMPUTE_PGM_RSRC2:TGID_X_EN: 1
; COMPUTE_PGM_RSRC2:TGID_Y_EN: 0
; COMPUTE_PGM_RSRC2:TGID_Z_EN: 0
; COMPUTE_PGM_RSRC2:TIDIG_COMP_CNT: 2
	.section	.text._Z17sort_pairs_kernelI22helper_blocked_stripediLj256ELj4ELj10EEvPKT0_PS1_,"axG",@progbits,_Z17sort_pairs_kernelI22helper_blocked_stripediLj256ELj4ELj10EEvPKT0_PS1_,comdat
	.protected	_Z17sort_pairs_kernelI22helper_blocked_stripediLj256ELj4ELj10EEvPKT0_PS1_ ; -- Begin function _Z17sort_pairs_kernelI22helper_blocked_stripediLj256ELj4ELj10EEvPKT0_PS1_
	.globl	_Z17sort_pairs_kernelI22helper_blocked_stripediLj256ELj4ELj10EEvPKT0_PS1_
	.p2align	8
	.type	_Z17sort_pairs_kernelI22helper_blocked_stripediLj256ELj4ELj10EEvPKT0_PS1_,@function
_Z17sort_pairs_kernelI22helper_blocked_stripediLj256ELj4ELj10EEvPKT0_PS1_: ; @_Z17sort_pairs_kernelI22helper_blocked_stripediLj256ELj4ELj10EEvPKT0_PS1_
; %bb.0:
	s_load_dwordx4 s[36:39], s[4:5], 0x0
	s_load_dword s33, s[4:5], 0x1c
	s_lshl_b32 s42, s6, 10
	s_mov_b32 s43, 0
	s_lshl_b64 s[40:41], s[42:43], 2
	s_waitcnt lgkmcnt(0)
	s_add_u32 s0, s36, s40
	s_addc_u32 s1, s37, s41
	v_lshlrev_b32_e32 v16, 4, v0
	global_load_dwordx4 v[3:6], v16, s[0:1]
	s_lshr_b32 s34, s33, 16
	s_and_b32 s33, s33, 0xffff
	v_mad_u32_u24 v1, v2, s34, v1
	v_mbcnt_lo_u32_b32 v7, -1, 0
	v_mad_u64_u32 v[1:2], s[34:35], v1, s33, v[0:1]
	v_mbcnt_hi_u32_b32 v9, -1, v7
	v_or_b32_e32 v7, 63, v0
	v_lshrrev_b32_e32 v8, 4, v0
	s_mov_b32 s12, s43
	v_lshrrev_b32_e32 v10, 2, v9
	v_and_b32_e32 v12, 64, v9
	v_and_b32_e32 v13, 15, v9
	v_subrev_co_u32_e64 v15, s[10:11], 1, v9
	s_mov_b32 s13, s43
	v_and_b32_e32 v11, 3, v9
	v_and_b32_e32 v14, 16, v9
	v_cmp_eq_u32_e64 s[8:9], v0, v7
	v_and_b32_e32 v19, 12, v8
	v_and_b32_e32 v21, 0xc00, v16
	s_mov_b32 s42, s43
	v_mov_b32_e32 v7, s12
	v_cmp_eq_u32_e64 s[20:21], 0, v13
	v_cmp_lt_u32_e64 s[22:23], 1, v13
	v_cmp_lt_u32_e64 s[24:25], 3, v13
	;; [unrolled: 1-line block ×3, first 2 shown]
	v_or_b32_e32 v13, v10, v12
	v_add_u32_e32 v23, 48, v10
	v_cmp_lt_i32_e32 vcc, v15, v12
	v_cmp_lt_u32_e64 s[6:7], 31, v9
	v_mov_b32_e32 v8, s13
	v_cmp_eq_u32_e64 s[12:13], 3, v11
	v_cmp_eq_u32_e64 s[14:15], 2, v11
	;; [unrolled: 1-line block ×5, first 2 shown]
	v_cndmask_b32_e32 v14, v15, v9, vcc
	v_cmp_lt_u32_e64 s[30:31], 1, v11
	v_lshl_or_b32 v21, v9, 2, v21
	v_mov_b32_e32 v9, s42
	v_lshlrev_b32_e32 v22, 2, v13
	v_and_or_b32 v11, v23, 63, v12
	v_lshrrev_b32_e32 v1, 4, v1
	v_mov_b32_e32 v17, 4
	v_cmp_gt_u32_e64 s[0:1], 4, v0
	v_cmp_lt_u32_e64 s[2:3], 63, v0
	v_cmp_eq_u32_e64 s[4:5], 0, v0
	v_mul_i32_i24_e32 v18, -12, v0
	v_add_u32_e32 v20, -4, v19
	v_mov_b32_e32 v10, s43
	v_lshlrev_b32_e32 v23, 2, v14
	v_lshlrev_b32_e32 v24, 2, v11
	v_add_u32_e32 v25, 64, v22
	v_or_b32_e32 v26, 0x80, v22
	v_and_b32_e32 v27, 0xffffffc, v1
	v_mov_b32_e32 v11, 0
	s_waitcnt vmcnt(0)
	v_add_u32_e32 v14, 1, v3
	v_add_u32_e32 v15, 1, v4
	;; [unrolled: 1-line block ×4, first 2 shown]
	s_branch .LBB221_2
.LBB221_1:                              ;   in Loop: Header=BB221_2 Depth=1
	v_lshlrev_b32_e32 v3, 2, v41
	v_lshlrev_b32_e32 v4, 2, v38
	;; [unrolled: 1-line block ×4, first 2 shown]
	s_barrier
	ds_write_b32 v3, v34
	ds_write_b32 v4, v33
	;; [unrolled: 1-line block ×4, first 2 shown]
	v_add_u32_e32 v30, v16, v18
	s_waitcnt lgkmcnt(0)
	s_barrier
	ds_read2st64_b32 v[1:2], v30 offset1:4
	ds_read2st64_b32 v[5:6], v30 offset0:8 offset1:12
	s_waitcnt lgkmcnt(0)
	s_barrier
	ds_write_b32 v3, v29
	ds_write_b32 v4, v28
	;; [unrolled: 1-line block ×4, first 2 shown]
	s_waitcnt lgkmcnt(0)
	s_barrier
	ds_read2st64_b32 v[14:15], v30 offset1:4
	ds_read2st64_b32 v[12:13], v30 offset0:8 offset1:12
	s_add_i32 s43, s43, 1
	v_xor_b32_e32 v3, 0x80000000, v1
	v_xor_b32_e32 v4, 0x80000000, v2
	;; [unrolled: 1-line block ×3, first 2 shown]
	s_cmp_eq_u32 s43, 10
	v_xor_b32_e32 v6, 0x80000000, v6
	s_cbranch_scc1 .LBB221_20
.LBB221_2:                              ; =>This Loop Header: Depth=1
                                        ;     Child Loop BB221_4 Depth 2
	v_xor_b32_e32 v28, 0x80000000, v3
	v_xor_b32_e32 v4, 0x80000000, v4
	ds_bpermute_b32 v1, v22, v28
	ds_bpermute_b32 v2, v22, v4
	v_xor_b32_e32 v5, 0x80000000, v5
	v_xor_b32_e32 v6, 0x80000000, v6
	ds_bpermute_b32 v3, v22, v6
	s_waitcnt lgkmcnt(2)
	v_cndmask_b32_e64 v1, 0, v1, s[18:19]
	s_waitcnt lgkmcnt(1)
	v_cndmask_b32_e64 v1, v1, v2, s[16:17]
	ds_bpermute_b32 v2, v22, v5
	ds_bpermute_b32 v29, v25, v28
	;; [unrolled: 1-line block ×5, first 2 shown]
	s_waitcnt lgkmcnt(4)
	v_cndmask_b32_e64 v1, v1, v2, s[14:15]
	v_cndmask_b32_e64 v1, v1, v3, s[12:13]
	s_waitcnt lgkmcnt(3)
	v_cndmask_b32_e64 v2, 0, v29, s[18:19]
	ds_bpermute_b32 v3, v25, v6
	ds_bpermute_b32 v29, v26, v28
	;; [unrolled: 1-line block ×3, first 2 shown]
	s_waitcnt lgkmcnt(5)
	v_cndmask_b32_e64 v2, v2, v30, s[16:17]
	ds_bpermute_b32 v30, v26, v4
	ds_bpermute_b32 v4, v24, v4
	s_waitcnt lgkmcnt(6)
	v_cndmask_b32_e64 v2, v2, v31, s[14:15]
	ds_bpermute_b32 v31, v26, v5
	ds_bpermute_b32 v5, v24, v5
	;; [unrolled: 1-line block ×3, first 2 shown]
	s_waitcnt lgkmcnt(7)
	v_cndmask_b32_e64 v2, v2, v3, s[12:13]
	s_waitcnt lgkmcnt(6)
	v_cndmask_b32_e64 v3, 0, v29, s[18:19]
	ds_bpermute_b32 v29, v22, v14
	s_waitcnt lgkmcnt(6)
	v_cndmask_b32_e64 v28, 0, v28, s[18:19]
	s_waitcnt lgkmcnt(4)
	v_cndmask_b32_e64 v4, v28, v4, s[16:17]
	;; [unrolled: 2-line block ×4, first 2 shown]
	ds_bpermute_b32 v6, v22, v15
	v_cndmask_b32_e64 v3, v3, v30, s[16:17]
	ds_bpermute_b32 v28, v22, v12
	ds_bpermute_b32 v30, v25, v14
	s_waitcnt lgkmcnt(3)
	v_cndmask_b32_e64 v5, 0, v29, s[18:19]
	ds_bpermute_b32 v29, v22, v13
	v_cndmask_b32_e64 v3, v3, v31, s[14:15]
	ds_bpermute_b32 v31, v25, v15
	s_waitcnt lgkmcnt(4)
	v_cndmask_b32_e64 v5, v5, v6, s[16:17]
	s_waitcnt lgkmcnt(3)
	v_cndmask_b32_e64 v5, v5, v28, s[14:15]
	;; [unrolled: 2-line block ×3, first 2 shown]
	ds_bpermute_b32 v28, v25, v12
	ds_bpermute_b32 v30, v26, v14
	s_waitcnt lgkmcnt(3)
	v_cndmask_b32_e64 v5, v5, v29, s[12:13]
	ds_bpermute_b32 v29, v25, v13
	ds_bpermute_b32 v14, v24, v14
	s_waitcnt lgkmcnt(4)
	v_cndmask_b32_e64 v6, v6, v31, s[16:17]
	ds_bpermute_b32 v31, v26, v15
	ds_bpermute_b32 v15, v24, v15
	v_cndmask_b32_e64 v3, v3, v32, s[12:13]
	ds_bpermute_b32 v32, v26, v12
	s_waitcnt lgkmcnt(6)
	v_cndmask_b32_e64 v6, v6, v28, s[14:15]
	s_waitcnt lgkmcnt(5)
	v_cndmask_b32_e64 v28, 0, v30, s[18:19]
	ds_bpermute_b32 v30, v24, v12
	s_waitcnt lgkmcnt(5)
	v_cndmask_b32_e64 v6, v6, v29, s[12:13]
	ds_bpermute_b32 v29, v26, v13
	ds_bpermute_b32 v13, v24, v13
	s_waitcnt lgkmcnt(6)
	v_cndmask_b32_e64 v14, 0, v14, s[18:19]
	s_waitcnt lgkmcnt(5)
	v_cndmask_b32_e64 v28, v28, v31, s[16:17]
	;; [unrolled: 2-line block ×7, first 2 shown]
	v_mov_b32_e32 v31, v11
	s_barrier
	s_branch .LBB221_4
.LBB221_3:                              ;   in Loop: Header=BB221_4 Depth=2
	s_andn2_b64 vcc, exec, s[34:35]
	s_cbranch_vccz .LBB221_1
.LBB221_4:                              ;   Parent Loop BB221_2 Depth=1
                                        ; =>  This Inner Loop Header: Depth=2
	v_mov_b32_e32 v34, v1
	v_lshrrev_b32_e32 v1, v31, v34
	v_mov_b32_e32 v33, v2
	v_and_b32_e32 v2, 1, v1
	v_mov_b32_e32 v30, v4
	v_add_co_u32_e32 v4, vcc, -1, v2
	v_mov_b32_e32 v15, v12
	v_mov_b32_e32 v29, v5
	v_addc_co_u32_e64 v5, s[34:35], 0, -1, vcc
	v_cmp_ne_u32_e32 vcc, 0, v2
	v_lshlrev_b32_e32 v12, 30, v1
	v_xor_b32_e32 v2, vcc_hi, v5
	v_xor_b32_e32 v4, vcc_lo, v4
	v_cmp_gt_i64_e32 vcc, 0, v[11:12]
	v_not_b32_e32 v5, v12
	v_ashrrev_i32_e32 v5, 31, v5
	v_mov_b32_e32 v28, v6
	v_and_b32_e32 v4, exec_lo, v4
	v_xor_b32_e32 v6, vcc_hi, v5
	v_xor_b32_e32 v5, vcc_lo, v5
	v_lshlrev_b32_e32 v12, 29, v1
	v_and_b32_e32 v4, v4, v5
	v_cmp_gt_i64_e32 vcc, 0, v[11:12]
	v_not_b32_e32 v5, v12
	v_and_b32_e32 v2, exec_hi, v2
	v_ashrrev_i32_e32 v5, 31, v5
	v_and_b32_e32 v2, v2, v6
	v_xor_b32_e32 v6, vcc_hi, v5
	v_xor_b32_e32 v5, vcc_lo, v5
	v_lshlrev_b32_e32 v12, 28, v1
	v_and_b32_e32 v4, v4, v5
	v_cmp_gt_i64_e32 vcc, 0, v[11:12]
	v_not_b32_e32 v5, v12
	v_ashrrev_i32_e32 v5, 31, v5
	v_and_b32_e32 v2, v2, v6
	v_xor_b32_e32 v6, vcc_hi, v5
	v_xor_b32_e32 v5, vcc_lo, v5
	v_lshlrev_b32_e32 v12, 27, v1
	v_and_b32_e32 v4, v4, v5
	v_cmp_gt_i64_e32 vcc, 0, v[11:12]
	v_not_b32_e32 v5, v12
	;; [unrolled: 8-line block ×4, first 2 shown]
	v_ashrrev_i32_e32 v5, 31, v5
	v_lshlrev_b32_e32 v12, 24, v1
	v_mov_b32_e32 v32, v3
	v_lshlrev_b32_sdwa v3, v17, v1 dst_sel:DWORD dst_unused:UNUSED_PAD src0_sel:DWORD src1_sel:BYTE_0
	v_and_b32_e32 v2, v2, v6
	v_xor_b32_e32 v6, vcc_hi, v5
	v_xor_b32_e32 v5, vcc_lo, v5
	v_cmp_gt_i64_e32 vcc, 0, v[11:12]
	v_not_b32_e32 v1, v12
	v_ashrrev_i32_e32 v1, 31, v1
	v_and_b32_e32 v4, v4, v5
	v_xor_b32_e32 v5, vcc_hi, v1
	v_xor_b32_e32 v1, vcc_lo, v1
	v_and_b32_e32 v2, v2, v6
	v_and_b32_e32 v1, v4, v1
	;; [unrolled: 1-line block ×3, first 2 shown]
	v_mbcnt_lo_u32_b32 v4, v1, 0
	v_mbcnt_hi_u32_b32 v5, v2, v4
	v_cmp_ne_u64_e32 vcc, 0, v[1:2]
	v_cmp_eq_u32_e64 s[34:35], 0, v5
	v_mov_b32_e32 v14, v13
	s_and_b64 s[36:37], vcc, s[34:35]
	v_add_u32_e32 v6, v27, v3
	ds_write2_b64 v16, v[9:10], v[7:8] offset0:2 offset1:3
	s_waitcnt lgkmcnt(0)
	s_barrier
	; wave barrier
	s_and_saveexec_b64 s[34:35], s[36:37]
; %bb.5:                                ;   in Loop: Header=BB221_4 Depth=2
	v_bcnt_u32_b32 v1, v1, 0
	v_bcnt_u32_b32 v1, v2, v1
	ds_write_b32 v6, v1 offset:16
; %bb.6:                                ;   in Loop: Header=BB221_4 Depth=2
	s_or_b64 exec, exec, s[34:35]
	v_lshrrev_b32_e32 v1, v31, v33
	v_lshlrev_b32_sdwa v2, v17, v1 dst_sel:DWORD dst_unused:UNUSED_PAD src0_sel:DWORD src1_sel:BYTE_0
	v_add_u32_e32 v35, v27, v2
	v_and_b32_e32 v2, 1, v1
	v_add_co_u32_e32 v3, vcc, -1, v2
	v_addc_co_u32_e64 v4, s[34:35], 0, -1, vcc
	v_cmp_ne_u32_e32 vcc, 0, v2
	v_lshlrev_b32_e32 v12, 30, v1
	v_xor_b32_e32 v2, vcc_hi, v4
	v_xor_b32_e32 v3, vcc_lo, v3
	v_cmp_gt_i64_e32 vcc, 0, v[11:12]
	v_not_b32_e32 v4, v12
	v_ashrrev_i32_e32 v4, 31, v4
	v_and_b32_e32 v2, exec_hi, v2
	v_xor_b32_e32 v12, vcc_hi, v4
	v_and_b32_e32 v3, exec_lo, v3
	v_xor_b32_e32 v4, vcc_lo, v4
	v_and_b32_e32 v2, v2, v12
	v_lshlrev_b32_e32 v12, 29, v1
	v_and_b32_e32 v3, v3, v4
	v_cmp_gt_i64_e32 vcc, 0, v[11:12]
	v_not_b32_e32 v4, v12
	v_ashrrev_i32_e32 v4, 31, v4
	v_xor_b32_e32 v12, vcc_hi, v4
	v_xor_b32_e32 v4, vcc_lo, v4
	v_and_b32_e32 v2, v2, v12
	v_lshlrev_b32_e32 v12, 28, v1
	v_and_b32_e32 v3, v3, v4
	v_cmp_gt_i64_e32 vcc, 0, v[11:12]
	v_not_b32_e32 v4, v12
	v_ashrrev_i32_e32 v4, 31, v4
	v_xor_b32_e32 v12, vcc_hi, v4
	;; [unrolled: 8-line block ×5, first 2 shown]
	v_and_b32_e32 v2, v2, v12
	v_lshlrev_b32_e32 v12, 24, v1
	v_xor_b32_e32 v4, vcc_lo, v4
	v_cmp_gt_i64_e32 vcc, 0, v[11:12]
	v_not_b32_e32 v1, v12
	v_ashrrev_i32_e32 v1, 31, v1
	v_and_b32_e32 v3, v3, v4
	v_xor_b32_e32 v4, vcc_hi, v1
	v_xor_b32_e32 v1, vcc_lo, v1
	; wave barrier
	ds_read_b32 v13, v35 offset:16
	v_and_b32_e32 v1, v3, v1
	v_and_b32_e32 v2, v2, v4
	v_mbcnt_lo_u32_b32 v3, v1, 0
	v_mbcnt_hi_u32_b32 v36, v2, v3
	v_cmp_ne_u64_e32 vcc, 0, v[1:2]
	v_cmp_eq_u32_e64 s[34:35], 0, v36
	s_and_b64 s[36:37], vcc, s[34:35]
	; wave barrier
	s_and_saveexec_b64 s[34:35], s[36:37]
	s_cbranch_execz .LBB221_8
; %bb.7:                                ;   in Loop: Header=BB221_4 Depth=2
	v_bcnt_u32_b32 v1, v1, 0
	v_bcnt_u32_b32 v1, v2, v1
	s_waitcnt lgkmcnt(0)
	v_add_u32_e32 v1, v13, v1
	ds_write_b32 v35, v1 offset:16
.LBB221_8:                              ;   in Loop: Header=BB221_4 Depth=2
	s_or_b64 exec, exec, s[34:35]
	v_lshrrev_b32_e32 v1, v31, v32
	v_lshlrev_b32_sdwa v2, v17, v1 dst_sel:DWORD dst_unused:UNUSED_PAD src0_sel:DWORD src1_sel:BYTE_0
	v_add_u32_e32 v38, v27, v2
	v_and_b32_e32 v2, 1, v1
	v_add_co_u32_e32 v3, vcc, -1, v2
	v_addc_co_u32_e64 v4, s[34:35], 0, -1, vcc
	v_cmp_ne_u32_e32 vcc, 0, v2
	v_lshlrev_b32_e32 v12, 30, v1
	v_xor_b32_e32 v2, vcc_hi, v4
	v_xor_b32_e32 v3, vcc_lo, v3
	v_cmp_gt_i64_e32 vcc, 0, v[11:12]
	v_not_b32_e32 v4, v12
	v_ashrrev_i32_e32 v4, 31, v4
	v_and_b32_e32 v2, exec_hi, v2
	v_xor_b32_e32 v12, vcc_hi, v4
	v_and_b32_e32 v3, exec_lo, v3
	v_xor_b32_e32 v4, vcc_lo, v4
	v_and_b32_e32 v2, v2, v12
	v_lshlrev_b32_e32 v12, 29, v1
	v_and_b32_e32 v3, v3, v4
	v_cmp_gt_i64_e32 vcc, 0, v[11:12]
	v_not_b32_e32 v4, v12
	v_ashrrev_i32_e32 v4, 31, v4
	v_xor_b32_e32 v12, vcc_hi, v4
	v_xor_b32_e32 v4, vcc_lo, v4
	v_and_b32_e32 v2, v2, v12
	v_lshlrev_b32_e32 v12, 28, v1
	v_and_b32_e32 v3, v3, v4
	v_cmp_gt_i64_e32 vcc, 0, v[11:12]
	v_not_b32_e32 v4, v12
	v_ashrrev_i32_e32 v4, 31, v4
	v_xor_b32_e32 v12, vcc_hi, v4
	;; [unrolled: 8-line block ×5, first 2 shown]
	v_and_b32_e32 v2, v2, v12
	v_lshlrev_b32_e32 v12, 24, v1
	v_xor_b32_e32 v4, vcc_lo, v4
	v_cmp_gt_i64_e32 vcc, 0, v[11:12]
	v_not_b32_e32 v1, v12
	v_ashrrev_i32_e32 v1, 31, v1
	v_and_b32_e32 v3, v3, v4
	v_xor_b32_e32 v4, vcc_hi, v1
	v_xor_b32_e32 v1, vcc_lo, v1
	; wave barrier
	ds_read_b32 v37, v38 offset:16
	v_and_b32_e32 v1, v3, v1
	v_and_b32_e32 v2, v2, v4
	v_mbcnt_lo_u32_b32 v3, v1, 0
	v_mbcnt_hi_u32_b32 v39, v2, v3
	v_cmp_ne_u64_e32 vcc, 0, v[1:2]
	v_cmp_eq_u32_e64 s[34:35], 0, v39
	s_and_b64 s[36:37], vcc, s[34:35]
	; wave barrier
	s_and_saveexec_b64 s[34:35], s[36:37]
	s_cbranch_execz .LBB221_10
; %bb.9:                                ;   in Loop: Header=BB221_4 Depth=2
	v_bcnt_u32_b32 v1, v1, 0
	v_bcnt_u32_b32 v1, v2, v1
	s_waitcnt lgkmcnt(0)
	v_add_u32_e32 v1, v37, v1
	ds_write_b32 v38, v1 offset:16
.LBB221_10:                             ;   in Loop: Header=BB221_4 Depth=2
	s_or_b64 exec, exec, s[34:35]
	v_lshrrev_b32_e32 v1, v31, v30
	v_lshlrev_b32_sdwa v2, v17, v1 dst_sel:DWORD dst_unused:UNUSED_PAD src0_sel:DWORD src1_sel:BYTE_0
	v_add_u32_e32 v41, v27, v2
	v_and_b32_e32 v2, 1, v1
	v_add_co_u32_e32 v3, vcc, -1, v2
	v_addc_co_u32_e64 v4, s[34:35], 0, -1, vcc
	v_cmp_ne_u32_e32 vcc, 0, v2
	v_lshlrev_b32_e32 v12, 30, v1
	v_xor_b32_e32 v2, vcc_hi, v4
	v_xor_b32_e32 v3, vcc_lo, v3
	v_cmp_gt_i64_e32 vcc, 0, v[11:12]
	v_not_b32_e32 v4, v12
	v_ashrrev_i32_e32 v4, 31, v4
	v_and_b32_e32 v2, exec_hi, v2
	v_xor_b32_e32 v12, vcc_hi, v4
	v_and_b32_e32 v3, exec_lo, v3
	v_xor_b32_e32 v4, vcc_lo, v4
	v_and_b32_e32 v2, v2, v12
	v_lshlrev_b32_e32 v12, 29, v1
	v_and_b32_e32 v3, v3, v4
	v_cmp_gt_i64_e32 vcc, 0, v[11:12]
	v_not_b32_e32 v4, v12
	v_ashrrev_i32_e32 v4, 31, v4
	v_xor_b32_e32 v12, vcc_hi, v4
	v_xor_b32_e32 v4, vcc_lo, v4
	v_and_b32_e32 v2, v2, v12
	v_lshlrev_b32_e32 v12, 28, v1
	v_and_b32_e32 v3, v3, v4
	v_cmp_gt_i64_e32 vcc, 0, v[11:12]
	v_not_b32_e32 v4, v12
	v_ashrrev_i32_e32 v4, 31, v4
	v_xor_b32_e32 v12, vcc_hi, v4
	;; [unrolled: 8-line block ×5, first 2 shown]
	v_and_b32_e32 v2, v2, v12
	v_lshlrev_b32_e32 v12, 24, v1
	v_xor_b32_e32 v4, vcc_lo, v4
	v_cmp_gt_i64_e32 vcc, 0, v[11:12]
	v_not_b32_e32 v1, v12
	v_ashrrev_i32_e32 v1, 31, v1
	v_and_b32_e32 v3, v3, v4
	v_xor_b32_e32 v4, vcc_hi, v1
	v_xor_b32_e32 v1, vcc_lo, v1
	; wave barrier
	ds_read_b32 v40, v41 offset:16
	v_and_b32_e32 v1, v3, v1
	v_and_b32_e32 v2, v2, v4
	v_mbcnt_lo_u32_b32 v3, v1, 0
	v_mbcnt_hi_u32_b32 v12, v2, v3
	v_cmp_ne_u64_e32 vcc, 0, v[1:2]
	v_cmp_eq_u32_e64 s[34:35], 0, v12
	s_and_b64 s[36:37], vcc, s[34:35]
	; wave barrier
	s_and_saveexec_b64 s[34:35], s[36:37]
	s_cbranch_execz .LBB221_12
; %bb.11:                               ;   in Loop: Header=BB221_4 Depth=2
	v_bcnt_u32_b32 v1, v1, 0
	v_bcnt_u32_b32 v1, v2, v1
	s_waitcnt lgkmcnt(0)
	v_add_u32_e32 v1, v40, v1
	ds_write_b32 v41, v1 offset:16
.LBB221_12:                             ;   in Loop: Header=BB221_4 Depth=2
	s_or_b64 exec, exec, s[34:35]
	; wave barrier
	s_waitcnt lgkmcnt(0)
	s_barrier
	ds_read2_b64 v[1:4], v16 offset0:2 offset1:3
	s_waitcnt lgkmcnt(0)
	v_add_u32_e32 v42, v2, v1
	v_add3_u32 v4, v42, v3, v4
	s_nop 1
	v_mov_b32_dpp v42, v4 row_shr:1 row_mask:0xf bank_mask:0xf
	v_cndmask_b32_e64 v42, v42, 0, s[20:21]
	v_add_u32_e32 v4, v42, v4
	s_nop 1
	v_mov_b32_dpp v42, v4 row_shr:2 row_mask:0xf bank_mask:0xf
	v_cndmask_b32_e64 v42, 0, v42, s[22:23]
	v_add_u32_e32 v4, v4, v42
	;; [unrolled: 4-line block ×4, first 2 shown]
	s_nop 1
	v_mov_b32_dpp v42, v4 row_bcast:15 row_mask:0xf bank_mask:0xf
	v_cndmask_b32_e64 v42, v42, 0, s[28:29]
	v_add_u32_e32 v4, v4, v42
	s_nop 1
	v_mov_b32_dpp v42, v4 row_bcast:31 row_mask:0xf bank_mask:0xf
	v_cndmask_b32_e64 v42, 0, v42, s[6:7]
	v_add_u32_e32 v4, v4, v42
	s_and_saveexec_b64 s[34:35], s[8:9]
; %bb.13:                               ;   in Loop: Header=BB221_4 Depth=2
	ds_write_b32 v19, v4
; %bb.14:                               ;   in Loop: Header=BB221_4 Depth=2
	s_or_b64 exec, exec, s[34:35]
	s_waitcnt lgkmcnt(0)
	s_barrier
	s_and_saveexec_b64 s[34:35], s[0:1]
	s_cbranch_execz .LBB221_16
; %bb.15:                               ;   in Loop: Header=BB221_4 Depth=2
	v_add_u32_e32 v42, v16, v18
	ds_read_b32 v43, v42
	s_waitcnt lgkmcnt(0)
	s_nop 0
	v_mov_b32_dpp v44, v43 row_shr:1 row_mask:0xf bank_mask:0xf
	v_cndmask_b32_e64 v44, v44, 0, s[18:19]
	v_add_u32_e32 v43, v44, v43
	s_nop 1
	v_mov_b32_dpp v44, v43 row_shr:2 row_mask:0xf bank_mask:0xf
	v_cndmask_b32_e64 v44, 0, v44, s[30:31]
	v_add_u32_e32 v43, v43, v44
	ds_write_b32 v42, v43
.LBB221_16:                             ;   in Loop: Header=BB221_4 Depth=2
	s_or_b64 exec, exec, s[34:35]
	v_mov_b32_e32 v42, 0
	s_waitcnt lgkmcnt(0)
	s_barrier
	s_and_saveexec_b64 s[34:35], s[2:3]
; %bb.17:                               ;   in Loop: Header=BB221_4 Depth=2
	ds_read_b32 v42, v20
; %bb.18:                               ;   in Loop: Header=BB221_4 Depth=2
	s_or_b64 exec, exec, s[34:35]
	s_waitcnt lgkmcnt(0)
	v_add_u32_e32 v4, v42, v4
	ds_bpermute_b32 v4, v23, v4
	v_cmp_lt_u32_e32 vcc, 23, v31
	s_and_b64 vcc, exec, vcc
	s_mov_b64 s[34:35], -1
	s_waitcnt lgkmcnt(0)
	v_cndmask_b32_e64 v4, v4, v42, s[10:11]
	v_cndmask_b32_e64 v42, v4, 0, s[4:5]
	v_add_u32_e32 v43, v42, v1
	v_add_u32_e32 v1, v43, v2
	;; [unrolled: 1-line block ×3, first 2 shown]
	ds_write2_b64 v16, v[42:43], v[1:2] offset0:2 offset1:3
	s_waitcnt lgkmcnt(0)
	s_barrier
	ds_read_b32 v1, v6 offset:16
	ds_read_b32 v2, v35 offset:16
	;; [unrolled: 1-line block ×4, first 2 shown]
	s_waitcnt lgkmcnt(3)
	v_add_u32_e32 v41, v1, v5
	s_waitcnt lgkmcnt(2)
	v_add3_u32 v38, v36, v13, v2
	s_waitcnt lgkmcnt(1)
	v_add3_u32 v36, v39, v37, v3
	;; [unrolled: 2-line block ×3, first 2 shown]
                                        ; implicit-def: $vgpr4
                                        ; implicit-def: $vgpr2
                                        ; implicit-def: $vgpr13
                                        ; implicit-def: $vgpr6
	s_cbranch_vccnz .LBB221_3
; %bb.19:                               ;   in Loop: Header=BB221_4 Depth=2
	v_lshlrev_b32_e32 v5, 2, v41
	v_lshlrev_b32_e32 v6, 2, v38
	;; [unrolled: 1-line block ×4, first 2 shown]
	s_barrier
	ds_write_b32 v5, v34
	ds_write_b32 v6, v33
	;; [unrolled: 1-line block ×4, first 2 shown]
	s_waitcnt lgkmcnt(0)
	s_barrier
	ds_read2st64_b32 v[1:2], v21 offset1:1
	ds_read2st64_b32 v[3:4], v21 offset0:2 offset1:3
	s_waitcnt lgkmcnt(0)
	s_barrier
	ds_write_b32 v5, v29
	ds_write_b32 v6, v28
	;; [unrolled: 1-line block ×4, first 2 shown]
	s_waitcnt lgkmcnt(0)
	s_barrier
	ds_read2st64_b32 v[5:6], v21 offset1:1
	ds_read2st64_b32 v[12:13], v21 offset0:2 offset1:3
	v_add_u32_e32 v31, 8, v31
	s_mov_b64 s[34:35], 0
	s_waitcnt lgkmcnt(0)
	s_barrier
	s_branch .LBB221_3
.LBB221_20:
	s_add_u32 s0, s38, s40
	s_waitcnt lgkmcnt(1)
	v_add_u32_e32 v1, v3, v14
	s_addc_u32 s1, s39, s41
	v_lshlrev_b32_e32 v0, 2, v0
	v_add_u32_e32 v2, v4, v15
	s_waitcnt lgkmcnt(0)
	v_add_u32_e32 v3, v5, v12
	v_add_u32_e32 v4, v6, v13
	global_store_dword v0, v1, s[0:1]
	global_store_dword v0, v2, s[0:1] offset:1024
	global_store_dword v0, v3, s[0:1] offset:2048
	;; [unrolled: 1-line block ×3, first 2 shown]
	s_endpgm
	.section	.rodata,"a",@progbits
	.p2align	6, 0x0
	.amdhsa_kernel _Z17sort_pairs_kernelI22helper_blocked_stripediLj256ELj4ELj10EEvPKT0_PS1_
		.amdhsa_group_segment_fixed_size 4112
		.amdhsa_private_segment_fixed_size 0
		.amdhsa_kernarg_size 272
		.amdhsa_user_sgpr_count 6
		.amdhsa_user_sgpr_private_segment_buffer 1
		.amdhsa_user_sgpr_dispatch_ptr 0
		.amdhsa_user_sgpr_queue_ptr 0
		.amdhsa_user_sgpr_kernarg_segment_ptr 1
		.amdhsa_user_sgpr_dispatch_id 0
		.amdhsa_user_sgpr_flat_scratch_init 0
		.amdhsa_user_sgpr_private_segment_size 0
		.amdhsa_uses_dynamic_stack 0
		.amdhsa_system_sgpr_private_segment_wavefront_offset 0
		.amdhsa_system_sgpr_workgroup_id_x 1
		.amdhsa_system_sgpr_workgroup_id_y 0
		.amdhsa_system_sgpr_workgroup_id_z 0
		.amdhsa_system_sgpr_workgroup_info 0
		.amdhsa_system_vgpr_workitem_id 2
		.amdhsa_next_free_vgpr 45
		.amdhsa_next_free_sgpr 44
		.amdhsa_reserve_vcc 1
		.amdhsa_reserve_flat_scratch 0
		.amdhsa_float_round_mode_32 0
		.amdhsa_float_round_mode_16_64 0
		.amdhsa_float_denorm_mode_32 3
		.amdhsa_float_denorm_mode_16_64 3
		.amdhsa_dx10_clamp 1
		.amdhsa_ieee_mode 1
		.amdhsa_fp16_overflow 0
		.amdhsa_exception_fp_ieee_invalid_op 0
		.amdhsa_exception_fp_denorm_src 0
		.amdhsa_exception_fp_ieee_div_zero 0
		.amdhsa_exception_fp_ieee_overflow 0
		.amdhsa_exception_fp_ieee_underflow 0
		.amdhsa_exception_fp_ieee_inexact 0
		.amdhsa_exception_int_div_zero 0
	.end_amdhsa_kernel
	.section	.text._Z17sort_pairs_kernelI22helper_blocked_stripediLj256ELj4ELj10EEvPKT0_PS1_,"axG",@progbits,_Z17sort_pairs_kernelI22helper_blocked_stripediLj256ELj4ELj10EEvPKT0_PS1_,comdat
.Lfunc_end221:
	.size	_Z17sort_pairs_kernelI22helper_blocked_stripediLj256ELj4ELj10EEvPKT0_PS1_, .Lfunc_end221-_Z17sort_pairs_kernelI22helper_blocked_stripediLj256ELj4ELj10EEvPKT0_PS1_
                                        ; -- End function
	.set _Z17sort_pairs_kernelI22helper_blocked_stripediLj256ELj4ELj10EEvPKT0_PS1_.num_vgpr, 45
	.set _Z17sort_pairs_kernelI22helper_blocked_stripediLj256ELj4ELj10EEvPKT0_PS1_.num_agpr, 0
	.set _Z17sort_pairs_kernelI22helper_blocked_stripediLj256ELj4ELj10EEvPKT0_PS1_.numbered_sgpr, 44
	.set _Z17sort_pairs_kernelI22helper_blocked_stripediLj256ELj4ELj10EEvPKT0_PS1_.num_named_barrier, 0
	.set _Z17sort_pairs_kernelI22helper_blocked_stripediLj256ELj4ELj10EEvPKT0_PS1_.private_seg_size, 0
	.set _Z17sort_pairs_kernelI22helper_blocked_stripediLj256ELj4ELj10EEvPKT0_PS1_.uses_vcc, 1
	.set _Z17sort_pairs_kernelI22helper_blocked_stripediLj256ELj4ELj10EEvPKT0_PS1_.uses_flat_scratch, 0
	.set _Z17sort_pairs_kernelI22helper_blocked_stripediLj256ELj4ELj10EEvPKT0_PS1_.has_dyn_sized_stack, 0
	.set _Z17sort_pairs_kernelI22helper_blocked_stripediLj256ELj4ELj10EEvPKT0_PS1_.has_recursion, 0
	.set _Z17sort_pairs_kernelI22helper_blocked_stripediLj256ELj4ELj10EEvPKT0_PS1_.has_indirect_call, 0
	.section	.AMDGPU.csdata,"",@progbits
; Kernel info:
; codeLenInByte = 3432
; TotalNumSgprs: 48
; NumVgprs: 45
; ScratchSize: 0
; MemoryBound: 0
; FloatMode: 240
; IeeeMode: 1
; LDSByteSize: 4112 bytes/workgroup (compile time only)
; SGPRBlocks: 5
; VGPRBlocks: 11
; NumSGPRsForWavesPerEU: 48
; NumVGPRsForWavesPerEU: 45
; Occupancy: 5
; WaveLimiterHint : 1
; COMPUTE_PGM_RSRC2:SCRATCH_EN: 0
; COMPUTE_PGM_RSRC2:USER_SGPR: 6
; COMPUTE_PGM_RSRC2:TRAP_HANDLER: 0
; COMPUTE_PGM_RSRC2:TGID_X_EN: 1
; COMPUTE_PGM_RSRC2:TGID_Y_EN: 0
; COMPUTE_PGM_RSRC2:TGID_Z_EN: 0
; COMPUTE_PGM_RSRC2:TIDIG_COMP_CNT: 2
	.section	.text._Z16sort_keys_kernelI22helper_blocked_stripediLj256ELj8ELj10EEvPKT0_PS1_,"axG",@progbits,_Z16sort_keys_kernelI22helper_blocked_stripediLj256ELj8ELj10EEvPKT0_PS1_,comdat
	.protected	_Z16sort_keys_kernelI22helper_blocked_stripediLj256ELj8ELj10EEvPKT0_PS1_ ; -- Begin function _Z16sort_keys_kernelI22helper_blocked_stripediLj256ELj8ELj10EEvPKT0_PS1_
	.globl	_Z16sort_keys_kernelI22helper_blocked_stripediLj256ELj8ELj10EEvPKT0_PS1_
	.p2align	8
	.type	_Z16sort_keys_kernelI22helper_blocked_stripediLj256ELj8ELj10EEvPKT0_PS1_,@function
_Z16sort_keys_kernelI22helper_blocked_stripediLj256ELj8ELj10EEvPKT0_PS1_: ; @_Z16sort_keys_kernelI22helper_blocked_stripediLj256ELj8ELj10EEvPKT0_PS1_
; %bb.0:
	s_load_dwordx4 s[28:31], s[4:5], 0x0
	s_load_dword s2, s[4:5], 0x1c
	s_lshl_b32 s34, s6, 11
	s_mov_b32 s35, 0
	s_lshl_b64 s[36:37], s[34:35], 2
	s_waitcnt lgkmcnt(0)
	s_add_u32 s0, s28, s36
	s_addc_u32 s1, s29, s37
	v_lshlrev_b32_e32 v11, 5, v0
	global_load_dwordx4 v[7:10], v11, s[0:1]
	global_load_dwordx4 v[3:6], v11, s[0:1] offset:16
	s_lshr_b32 s0, s2, 16
	v_mbcnt_lo_u32_b32 v12, -1, 0
	s_and_b32 s1, s2, 0xffff
	v_mad_u32_u24 v1, v2, s0, v1
	v_mbcnt_hi_u32_b32 v12, -1, v12
	v_mad_u64_u32 v[1:2], s[0:1], v1, s1, v[0:1]
	v_and_b32_e32 v2, 15, v12
	v_and_b32_e32 v13, 0xc0, v0
	v_cmp_eq_u32_e64 s[0:1], 0, v2
	v_cmp_lt_u32_e64 s[2:3], 1, v2
	v_cmp_lt_u32_e64 s[4:5], 3, v2
	;; [unrolled: 1-line block ×3, first 2 shown]
	v_and_b32_e32 v2, 16, v12
	v_and_b32_e32 v11, 0x1800, v11
	v_cmp_eq_u32_e64 s[8:9], 0, v2
	v_or_b32_e32 v2, 63, v13
	v_lshl_or_b32 v18, v12, 2, v11
	v_cmp_eq_u32_e64 s[12:13], v0, v2
	v_subrev_co_u32_e64 v2, s[18:19], 1, v12
	v_and_b32_e32 v11, 64, v12
	v_cmp_lt_i32_e32 vcc, v2, v11
	v_cndmask_b32_e32 v2, v2, v12, vcc
	v_lshlrev_b32_e32 v20, 2, v2
	v_lshrrev_b32_e32 v2, 4, v0
	s_mov_b32 s34, s35
	s_mov_b32 s26, s35
	v_add_lshl_u32 v17, v12, v13, 5
	v_cmp_lt_u32_e64 s[10:11], 31, v12
	v_and_b32_e32 v21, 12, v2
	v_and_b32_e32 v2, 3, v12
	v_lshrrev_b32_e32 v1, 4, v1
	s_mov_b32 s27, s35
	v_mov_b32_e32 v11, s34
	v_mov_b32_e32 v13, s26
	v_lshlrev_b32_e32 v19, 4, v0
	v_cmp_gt_u32_e64 s[14:15], 4, v0
	v_cmp_lt_u32_e64 s[16:17], 63, v0
	v_cmp_eq_u32_e64 s[20:21], 0, v0
	v_mul_i32_i24_e32 v22, -12, v0
	v_cmp_eq_u32_e64 s[22:23], 0, v2
	v_cmp_lt_u32_e64 s[24:25], 1, v2
	v_add_u32_e32 v23, -4, v21
	v_and_b32_e32 v24, 0xffffffc, v1
	v_mov_b32_e32 v12, s35
	v_mov_b32_e32 v14, s27
	;; [unrolled: 1-line block ×4, first 2 shown]
	s_branch .LBB222_2
.LBB222_1:                              ;   in Loop: Header=BB222_2 Depth=1
	v_lshlrev_b32_e32 v1, 2, v44
	s_barrier
	ds_write_b32 v1, v32
	v_lshlrev_b32_e32 v1, 2, v41
	ds_write_b32 v1, v31
	v_lshlrev_b32_e32 v1, 2, v38
	;; [unrolled: 2-line block ×7, first 2 shown]
	v_add_u32_e32 v7, v19, v22
	ds_write_b32 v1, v9
	s_waitcnt lgkmcnt(0)
	s_barrier
	ds_read2st64_b32 v[1:2], v7 offset1:4
	ds_read2st64_b32 v[3:4], v7 offset0:8 offset1:12
	ds_read2st64_b32 v[5:6], v7 offset0:16 offset1:20
	;; [unrolled: 1-line block ×3, first 2 shown]
	s_add_i32 s35, s35, 1
	s_waitcnt lgkmcnt(3)
	v_xor_b32_e32 v7, 0x80000000, v1
	v_xor_b32_e32 v8, 0x80000000, v2
	s_waitcnt lgkmcnt(2)
	v_xor_b32_e32 v9, 0x80000000, v3
	v_xor_b32_e32 v10, 0x80000000, v4
	;; [unrolled: 3-line block ×3, first 2 shown]
	s_waitcnt lgkmcnt(0)
	v_xor_b32_e32 v5, 0x80000000, v26
	s_cmp_eq_u32 s35, 10
	v_xor_b32_e32 v6, 0x80000000, v27
	s_cbranch_scc1 .LBB222_28
.LBB222_2:                              ; =>This Loop Header: Depth=1
                                        ;     Child Loop BB222_4 Depth 2
	s_waitcnt vmcnt(1)
	v_xor_b32_e32 v1, 0x80000000, v7
	v_xor_b32_e32 v2, 0x80000000, v8
	;; [unrolled: 1-line block ×4, first 2 shown]
	s_waitcnt vmcnt(0)
	v_xor_b32_e32 v3, 0x80000000, v3
	v_xor_b32_e32 v4, 0x80000000, v4
	;; [unrolled: 1-line block ×4, first 2 shown]
	ds_write2_b64 v17, v[1:2], v[7:8] offset1:1
	ds_write2_b64 v17, v[3:4], v[5:6] offset0:2 offset1:3
	; wave barrier
	ds_read2st64_b32 v[1:2], v18 offset1:1
	ds_read2st64_b32 v[3:4], v18 offset0:2 offset1:3
	ds_read2st64_b32 v[5:6], v18 offset0:4 offset1:5
	;; [unrolled: 1-line block ×3, first 2 shown]
	v_mov_b32_e32 v28, v15
	s_waitcnt lgkmcnt(0)
	s_barrier
	; wave barrier
	s_barrier
	s_branch .LBB222_4
.LBB222_3:                              ;   in Loop: Header=BB222_4 Depth=2
	s_andn2_b64 vcc, exec, s[26:27]
	s_cbranch_vccz .LBB222_1
.LBB222_4:                              ;   Parent Loop BB222_2 Depth=1
                                        ; =>  This Inner Loop Header: Depth=2
	v_mov_b32_e32 v32, v1
	v_lshrrev_b32_e32 v1, v28, v32
	v_mov_b32_e32 v31, v2
	v_and_b32_e32 v2, 1, v1
	v_mov_b32_e32 v29, v4
	v_add_co_u32_e32 v4, vcc, -1, v2
	v_mov_b32_e32 v27, v5
	v_addc_co_u32_e64 v5, s[26:27], 0, -1, vcc
	v_cmp_ne_u32_e32 vcc, 0, v2
	v_lshlrev_b32_e32 v16, 30, v1
	v_xor_b32_e32 v2, vcc_hi, v5
	v_xor_b32_e32 v4, vcc_lo, v4
	v_cmp_gt_i64_e32 vcc, 0, v[15:16]
	v_not_b32_e32 v5, v16
	v_ashrrev_i32_e32 v5, 31, v5
	v_mov_b32_e32 v26, v6
	v_and_b32_e32 v4, exec_lo, v4
	v_xor_b32_e32 v6, vcc_hi, v5
	v_xor_b32_e32 v5, vcc_lo, v5
	v_lshlrev_b32_e32 v16, 29, v1
	v_and_b32_e32 v4, v4, v5
	v_cmp_gt_i64_e32 vcc, 0, v[15:16]
	v_not_b32_e32 v5, v16
	v_and_b32_e32 v2, exec_hi, v2
	v_ashrrev_i32_e32 v5, 31, v5
	v_and_b32_e32 v2, v2, v6
	v_xor_b32_e32 v6, vcc_hi, v5
	v_xor_b32_e32 v5, vcc_lo, v5
	v_lshlrev_b32_e32 v16, 28, v1
	v_and_b32_e32 v4, v4, v5
	v_cmp_gt_i64_e32 vcc, 0, v[15:16]
	v_not_b32_e32 v5, v16
	v_ashrrev_i32_e32 v5, 31, v5
	v_and_b32_e32 v2, v2, v6
	v_xor_b32_e32 v6, vcc_hi, v5
	v_xor_b32_e32 v5, vcc_lo, v5
	v_lshlrev_b32_e32 v16, 27, v1
	v_and_b32_e32 v4, v4, v5
	v_cmp_gt_i64_e32 vcc, 0, v[15:16]
	v_not_b32_e32 v5, v16
	;; [unrolled: 8-line block ×4, first 2 shown]
	v_ashrrev_i32_e32 v5, 31, v5
	v_lshlrev_b32_e32 v16, 24, v1
	v_mov_b32_e32 v30, v3
	v_lshlrev_b32_sdwa v3, v25, v1 dst_sel:DWORD dst_unused:UNUSED_PAD src0_sel:DWORD src1_sel:BYTE_0
	v_and_b32_e32 v2, v2, v6
	v_xor_b32_e32 v6, vcc_hi, v5
	v_xor_b32_e32 v5, vcc_lo, v5
	v_cmp_gt_i64_e32 vcc, 0, v[15:16]
	v_not_b32_e32 v1, v16
	v_ashrrev_i32_e32 v1, 31, v1
	v_and_b32_e32 v4, v4, v5
	v_xor_b32_e32 v5, vcc_hi, v1
	v_xor_b32_e32 v1, vcc_lo, v1
	v_and_b32_e32 v2, v2, v6
	v_and_b32_e32 v1, v4, v1
	;; [unrolled: 1-line block ×3, first 2 shown]
	v_mbcnt_lo_u32_b32 v4, v1, 0
	v_mbcnt_hi_u32_b32 v5, v2, v4
	v_cmp_ne_u64_e32 vcc, 0, v[1:2]
	v_cmp_eq_u32_e64 s[26:27], 0, v5
	v_mov_b32_e32 v9, v8
	v_mov_b32_e32 v10, v7
	s_and_b64 s[28:29], vcc, s[26:27]
	v_add_u32_e32 v6, v24, v3
	ds_write2_b64 v19, v[11:12], v[13:14] offset0:2 offset1:3
	s_waitcnt lgkmcnt(0)
	s_barrier
	; wave barrier
	s_and_saveexec_b64 s[26:27], s[28:29]
; %bb.5:                                ;   in Loop: Header=BB222_4 Depth=2
	v_bcnt_u32_b32 v1, v1, 0
	v_bcnt_u32_b32 v1, v2, v1
	ds_write_b32 v6, v1 offset:16
; %bb.6:                                ;   in Loop: Header=BB222_4 Depth=2
	s_or_b64 exec, exec, s[26:27]
	v_lshrrev_b32_e32 v1, v28, v31
	v_lshlrev_b32_sdwa v2, v25, v1 dst_sel:DWORD dst_unused:UNUSED_PAD src0_sel:DWORD src1_sel:BYTE_0
	v_add_u32_e32 v8, v24, v2
	v_and_b32_e32 v2, 1, v1
	v_add_co_u32_e32 v3, vcc, -1, v2
	v_addc_co_u32_e64 v4, s[26:27], 0, -1, vcc
	v_cmp_ne_u32_e32 vcc, 0, v2
	v_lshlrev_b32_e32 v16, 30, v1
	v_xor_b32_e32 v2, vcc_hi, v4
	v_xor_b32_e32 v3, vcc_lo, v3
	v_cmp_gt_i64_e32 vcc, 0, v[15:16]
	v_not_b32_e32 v4, v16
	v_ashrrev_i32_e32 v4, 31, v4
	v_and_b32_e32 v2, exec_hi, v2
	v_xor_b32_e32 v16, vcc_hi, v4
	v_and_b32_e32 v3, exec_lo, v3
	v_xor_b32_e32 v4, vcc_lo, v4
	v_and_b32_e32 v2, v2, v16
	v_lshlrev_b32_e32 v16, 29, v1
	v_and_b32_e32 v3, v3, v4
	v_cmp_gt_i64_e32 vcc, 0, v[15:16]
	v_not_b32_e32 v4, v16
	v_ashrrev_i32_e32 v4, 31, v4
	v_xor_b32_e32 v16, vcc_hi, v4
	v_xor_b32_e32 v4, vcc_lo, v4
	v_and_b32_e32 v2, v2, v16
	v_lshlrev_b32_e32 v16, 28, v1
	v_and_b32_e32 v3, v3, v4
	v_cmp_gt_i64_e32 vcc, 0, v[15:16]
	v_not_b32_e32 v4, v16
	v_ashrrev_i32_e32 v4, 31, v4
	v_xor_b32_e32 v16, vcc_hi, v4
	;; [unrolled: 8-line block ×5, first 2 shown]
	v_and_b32_e32 v2, v2, v16
	v_lshlrev_b32_e32 v16, 24, v1
	v_xor_b32_e32 v4, vcc_lo, v4
	v_cmp_gt_i64_e32 vcc, 0, v[15:16]
	v_not_b32_e32 v1, v16
	v_ashrrev_i32_e32 v1, 31, v1
	v_and_b32_e32 v3, v3, v4
	v_xor_b32_e32 v4, vcc_hi, v1
	v_xor_b32_e32 v1, vcc_lo, v1
	; wave barrier
	ds_read_b32 v7, v8 offset:16
	v_and_b32_e32 v1, v3, v1
	v_and_b32_e32 v2, v2, v4
	v_mbcnt_lo_u32_b32 v3, v1, 0
	v_mbcnt_hi_u32_b32 v33, v2, v3
	v_cmp_ne_u64_e32 vcc, 0, v[1:2]
	v_cmp_eq_u32_e64 s[26:27], 0, v33
	s_and_b64 s[28:29], vcc, s[26:27]
	; wave barrier
	s_and_saveexec_b64 s[26:27], s[28:29]
	s_cbranch_execz .LBB222_8
; %bb.7:                                ;   in Loop: Header=BB222_4 Depth=2
	v_bcnt_u32_b32 v1, v1, 0
	v_bcnt_u32_b32 v1, v2, v1
	s_waitcnt lgkmcnt(0)
	v_add_u32_e32 v1, v7, v1
	ds_write_b32 v8, v1 offset:16
.LBB222_8:                              ;   in Loop: Header=BB222_4 Depth=2
	s_or_b64 exec, exec, s[26:27]
	v_lshrrev_b32_e32 v1, v28, v30
	v_lshlrev_b32_sdwa v2, v25, v1 dst_sel:DWORD dst_unused:UNUSED_PAD src0_sel:DWORD src1_sel:BYTE_0
	v_add_u32_e32 v35, v24, v2
	v_and_b32_e32 v2, 1, v1
	v_add_co_u32_e32 v3, vcc, -1, v2
	v_addc_co_u32_e64 v4, s[26:27], 0, -1, vcc
	v_cmp_ne_u32_e32 vcc, 0, v2
	v_lshlrev_b32_e32 v16, 30, v1
	v_xor_b32_e32 v2, vcc_hi, v4
	v_xor_b32_e32 v3, vcc_lo, v3
	v_cmp_gt_i64_e32 vcc, 0, v[15:16]
	v_not_b32_e32 v4, v16
	v_ashrrev_i32_e32 v4, 31, v4
	v_and_b32_e32 v2, exec_hi, v2
	v_xor_b32_e32 v16, vcc_hi, v4
	v_and_b32_e32 v3, exec_lo, v3
	v_xor_b32_e32 v4, vcc_lo, v4
	v_and_b32_e32 v2, v2, v16
	v_lshlrev_b32_e32 v16, 29, v1
	v_and_b32_e32 v3, v3, v4
	v_cmp_gt_i64_e32 vcc, 0, v[15:16]
	v_not_b32_e32 v4, v16
	v_ashrrev_i32_e32 v4, 31, v4
	v_xor_b32_e32 v16, vcc_hi, v4
	v_xor_b32_e32 v4, vcc_lo, v4
	v_and_b32_e32 v2, v2, v16
	v_lshlrev_b32_e32 v16, 28, v1
	v_and_b32_e32 v3, v3, v4
	v_cmp_gt_i64_e32 vcc, 0, v[15:16]
	v_not_b32_e32 v4, v16
	v_ashrrev_i32_e32 v4, 31, v4
	v_xor_b32_e32 v16, vcc_hi, v4
	;; [unrolled: 8-line block ×5, first 2 shown]
	v_and_b32_e32 v2, v2, v16
	v_lshlrev_b32_e32 v16, 24, v1
	v_xor_b32_e32 v4, vcc_lo, v4
	v_cmp_gt_i64_e32 vcc, 0, v[15:16]
	v_not_b32_e32 v1, v16
	v_ashrrev_i32_e32 v1, 31, v1
	v_and_b32_e32 v3, v3, v4
	v_xor_b32_e32 v4, vcc_hi, v1
	v_xor_b32_e32 v1, vcc_lo, v1
	; wave barrier
	ds_read_b32 v34, v35 offset:16
	v_and_b32_e32 v1, v3, v1
	v_and_b32_e32 v2, v2, v4
	v_mbcnt_lo_u32_b32 v3, v1, 0
	v_mbcnt_hi_u32_b32 v36, v2, v3
	v_cmp_ne_u64_e32 vcc, 0, v[1:2]
	v_cmp_eq_u32_e64 s[26:27], 0, v36
	s_and_b64 s[28:29], vcc, s[26:27]
	; wave barrier
	s_and_saveexec_b64 s[26:27], s[28:29]
	s_cbranch_execz .LBB222_10
; %bb.9:                                ;   in Loop: Header=BB222_4 Depth=2
	v_bcnt_u32_b32 v1, v1, 0
	v_bcnt_u32_b32 v1, v2, v1
	s_waitcnt lgkmcnt(0)
	v_add_u32_e32 v1, v34, v1
	ds_write_b32 v35, v1 offset:16
.LBB222_10:                             ;   in Loop: Header=BB222_4 Depth=2
	s_or_b64 exec, exec, s[26:27]
	v_lshrrev_b32_e32 v1, v28, v29
	v_lshlrev_b32_sdwa v2, v25, v1 dst_sel:DWORD dst_unused:UNUSED_PAD src0_sel:DWORD src1_sel:BYTE_0
	v_add_u32_e32 v38, v24, v2
	v_and_b32_e32 v2, 1, v1
	v_add_co_u32_e32 v3, vcc, -1, v2
	v_addc_co_u32_e64 v4, s[26:27], 0, -1, vcc
	v_cmp_ne_u32_e32 vcc, 0, v2
	v_lshlrev_b32_e32 v16, 30, v1
	v_xor_b32_e32 v2, vcc_hi, v4
	v_xor_b32_e32 v3, vcc_lo, v3
	v_cmp_gt_i64_e32 vcc, 0, v[15:16]
	v_not_b32_e32 v4, v16
	v_ashrrev_i32_e32 v4, 31, v4
	v_and_b32_e32 v2, exec_hi, v2
	v_xor_b32_e32 v16, vcc_hi, v4
	v_and_b32_e32 v3, exec_lo, v3
	v_xor_b32_e32 v4, vcc_lo, v4
	v_and_b32_e32 v2, v2, v16
	v_lshlrev_b32_e32 v16, 29, v1
	v_and_b32_e32 v3, v3, v4
	v_cmp_gt_i64_e32 vcc, 0, v[15:16]
	v_not_b32_e32 v4, v16
	v_ashrrev_i32_e32 v4, 31, v4
	v_xor_b32_e32 v16, vcc_hi, v4
	v_xor_b32_e32 v4, vcc_lo, v4
	v_and_b32_e32 v2, v2, v16
	v_lshlrev_b32_e32 v16, 28, v1
	v_and_b32_e32 v3, v3, v4
	v_cmp_gt_i64_e32 vcc, 0, v[15:16]
	v_not_b32_e32 v4, v16
	v_ashrrev_i32_e32 v4, 31, v4
	v_xor_b32_e32 v16, vcc_hi, v4
	;; [unrolled: 8-line block ×5, first 2 shown]
	v_and_b32_e32 v2, v2, v16
	v_lshlrev_b32_e32 v16, 24, v1
	v_xor_b32_e32 v4, vcc_lo, v4
	v_cmp_gt_i64_e32 vcc, 0, v[15:16]
	v_not_b32_e32 v1, v16
	v_ashrrev_i32_e32 v1, 31, v1
	v_and_b32_e32 v3, v3, v4
	v_xor_b32_e32 v4, vcc_hi, v1
	v_xor_b32_e32 v1, vcc_lo, v1
	; wave barrier
	ds_read_b32 v37, v38 offset:16
	v_and_b32_e32 v1, v3, v1
	v_and_b32_e32 v2, v2, v4
	v_mbcnt_lo_u32_b32 v3, v1, 0
	v_mbcnt_hi_u32_b32 v39, v2, v3
	v_cmp_ne_u64_e32 vcc, 0, v[1:2]
	v_cmp_eq_u32_e64 s[26:27], 0, v39
	s_and_b64 s[28:29], vcc, s[26:27]
	; wave barrier
	s_and_saveexec_b64 s[26:27], s[28:29]
	s_cbranch_execz .LBB222_12
; %bb.11:                               ;   in Loop: Header=BB222_4 Depth=2
	v_bcnt_u32_b32 v1, v1, 0
	v_bcnt_u32_b32 v1, v2, v1
	s_waitcnt lgkmcnt(0)
	v_add_u32_e32 v1, v37, v1
	ds_write_b32 v38, v1 offset:16
.LBB222_12:                             ;   in Loop: Header=BB222_4 Depth=2
	s_or_b64 exec, exec, s[26:27]
	v_lshrrev_b32_e32 v1, v28, v27
	v_lshlrev_b32_sdwa v2, v25, v1 dst_sel:DWORD dst_unused:UNUSED_PAD src0_sel:DWORD src1_sel:BYTE_0
	v_add_u32_e32 v41, v24, v2
	v_and_b32_e32 v2, 1, v1
	v_add_co_u32_e32 v3, vcc, -1, v2
	v_addc_co_u32_e64 v4, s[26:27], 0, -1, vcc
	v_cmp_ne_u32_e32 vcc, 0, v2
	v_lshlrev_b32_e32 v16, 30, v1
	v_xor_b32_e32 v2, vcc_hi, v4
	v_xor_b32_e32 v3, vcc_lo, v3
	v_cmp_gt_i64_e32 vcc, 0, v[15:16]
	v_not_b32_e32 v4, v16
	v_ashrrev_i32_e32 v4, 31, v4
	v_and_b32_e32 v2, exec_hi, v2
	v_xor_b32_e32 v16, vcc_hi, v4
	v_and_b32_e32 v3, exec_lo, v3
	v_xor_b32_e32 v4, vcc_lo, v4
	v_and_b32_e32 v2, v2, v16
	v_lshlrev_b32_e32 v16, 29, v1
	v_and_b32_e32 v3, v3, v4
	v_cmp_gt_i64_e32 vcc, 0, v[15:16]
	v_not_b32_e32 v4, v16
	v_ashrrev_i32_e32 v4, 31, v4
	v_xor_b32_e32 v16, vcc_hi, v4
	v_xor_b32_e32 v4, vcc_lo, v4
	v_and_b32_e32 v2, v2, v16
	v_lshlrev_b32_e32 v16, 28, v1
	v_and_b32_e32 v3, v3, v4
	v_cmp_gt_i64_e32 vcc, 0, v[15:16]
	v_not_b32_e32 v4, v16
	v_ashrrev_i32_e32 v4, 31, v4
	v_xor_b32_e32 v16, vcc_hi, v4
	;; [unrolled: 8-line block ×5, first 2 shown]
	v_and_b32_e32 v2, v2, v16
	v_lshlrev_b32_e32 v16, 24, v1
	v_xor_b32_e32 v4, vcc_lo, v4
	v_cmp_gt_i64_e32 vcc, 0, v[15:16]
	v_not_b32_e32 v1, v16
	v_ashrrev_i32_e32 v1, 31, v1
	v_and_b32_e32 v3, v3, v4
	v_xor_b32_e32 v4, vcc_hi, v1
	v_xor_b32_e32 v1, vcc_lo, v1
	; wave barrier
	ds_read_b32 v40, v41 offset:16
	v_and_b32_e32 v1, v3, v1
	v_and_b32_e32 v2, v2, v4
	v_mbcnt_lo_u32_b32 v3, v1, 0
	v_mbcnt_hi_u32_b32 v42, v2, v3
	v_cmp_ne_u64_e32 vcc, 0, v[1:2]
	v_cmp_eq_u32_e64 s[26:27], 0, v42
	s_and_b64 s[28:29], vcc, s[26:27]
	; wave barrier
	s_and_saveexec_b64 s[26:27], s[28:29]
	s_cbranch_execz .LBB222_14
; %bb.13:                               ;   in Loop: Header=BB222_4 Depth=2
	v_bcnt_u32_b32 v1, v1, 0
	v_bcnt_u32_b32 v1, v2, v1
	s_waitcnt lgkmcnt(0)
	v_add_u32_e32 v1, v40, v1
	ds_write_b32 v41, v1 offset:16
.LBB222_14:                             ;   in Loop: Header=BB222_4 Depth=2
	s_or_b64 exec, exec, s[26:27]
	v_lshrrev_b32_e32 v1, v28, v26
	v_lshlrev_b32_sdwa v2, v25, v1 dst_sel:DWORD dst_unused:UNUSED_PAD src0_sel:DWORD src1_sel:BYTE_0
	v_add_u32_e32 v44, v24, v2
	v_and_b32_e32 v2, 1, v1
	v_add_co_u32_e32 v3, vcc, -1, v2
	v_addc_co_u32_e64 v4, s[26:27], 0, -1, vcc
	v_cmp_ne_u32_e32 vcc, 0, v2
	v_lshlrev_b32_e32 v16, 30, v1
	v_xor_b32_e32 v2, vcc_hi, v4
	v_xor_b32_e32 v3, vcc_lo, v3
	v_cmp_gt_i64_e32 vcc, 0, v[15:16]
	v_not_b32_e32 v4, v16
	v_ashrrev_i32_e32 v4, 31, v4
	v_and_b32_e32 v2, exec_hi, v2
	v_xor_b32_e32 v16, vcc_hi, v4
	v_and_b32_e32 v3, exec_lo, v3
	v_xor_b32_e32 v4, vcc_lo, v4
	v_and_b32_e32 v2, v2, v16
	v_lshlrev_b32_e32 v16, 29, v1
	v_and_b32_e32 v3, v3, v4
	v_cmp_gt_i64_e32 vcc, 0, v[15:16]
	v_not_b32_e32 v4, v16
	v_ashrrev_i32_e32 v4, 31, v4
	v_xor_b32_e32 v16, vcc_hi, v4
	v_xor_b32_e32 v4, vcc_lo, v4
	v_and_b32_e32 v2, v2, v16
	v_lshlrev_b32_e32 v16, 28, v1
	v_and_b32_e32 v3, v3, v4
	v_cmp_gt_i64_e32 vcc, 0, v[15:16]
	v_not_b32_e32 v4, v16
	v_ashrrev_i32_e32 v4, 31, v4
	v_xor_b32_e32 v16, vcc_hi, v4
	;; [unrolled: 8-line block ×5, first 2 shown]
	v_and_b32_e32 v2, v2, v16
	v_lshlrev_b32_e32 v16, 24, v1
	v_xor_b32_e32 v4, vcc_lo, v4
	v_cmp_gt_i64_e32 vcc, 0, v[15:16]
	v_not_b32_e32 v1, v16
	v_ashrrev_i32_e32 v1, 31, v1
	v_and_b32_e32 v3, v3, v4
	v_xor_b32_e32 v4, vcc_hi, v1
	v_xor_b32_e32 v1, vcc_lo, v1
	; wave barrier
	ds_read_b32 v43, v44 offset:16
	v_and_b32_e32 v1, v3, v1
	v_and_b32_e32 v2, v2, v4
	v_mbcnt_lo_u32_b32 v3, v1, 0
	v_mbcnt_hi_u32_b32 v45, v2, v3
	v_cmp_ne_u64_e32 vcc, 0, v[1:2]
	v_cmp_eq_u32_e64 s[26:27], 0, v45
	s_and_b64 s[28:29], vcc, s[26:27]
	; wave barrier
	s_and_saveexec_b64 s[26:27], s[28:29]
	s_cbranch_execz .LBB222_16
; %bb.15:                               ;   in Loop: Header=BB222_4 Depth=2
	v_bcnt_u32_b32 v1, v1, 0
	v_bcnt_u32_b32 v1, v2, v1
	s_waitcnt lgkmcnt(0)
	v_add_u32_e32 v1, v43, v1
	ds_write_b32 v44, v1 offset:16
.LBB222_16:                             ;   in Loop: Header=BB222_4 Depth=2
	s_or_b64 exec, exec, s[26:27]
	v_lshrrev_b32_e32 v1, v28, v10
	v_lshlrev_b32_sdwa v2, v25, v1 dst_sel:DWORD dst_unused:UNUSED_PAD src0_sel:DWORD src1_sel:BYTE_0
	v_add_u32_e32 v47, v24, v2
	v_and_b32_e32 v2, 1, v1
	v_add_co_u32_e32 v3, vcc, -1, v2
	v_addc_co_u32_e64 v4, s[26:27], 0, -1, vcc
	v_cmp_ne_u32_e32 vcc, 0, v2
	v_lshlrev_b32_e32 v16, 30, v1
	v_xor_b32_e32 v2, vcc_hi, v4
	v_xor_b32_e32 v3, vcc_lo, v3
	v_cmp_gt_i64_e32 vcc, 0, v[15:16]
	v_not_b32_e32 v4, v16
	v_ashrrev_i32_e32 v4, 31, v4
	v_and_b32_e32 v2, exec_hi, v2
	v_xor_b32_e32 v16, vcc_hi, v4
	v_and_b32_e32 v3, exec_lo, v3
	v_xor_b32_e32 v4, vcc_lo, v4
	v_and_b32_e32 v2, v2, v16
	v_lshlrev_b32_e32 v16, 29, v1
	v_and_b32_e32 v3, v3, v4
	v_cmp_gt_i64_e32 vcc, 0, v[15:16]
	v_not_b32_e32 v4, v16
	v_ashrrev_i32_e32 v4, 31, v4
	v_xor_b32_e32 v16, vcc_hi, v4
	v_xor_b32_e32 v4, vcc_lo, v4
	v_and_b32_e32 v2, v2, v16
	v_lshlrev_b32_e32 v16, 28, v1
	v_and_b32_e32 v3, v3, v4
	v_cmp_gt_i64_e32 vcc, 0, v[15:16]
	v_not_b32_e32 v4, v16
	v_ashrrev_i32_e32 v4, 31, v4
	v_xor_b32_e32 v16, vcc_hi, v4
	;; [unrolled: 8-line block ×5, first 2 shown]
	v_and_b32_e32 v2, v2, v16
	v_lshlrev_b32_e32 v16, 24, v1
	v_xor_b32_e32 v4, vcc_lo, v4
	v_cmp_gt_i64_e32 vcc, 0, v[15:16]
	v_not_b32_e32 v1, v16
	v_ashrrev_i32_e32 v1, 31, v1
	v_and_b32_e32 v3, v3, v4
	v_xor_b32_e32 v4, vcc_hi, v1
	v_xor_b32_e32 v1, vcc_lo, v1
	; wave barrier
	ds_read_b32 v46, v47 offset:16
	v_and_b32_e32 v1, v3, v1
	v_and_b32_e32 v2, v2, v4
	v_mbcnt_lo_u32_b32 v3, v1, 0
	v_mbcnt_hi_u32_b32 v48, v2, v3
	v_cmp_ne_u64_e32 vcc, 0, v[1:2]
	v_cmp_eq_u32_e64 s[26:27], 0, v48
	s_and_b64 s[28:29], vcc, s[26:27]
	; wave barrier
	s_and_saveexec_b64 s[26:27], s[28:29]
	s_cbranch_execz .LBB222_18
; %bb.17:                               ;   in Loop: Header=BB222_4 Depth=2
	v_bcnt_u32_b32 v1, v1, 0
	v_bcnt_u32_b32 v1, v2, v1
	s_waitcnt lgkmcnt(0)
	v_add_u32_e32 v1, v46, v1
	ds_write_b32 v47, v1 offset:16
.LBB222_18:                             ;   in Loop: Header=BB222_4 Depth=2
	s_or_b64 exec, exec, s[26:27]
	v_lshrrev_b32_e32 v1, v28, v9
	v_lshlrev_b32_sdwa v2, v25, v1 dst_sel:DWORD dst_unused:UNUSED_PAD src0_sel:DWORD src1_sel:BYTE_0
	v_add_u32_e32 v50, v24, v2
	v_and_b32_e32 v2, 1, v1
	v_add_co_u32_e32 v3, vcc, -1, v2
	v_addc_co_u32_e64 v4, s[26:27], 0, -1, vcc
	v_cmp_ne_u32_e32 vcc, 0, v2
	v_lshlrev_b32_e32 v16, 30, v1
	v_xor_b32_e32 v2, vcc_hi, v4
	v_xor_b32_e32 v3, vcc_lo, v3
	v_cmp_gt_i64_e32 vcc, 0, v[15:16]
	v_not_b32_e32 v4, v16
	v_ashrrev_i32_e32 v4, 31, v4
	v_and_b32_e32 v2, exec_hi, v2
	v_xor_b32_e32 v16, vcc_hi, v4
	v_and_b32_e32 v3, exec_lo, v3
	v_xor_b32_e32 v4, vcc_lo, v4
	v_and_b32_e32 v2, v2, v16
	v_lshlrev_b32_e32 v16, 29, v1
	v_and_b32_e32 v3, v3, v4
	v_cmp_gt_i64_e32 vcc, 0, v[15:16]
	v_not_b32_e32 v4, v16
	v_ashrrev_i32_e32 v4, 31, v4
	v_xor_b32_e32 v16, vcc_hi, v4
	v_xor_b32_e32 v4, vcc_lo, v4
	v_and_b32_e32 v2, v2, v16
	v_lshlrev_b32_e32 v16, 28, v1
	v_and_b32_e32 v3, v3, v4
	v_cmp_gt_i64_e32 vcc, 0, v[15:16]
	v_not_b32_e32 v4, v16
	v_ashrrev_i32_e32 v4, 31, v4
	v_xor_b32_e32 v16, vcc_hi, v4
	;; [unrolled: 8-line block ×5, first 2 shown]
	v_and_b32_e32 v2, v2, v16
	v_lshlrev_b32_e32 v16, 24, v1
	v_xor_b32_e32 v4, vcc_lo, v4
	v_cmp_gt_i64_e32 vcc, 0, v[15:16]
	v_not_b32_e32 v1, v16
	v_ashrrev_i32_e32 v1, 31, v1
	v_and_b32_e32 v3, v3, v4
	v_xor_b32_e32 v4, vcc_hi, v1
	v_xor_b32_e32 v1, vcc_lo, v1
	; wave barrier
	ds_read_b32 v49, v50 offset:16
	v_and_b32_e32 v1, v3, v1
	v_and_b32_e32 v2, v2, v4
	v_mbcnt_lo_u32_b32 v3, v1, 0
	v_mbcnt_hi_u32_b32 v16, v2, v3
	v_cmp_ne_u64_e32 vcc, 0, v[1:2]
	v_cmp_eq_u32_e64 s[26:27], 0, v16
	s_and_b64 s[28:29], vcc, s[26:27]
	; wave barrier
	s_and_saveexec_b64 s[26:27], s[28:29]
	s_cbranch_execz .LBB222_20
; %bb.19:                               ;   in Loop: Header=BB222_4 Depth=2
	v_bcnt_u32_b32 v1, v1, 0
	v_bcnt_u32_b32 v1, v2, v1
	s_waitcnt lgkmcnt(0)
	v_add_u32_e32 v1, v49, v1
	ds_write_b32 v50, v1 offset:16
.LBB222_20:                             ;   in Loop: Header=BB222_4 Depth=2
	s_or_b64 exec, exec, s[26:27]
	; wave barrier
	s_waitcnt lgkmcnt(0)
	s_barrier
	ds_read2_b64 v[1:4], v19 offset0:2 offset1:3
	s_waitcnt lgkmcnt(0)
	v_add_u32_e32 v51, v2, v1
	v_add3_u32 v4, v51, v3, v4
	s_nop 1
	v_mov_b32_dpp v51, v4 row_shr:1 row_mask:0xf bank_mask:0xf
	v_cndmask_b32_e64 v51, v51, 0, s[0:1]
	v_add_u32_e32 v4, v51, v4
	s_nop 1
	v_mov_b32_dpp v51, v4 row_shr:2 row_mask:0xf bank_mask:0xf
	v_cndmask_b32_e64 v51, 0, v51, s[2:3]
	v_add_u32_e32 v4, v4, v51
	;; [unrolled: 4-line block ×4, first 2 shown]
	s_nop 1
	v_mov_b32_dpp v51, v4 row_bcast:15 row_mask:0xf bank_mask:0xf
	v_cndmask_b32_e64 v51, v51, 0, s[8:9]
	v_add_u32_e32 v4, v4, v51
	s_nop 1
	v_mov_b32_dpp v51, v4 row_bcast:31 row_mask:0xf bank_mask:0xf
	v_cndmask_b32_e64 v51, 0, v51, s[10:11]
	v_add_u32_e32 v4, v4, v51
	s_and_saveexec_b64 s[26:27], s[12:13]
; %bb.21:                               ;   in Loop: Header=BB222_4 Depth=2
	ds_write_b32 v21, v4
; %bb.22:                               ;   in Loop: Header=BB222_4 Depth=2
	s_or_b64 exec, exec, s[26:27]
	s_waitcnt lgkmcnt(0)
	s_barrier
	s_and_saveexec_b64 s[26:27], s[14:15]
	s_cbranch_execz .LBB222_24
; %bb.23:                               ;   in Loop: Header=BB222_4 Depth=2
	v_add_u32_e32 v51, v19, v22
	ds_read_b32 v52, v51
	s_waitcnt lgkmcnt(0)
	s_nop 0
	v_mov_b32_dpp v53, v52 row_shr:1 row_mask:0xf bank_mask:0xf
	v_cndmask_b32_e64 v53, v53, 0, s[22:23]
	v_add_u32_e32 v52, v53, v52
	s_nop 1
	v_mov_b32_dpp v53, v52 row_shr:2 row_mask:0xf bank_mask:0xf
	v_cndmask_b32_e64 v53, 0, v53, s[24:25]
	v_add_u32_e32 v52, v52, v53
	ds_write_b32 v51, v52
.LBB222_24:                             ;   in Loop: Header=BB222_4 Depth=2
	s_or_b64 exec, exec, s[26:27]
	v_mov_b32_e32 v51, 0
	s_waitcnt lgkmcnt(0)
	s_barrier
	s_and_saveexec_b64 s[26:27], s[16:17]
; %bb.25:                               ;   in Loop: Header=BB222_4 Depth=2
	ds_read_b32 v51, v23
; %bb.26:                               ;   in Loop: Header=BB222_4 Depth=2
	s_or_b64 exec, exec, s[26:27]
	s_waitcnt lgkmcnt(0)
	v_add_u32_e32 v4, v51, v4
	ds_bpermute_b32 v4, v20, v4
	v_cmp_lt_u32_e32 vcc, 23, v28
	s_and_b64 vcc, exec, vcc
	s_mov_b64 s[26:27], -1
	s_waitcnt lgkmcnt(0)
	v_cndmask_b32_e64 v4, v4, v51, s[18:19]
	v_cndmask_b32_e64 v51, v4, 0, s[20:21]
	v_add_u32_e32 v52, v51, v1
	v_add_u32_e32 v1, v52, v2
	;; [unrolled: 1-line block ×3, first 2 shown]
	ds_write2_b64 v19, v[51:52], v[1:2] offset0:2 offset1:3
	s_waitcnt lgkmcnt(0)
	s_barrier
	ds_read_b32 v1, v6 offset:16
	ds_read_b32 v2, v8 offset:16
	;; [unrolled: 1-line block ×8, first 2 shown]
	s_waitcnt lgkmcnt(7)
	v_add_u32_e32 v44, v1, v5
	s_waitcnt lgkmcnt(6)
	v_add3_u32 v41, v33, v7, v2
	s_waitcnt lgkmcnt(5)
	v_add3_u32 v38, v36, v34, v3
	;; [unrolled: 2-line block ×7, first 2 shown]
                                        ; implicit-def: $vgpr8
                                        ; implicit-def: $vgpr6
                                        ; implicit-def: $vgpr4
                                        ; implicit-def: $vgpr2
	s_cbranch_vccnz .LBB222_3
; %bb.27:                               ;   in Loop: Header=BB222_4 Depth=2
	v_lshlrev_b32_e32 v1, 2, v44
	s_barrier
	ds_write_b32 v1, v32
	v_lshlrev_b32_e32 v1, 2, v41
	ds_write_b32 v1, v31
	v_lshlrev_b32_e32 v1, 2, v38
	;; [unrolled: 2-line block ×7, first 2 shown]
	ds_write_b32 v1, v9
	s_waitcnt lgkmcnt(0)
	s_barrier
	ds_read2st64_b32 v[1:2], v18 offset1:1
	ds_read2st64_b32 v[3:4], v18 offset0:2 offset1:3
	ds_read2st64_b32 v[5:6], v18 offset0:4 offset1:5
	;; [unrolled: 1-line block ×3, first 2 shown]
	v_add_u32_e32 v28, 8, v28
	s_mov_b64 s[26:27], 0
	s_waitcnt lgkmcnt(0)
	s_barrier
	s_branch .LBB222_3
.LBB222_28:
	s_add_u32 s0, s30, s36
	s_addc_u32 s1, s31, s37
	v_lshlrev_b32_e32 v0, 2, v0
	v_mov_b32_e32 v1, s1
	v_add_co_u32_e32 v2, vcc, s0, v0
	v_addc_co_u32_e32 v1, vcc, 0, v1, vcc
	global_store_dword v0, v7, s[0:1]
	global_store_dword v0, v8, s[0:1] offset:1024
	global_store_dword v0, v9, s[0:1] offset:2048
	;; [unrolled: 1-line block ×3, first 2 shown]
	v_add_co_u32_e32 v0, vcc, 0x1000, v2
	v_addc_co_u32_e32 v1, vcc, 0, v1, vcc
	global_store_dword v[0:1], v3, off
	global_store_dword v[0:1], v4, off offset:1024
	global_store_dword v[0:1], v5, off offset:2048
	;; [unrolled: 1-line block ×3, first 2 shown]
	s_endpgm
	.section	.rodata,"a",@progbits
	.p2align	6, 0x0
	.amdhsa_kernel _Z16sort_keys_kernelI22helper_blocked_stripediLj256ELj8ELj10EEvPKT0_PS1_
		.amdhsa_group_segment_fixed_size 8192
		.amdhsa_private_segment_fixed_size 0
		.amdhsa_kernarg_size 272
		.amdhsa_user_sgpr_count 6
		.amdhsa_user_sgpr_private_segment_buffer 1
		.amdhsa_user_sgpr_dispatch_ptr 0
		.amdhsa_user_sgpr_queue_ptr 0
		.amdhsa_user_sgpr_kernarg_segment_ptr 1
		.amdhsa_user_sgpr_dispatch_id 0
		.amdhsa_user_sgpr_flat_scratch_init 0
		.amdhsa_user_sgpr_private_segment_size 0
		.amdhsa_uses_dynamic_stack 0
		.amdhsa_system_sgpr_private_segment_wavefront_offset 0
		.amdhsa_system_sgpr_workgroup_id_x 1
		.amdhsa_system_sgpr_workgroup_id_y 0
		.amdhsa_system_sgpr_workgroup_id_z 0
		.amdhsa_system_sgpr_workgroup_info 0
		.amdhsa_system_vgpr_workitem_id 2
		.amdhsa_next_free_vgpr 54
		.amdhsa_next_free_sgpr 61
		.amdhsa_reserve_vcc 1
		.amdhsa_reserve_flat_scratch 0
		.amdhsa_float_round_mode_32 0
		.amdhsa_float_round_mode_16_64 0
		.amdhsa_float_denorm_mode_32 3
		.amdhsa_float_denorm_mode_16_64 3
		.amdhsa_dx10_clamp 1
		.amdhsa_ieee_mode 1
		.amdhsa_fp16_overflow 0
		.amdhsa_exception_fp_ieee_invalid_op 0
		.amdhsa_exception_fp_denorm_src 0
		.amdhsa_exception_fp_ieee_div_zero 0
		.amdhsa_exception_fp_ieee_overflow 0
		.amdhsa_exception_fp_ieee_underflow 0
		.amdhsa_exception_fp_ieee_inexact 0
		.amdhsa_exception_int_div_zero 0
	.end_amdhsa_kernel
	.section	.text._Z16sort_keys_kernelI22helper_blocked_stripediLj256ELj8ELj10EEvPKT0_PS1_,"axG",@progbits,_Z16sort_keys_kernelI22helper_blocked_stripediLj256ELj8ELj10EEvPKT0_PS1_,comdat
.Lfunc_end222:
	.size	_Z16sort_keys_kernelI22helper_blocked_stripediLj256ELj8ELj10EEvPKT0_PS1_, .Lfunc_end222-_Z16sort_keys_kernelI22helper_blocked_stripediLj256ELj8ELj10EEvPKT0_PS1_
                                        ; -- End function
	.set _Z16sort_keys_kernelI22helper_blocked_stripediLj256ELj8ELj10EEvPKT0_PS1_.num_vgpr, 54
	.set _Z16sort_keys_kernelI22helper_blocked_stripediLj256ELj8ELj10EEvPKT0_PS1_.num_agpr, 0
	.set _Z16sort_keys_kernelI22helper_blocked_stripediLj256ELj8ELj10EEvPKT0_PS1_.numbered_sgpr, 38
	.set _Z16sort_keys_kernelI22helper_blocked_stripediLj256ELj8ELj10EEvPKT0_PS1_.num_named_barrier, 0
	.set _Z16sort_keys_kernelI22helper_blocked_stripediLj256ELj8ELj10EEvPKT0_PS1_.private_seg_size, 0
	.set _Z16sort_keys_kernelI22helper_blocked_stripediLj256ELj8ELj10EEvPKT0_PS1_.uses_vcc, 1
	.set _Z16sort_keys_kernelI22helper_blocked_stripediLj256ELj8ELj10EEvPKT0_PS1_.uses_flat_scratch, 0
	.set _Z16sort_keys_kernelI22helper_blocked_stripediLj256ELj8ELj10EEvPKT0_PS1_.has_dyn_sized_stack, 0
	.set _Z16sort_keys_kernelI22helper_blocked_stripediLj256ELj8ELj10EEvPKT0_PS1_.has_recursion, 0
	.set _Z16sort_keys_kernelI22helper_blocked_stripediLj256ELj8ELj10EEvPKT0_PS1_.has_indirect_call, 0
	.section	.AMDGPU.csdata,"",@progbits
; Kernel info:
; codeLenInByte = 4448
; TotalNumSgprs: 42
; NumVgprs: 54
; ScratchSize: 0
; MemoryBound: 0
; FloatMode: 240
; IeeeMode: 1
; LDSByteSize: 8192 bytes/workgroup (compile time only)
; SGPRBlocks: 8
; VGPRBlocks: 13
; NumSGPRsForWavesPerEU: 65
; NumVGPRsForWavesPerEU: 54
; Occupancy: 4
; WaveLimiterHint : 1
; COMPUTE_PGM_RSRC2:SCRATCH_EN: 0
; COMPUTE_PGM_RSRC2:USER_SGPR: 6
; COMPUTE_PGM_RSRC2:TRAP_HANDLER: 0
; COMPUTE_PGM_RSRC2:TGID_X_EN: 1
; COMPUTE_PGM_RSRC2:TGID_Y_EN: 0
; COMPUTE_PGM_RSRC2:TGID_Z_EN: 0
; COMPUTE_PGM_RSRC2:TIDIG_COMP_CNT: 2
	.section	.text._Z17sort_pairs_kernelI22helper_blocked_stripediLj256ELj8ELj10EEvPKT0_PS1_,"axG",@progbits,_Z17sort_pairs_kernelI22helper_blocked_stripediLj256ELj8ELj10EEvPKT0_PS1_,comdat
	.protected	_Z17sort_pairs_kernelI22helper_blocked_stripediLj256ELj8ELj10EEvPKT0_PS1_ ; -- Begin function _Z17sort_pairs_kernelI22helper_blocked_stripediLj256ELj8ELj10EEvPKT0_PS1_
	.globl	_Z17sort_pairs_kernelI22helper_blocked_stripediLj256ELj8ELj10EEvPKT0_PS1_
	.p2align	8
	.type	_Z17sort_pairs_kernelI22helper_blocked_stripediLj256ELj8ELj10EEvPKT0_PS1_,@function
_Z17sort_pairs_kernelI22helper_blocked_stripediLj256ELj8ELj10EEvPKT0_PS1_: ; @_Z17sort_pairs_kernelI22helper_blocked_stripediLj256ELj8ELj10EEvPKT0_PS1_
; %bb.0:
	s_load_dwordx4 s[28:31], s[4:5], 0x0
	s_load_dword s26, s[4:5], 0x1c
	s_lshl_b32 s36, s6, 11
	s_mov_b32 s37, 0
	s_lshl_b64 s[34:35], s[36:37], 2
	s_waitcnt lgkmcnt(0)
	s_add_u32 s0, s28, s34
	s_addc_u32 s1, s29, s35
	v_lshlrev_b32_e32 v11, 5, v0
	global_load_dwordx4 v[7:10], v11, s[0:1]
	global_load_dwordx4 v[3:6], v11, s[0:1] offset:16
	s_lshr_b32 s27, s26, 16
	s_and_b32 s26, s26, 0xffff
	v_mad_u32_u24 v1, v2, s27, v1
	v_mbcnt_lo_u32_b32 v12, -1, 0
	v_mad_u64_u32 v[1:2], s[26:27], v1, s26, v[0:1]
	v_mbcnt_hi_u32_b32 v13, -1, v12
	v_lshrrev_b32_e32 v14, 4, v0
	v_subrev_co_u32_e64 v19, s[8:9], 1, v13
	v_and_b32_e32 v20, 64, v13
	v_and_b32_e32 v12, 0xc0, v0
	s_mov_b32 s11, s37
	v_and_b32_e32 v15, 0x1800, v11
	v_and_b32_e32 v29, 12, v14
	;; [unrolled: 1-line block ×3, first 2 shown]
	s_mov_b32 s36, s37
	v_cmp_lt_i32_e32 vcc, v19, v20
	s_mov_b32 s10, s37
	v_add_lshl_u32 v28, v13, v12, 5
	v_and_b32_e32 v16, 15, v13
	v_and_b32_e32 v17, 16, v13
	v_cmp_lt_u32_e64 s[6:7], 31, v13
	v_or_b32_e32 v18, 63, v12
	v_mov_b32_e32 v12, s11
	v_lshl_or_b32 v30, v13, 2, v15
	v_cndmask_b32_e32 v15, v19, v13, vcc
	v_cmp_eq_u32_e64 s[22:23], 0, v14
	v_cmp_lt_u32_e64 s[24:25], 1, v14
	v_mov_b32_e32 v13, s36
	v_lshrrev_b32_e32 v1, 4, v1
	v_mov_b32_e32 v25, 4
	v_lshlrev_b32_e32 v26, 4, v0
	v_cmp_gt_u32_e64 s[0:1], 4, v0
	v_cmp_lt_u32_e64 s[2:3], 63, v0
	v_cmp_eq_u32_e64 s[4:5], 0, v0
	v_mul_i32_i24_e32 v27, -12, v0
	v_mov_b32_e32 v11, s10
	v_cmp_eq_u32_e64 s[10:11], 0, v16
	v_cmp_lt_u32_e64 s[12:13], 1, v16
	v_cmp_lt_u32_e64 s[14:15], 3, v16
	;; [unrolled: 1-line block ×3, first 2 shown]
	v_cmp_eq_u32_e64 s[18:19], 0, v17
	v_cmp_eq_u32_e64 s[20:21], v0, v18
	v_add_u32_e32 v31, -4, v29
	v_mov_b32_e32 v14, s37
	v_lshlrev_b32_e32 v32, 2, v15
	v_and_b32_e32 v33, 0xffffffc, v1
	v_mov_b32_e32 v15, 0
	s_waitcnt vmcnt(1)
	v_add_u32_e32 v18, 1, v7
	v_add_u32_e32 v19, 1, v8
	;; [unrolled: 1-line block ×4, first 2 shown]
	s_waitcnt vmcnt(0)
	v_add_u32_e32 v16, 1, v3
	v_add_u32_e32 v17, 1, v4
	;; [unrolled: 1-line block ×4, first 2 shown]
	s_branch .LBB223_2
.LBB223_1:                              ;   in Loop: Header=BB223_2 Depth=1
	v_lshlrev_b32_e32 v7, 2, v60
	v_lshlrev_b32_e32 v8, 2, v59
	;; [unrolled: 1-line block ×8, first 2 shown]
	v_add_u32_e32 v20, v26, v27
	s_barrier
	ds_write_b32 v7, v35
	ds_write_b32 v8, v50
	ds_write_b32 v9, v49
	ds_write_b32 v10, v48
	ds_write_b32 v17, v47
	ds_write_b32 v18, v46
	ds_write_b32 v19, v45
	ds_write_b32 v16, v43
	s_waitcnt lgkmcnt(0)
	s_barrier
	ds_read2st64_b32 v[1:2], v20 offset1:4
	ds_read2st64_b32 v[3:4], v20 offset0:8 offset1:12
	ds_read2st64_b32 v[5:6], v20 offset0:16 offset1:20
	;; [unrolled: 1-line block ×3, first 2 shown]
	s_waitcnt lgkmcnt(0)
	s_barrier
	ds_write_b32 v7, v44
	ds_write_b32 v8, v42
	;; [unrolled: 1-line block ×8, first 2 shown]
	s_waitcnt lgkmcnt(0)
	s_barrier
	ds_read2st64_b32 v[18:19], v20 offset1:4
	ds_read2st64_b32 v[22:23], v20 offset0:8 offset1:12
	ds_read2st64_b32 v[16:17], v20 offset0:16 offset1:20
	;; [unrolled: 1-line block ×3, first 2 shown]
	s_add_i32 s37, s37, 1
	v_xor_b32_e32 v7, 0x80000000, v1
	v_xor_b32_e32 v8, 0x80000000, v2
	;; [unrolled: 1-line block ×7, first 2 shown]
	s_cmp_eq_u32 s37, 10
	v_xor_b32_e32 v6, 0x80000000, v35
	s_cbranch_scc1 .LBB223_28
.LBB223_2:                              ; =>This Loop Header: Depth=1
                                        ;     Child Loop BB223_4 Depth 2
	v_xor_b32_e32 v1, 0x80000000, v7
	v_xor_b32_e32 v2, 0x80000000, v8
	;; [unrolled: 1-line block ×8, first 2 shown]
	ds_write2_b64 v28, v[1:2], v[7:8] offset1:1
	ds_write2_b64 v28, v[3:4], v[5:6] offset0:2 offset1:3
	; wave barrier
	ds_read2st64_b32 v[1:2], v30 offset1:1
	ds_read2st64_b32 v[3:4], v30 offset0:2 offset1:3
	ds_read2st64_b32 v[5:6], v30 offset0:4 offset1:5
	;; [unrolled: 1-line block ×3, first 2 shown]
	; wave barrier
	s_waitcnt lgkmcnt(8)
	ds_write2_b64 v28, v[18:19], v[22:23] offset1:1
	s_waitcnt lgkmcnt(7)
	ds_write2_b64 v28, v[16:17], v[20:21] offset0:2 offset1:3
	; wave barrier
	ds_read2st64_b32 v[9:10], v30 offset1:1
	ds_read2st64_b32 v[17:18], v30 offset0:2 offset1:3
	ds_read2st64_b32 v[19:20], v30 offset0:4 offset1:5
	;; [unrolled: 1-line block ×3, first 2 shown]
	v_mov_b32_e32 v34, v15
	s_waitcnt lgkmcnt(0)
	s_barrier
	s_branch .LBB223_4
.LBB223_3:                              ;   in Loop: Header=BB223_4 Depth=2
	s_andn2_b64 vcc, exec, s[26:27]
	s_cbranch_vccz .LBB223_1
.LBB223_4:                              ;   Parent Loop BB223_2 Depth=1
                                        ; =>  This Inner Loop Header: Depth=2
	v_mov_b32_e32 v35, v1
	v_lshrrev_b32_e32 v1, v34, v35
	v_and_b32_e32 v16, 1, v1
	v_add_co_u32_e64 v23, s[26:27], -1, v16
	v_cmp_ne_u32_e32 vcc, 0, v16
	v_addc_co_u32_e64 v16, s[26:27], 0, -1, s[26:27]
	v_xor_b32_e32 v16, vcc_hi, v16
	v_and_b32_e32 v24, exec_hi, v16
	v_lshlrev_b32_e32 v16, 30, v1
	v_cmp_gt_i64_e64 s[26:27], 0, v[15:16]
	v_not_b32_e32 v16, v16
	v_ashrrev_i32_e32 v16, 31, v16
	v_xor_b32_e32 v23, vcc_lo, v23
	v_xor_b32_e32 v36, s27, v16
	v_and_b32_e32 v23, exec_lo, v23
	v_xor_b32_e32 v16, s26, v16
	v_and_b32_e32 v23, v23, v16
	v_lshlrev_b32_e32 v16, 29, v1
	v_cmp_gt_i64_e32 vcc, 0, v[15:16]
	v_not_b32_e32 v16, v16
	v_ashrrev_i32_e32 v16, 31, v16
	v_and_b32_e32 v24, v24, v36
	v_xor_b32_e32 v36, vcc_hi, v16
	v_xor_b32_e32 v16, vcc_lo, v16
	v_and_b32_e32 v23, v23, v16
	v_lshlrev_b32_e32 v16, 28, v1
	v_cmp_gt_i64_e32 vcc, 0, v[15:16]
	v_not_b32_e32 v16, v16
	v_ashrrev_i32_e32 v16, 31, v16
	v_and_b32_e32 v24, v24, v36
	v_xor_b32_e32 v36, vcc_hi, v16
	v_xor_b32_e32 v16, vcc_lo, v16
	v_and_b32_e32 v23, v23, v16
	v_lshlrev_b32_e32 v16, 27, v1
	v_cmp_gt_i64_e32 vcc, 0, v[15:16]
	v_not_b32_e32 v16, v16
	v_ashrrev_i32_e32 v16, 31, v16
	v_and_b32_e32 v24, v24, v36
	v_xor_b32_e32 v36, vcc_hi, v16
	v_xor_b32_e32 v16, vcc_lo, v16
	v_and_b32_e32 v23, v23, v16
	v_lshlrev_b32_e32 v16, 26, v1
	v_cmp_gt_i64_e32 vcc, 0, v[15:16]
	v_not_b32_e32 v16, v16
	v_ashrrev_i32_e32 v16, 31, v16
	v_and_b32_e32 v24, v24, v36
	v_xor_b32_e32 v36, vcc_hi, v16
	v_xor_b32_e32 v16, vcc_lo, v16
	v_and_b32_e32 v23, v23, v16
	v_lshlrev_b32_e32 v16, 25, v1
	v_cmp_gt_i64_e32 vcc, 0, v[15:16]
	v_not_b32_e32 v16, v16
	v_ashrrev_i32_e32 v16, 31, v16
	v_and_b32_e32 v24, v24, v36
	v_xor_b32_e32 v36, vcc_hi, v16
	v_xor_b32_e32 v16, vcc_lo, v16
	v_and_b32_e32 v23, v23, v16
	v_lshlrev_b32_e32 v16, 24, v1
	v_cmp_gt_i64_e32 vcc, 0, v[15:16]
	v_not_b32_e32 v16, v16
	v_ashrrev_i32_e32 v16, 31, v16
	v_and_b32_e32 v24, v24, v36
	v_xor_b32_e32 v36, vcc_hi, v16
	v_xor_b32_e32 v16, vcc_lo, v16
	v_and_b32_e32 v23, v23, v16
	v_and_b32_e32 v24, v24, v36
	v_mov_b32_e32 v50, v2
	v_mbcnt_lo_u32_b32 v2, v23, 0
	v_mov_b32_e32 v47, v5
	v_mbcnt_hi_u32_b32 v5, v24, v2
	v_cmp_ne_u64_e32 vcc, 0, v[23:24]
	v_lshlrev_b32_sdwa v1, v25, v1 dst_sel:DWORD dst_unused:UNUSED_PAD src0_sel:DWORD src1_sel:BYTE_0
	v_cmp_eq_u32_e64 s[26:27], 0, v5
	v_mov_b32_e32 v43, v8
	v_mov_b32_e32 v45, v7
	;; [unrolled: 1-line block ×13, first 2 shown]
	s_and_b64 s[28:29], vcc, s[26:27]
	v_add_u32_e32 v6, v33, v1
	ds_write2_b64 v26, v[13:14], v[11:12] offset0:2 offset1:3
	s_waitcnt lgkmcnt(0)
	s_barrier
	; wave barrier
	s_and_saveexec_b64 s[26:27], s[28:29]
; %bb.5:                                ;   in Loop: Header=BB223_4 Depth=2
	v_bcnt_u32_b32 v1, v23, 0
	v_bcnt_u32_b32 v1, v24, v1
	ds_write_b32 v6, v1 offset:16
; %bb.6:                                ;   in Loop: Header=BB223_4 Depth=2
	s_or_b64 exec, exec, s[26:27]
	v_lshrrev_b32_e32 v1, v34, v50
	v_lshlrev_b32_sdwa v2, v25, v1 dst_sel:DWORD dst_unused:UNUSED_PAD src0_sel:DWORD src1_sel:BYTE_0
	v_add_u32_e32 v8, v33, v2
	v_and_b32_e32 v2, 1, v1
	v_add_co_u32_e32 v3, vcc, -1, v2
	v_addc_co_u32_e64 v4, s[26:27], 0, -1, vcc
	v_cmp_ne_u32_e32 vcc, 0, v2
	v_lshlrev_b32_e32 v16, 30, v1
	v_xor_b32_e32 v2, vcc_hi, v4
	v_xor_b32_e32 v3, vcc_lo, v3
	v_cmp_gt_i64_e32 vcc, 0, v[15:16]
	v_not_b32_e32 v4, v16
	v_ashrrev_i32_e32 v4, 31, v4
	v_and_b32_e32 v3, exec_lo, v3
	v_xor_b32_e32 v9, vcc_hi, v4
	v_xor_b32_e32 v4, vcc_lo, v4
	v_lshlrev_b32_e32 v16, 29, v1
	v_and_b32_e32 v3, v3, v4
	v_cmp_gt_i64_e32 vcc, 0, v[15:16]
	v_not_b32_e32 v4, v16
	v_and_b32_e32 v2, exec_hi, v2
	v_ashrrev_i32_e32 v4, 31, v4
	v_and_b32_e32 v2, v2, v9
	v_xor_b32_e32 v9, vcc_hi, v4
	v_xor_b32_e32 v4, vcc_lo, v4
	v_lshlrev_b32_e32 v16, 28, v1
	v_and_b32_e32 v3, v3, v4
	v_cmp_gt_i64_e32 vcc, 0, v[15:16]
	v_not_b32_e32 v4, v16
	v_ashrrev_i32_e32 v4, 31, v4
	v_and_b32_e32 v2, v2, v9
	v_xor_b32_e32 v9, vcc_hi, v4
	v_xor_b32_e32 v4, vcc_lo, v4
	v_lshlrev_b32_e32 v16, 27, v1
	v_and_b32_e32 v3, v3, v4
	v_cmp_gt_i64_e32 vcc, 0, v[15:16]
	v_not_b32_e32 v4, v16
	;; [unrolled: 8-line block ×4, first 2 shown]
	v_ashrrev_i32_e32 v4, 31, v4
	v_lshlrev_b32_e32 v16, 24, v1
	v_and_b32_e32 v2, v2, v9
	v_xor_b32_e32 v9, vcc_hi, v4
	v_xor_b32_e32 v4, vcc_lo, v4
	v_cmp_gt_i64_e32 vcc, 0, v[15:16]
	v_not_b32_e32 v1, v16
	v_ashrrev_i32_e32 v1, 31, v1
	v_and_b32_e32 v3, v3, v4
	v_xor_b32_e32 v4, vcc_hi, v1
	v_xor_b32_e32 v1, vcc_lo, v1
	; wave barrier
	ds_read_b32 v7, v8 offset:16
	v_and_b32_e32 v2, v2, v9
	v_and_b32_e32 v1, v3, v1
	;; [unrolled: 1-line block ×3, first 2 shown]
	v_mbcnt_lo_u32_b32 v3, v1, 0
	v_mbcnt_hi_u32_b32 v9, v2, v3
	v_cmp_ne_u64_e32 vcc, 0, v[1:2]
	v_cmp_eq_u32_e64 s[26:27], 0, v9
	s_and_b64 s[28:29], vcc, s[26:27]
	; wave barrier
	s_and_saveexec_b64 s[26:27], s[28:29]
	s_cbranch_execz .LBB223_8
; %bb.7:                                ;   in Loop: Header=BB223_4 Depth=2
	v_bcnt_u32_b32 v1, v1, 0
	v_bcnt_u32_b32 v1, v2, v1
	s_waitcnt lgkmcnt(0)
	v_add_u32_e32 v1, v7, v1
	ds_write_b32 v8, v1 offset:16
.LBB223_8:                              ;   in Loop: Header=BB223_4 Depth=2
	s_or_b64 exec, exec, s[26:27]
	v_lshrrev_b32_e32 v1, v34, v49
	v_lshlrev_b32_sdwa v2, v25, v1 dst_sel:DWORD dst_unused:UNUSED_PAD src0_sel:DWORD src1_sel:BYTE_0
	v_add_u32_e32 v17, v33, v2
	v_and_b32_e32 v2, 1, v1
	v_add_co_u32_e32 v3, vcc, -1, v2
	v_addc_co_u32_e64 v4, s[26:27], 0, -1, vcc
	v_cmp_ne_u32_e32 vcc, 0, v2
	v_lshlrev_b32_e32 v16, 30, v1
	v_xor_b32_e32 v2, vcc_hi, v4
	v_xor_b32_e32 v3, vcc_lo, v3
	v_cmp_gt_i64_e32 vcc, 0, v[15:16]
	v_not_b32_e32 v4, v16
	v_ashrrev_i32_e32 v4, 31, v4
	v_and_b32_e32 v2, exec_hi, v2
	v_xor_b32_e32 v16, vcc_hi, v4
	v_and_b32_e32 v3, exec_lo, v3
	v_xor_b32_e32 v4, vcc_lo, v4
	v_and_b32_e32 v2, v2, v16
	v_lshlrev_b32_e32 v16, 29, v1
	v_and_b32_e32 v3, v3, v4
	v_cmp_gt_i64_e32 vcc, 0, v[15:16]
	v_not_b32_e32 v4, v16
	v_ashrrev_i32_e32 v4, 31, v4
	v_xor_b32_e32 v16, vcc_hi, v4
	v_xor_b32_e32 v4, vcc_lo, v4
	v_and_b32_e32 v2, v2, v16
	v_lshlrev_b32_e32 v16, 28, v1
	v_and_b32_e32 v3, v3, v4
	v_cmp_gt_i64_e32 vcc, 0, v[15:16]
	v_not_b32_e32 v4, v16
	v_ashrrev_i32_e32 v4, 31, v4
	v_xor_b32_e32 v16, vcc_hi, v4
	;; [unrolled: 8-line block ×5, first 2 shown]
	v_and_b32_e32 v2, v2, v16
	v_lshlrev_b32_e32 v16, 24, v1
	v_xor_b32_e32 v4, vcc_lo, v4
	v_cmp_gt_i64_e32 vcc, 0, v[15:16]
	v_not_b32_e32 v1, v16
	v_ashrrev_i32_e32 v1, 31, v1
	v_and_b32_e32 v3, v3, v4
	v_xor_b32_e32 v4, vcc_hi, v1
	v_xor_b32_e32 v1, vcc_lo, v1
	; wave barrier
	ds_read_b32 v10, v17 offset:16
	v_and_b32_e32 v1, v3, v1
	v_and_b32_e32 v2, v2, v4
	v_mbcnt_lo_u32_b32 v3, v1, 0
	v_mbcnt_hi_u32_b32 v18, v2, v3
	v_cmp_ne_u64_e32 vcc, 0, v[1:2]
	v_cmp_eq_u32_e64 s[26:27], 0, v18
	s_and_b64 s[28:29], vcc, s[26:27]
	; wave barrier
	s_and_saveexec_b64 s[26:27], s[28:29]
	s_cbranch_execz .LBB223_10
; %bb.9:                                ;   in Loop: Header=BB223_4 Depth=2
	v_bcnt_u32_b32 v1, v1, 0
	v_bcnt_u32_b32 v1, v2, v1
	s_waitcnt lgkmcnt(0)
	v_add_u32_e32 v1, v10, v1
	ds_write_b32 v17, v1 offset:16
.LBB223_10:                             ;   in Loop: Header=BB223_4 Depth=2
	s_or_b64 exec, exec, s[26:27]
	v_lshrrev_b32_e32 v1, v34, v48
	v_lshlrev_b32_sdwa v2, v25, v1 dst_sel:DWORD dst_unused:UNUSED_PAD src0_sel:DWORD src1_sel:BYTE_0
	v_add_u32_e32 v20, v33, v2
	v_and_b32_e32 v2, 1, v1
	v_add_co_u32_e32 v3, vcc, -1, v2
	v_addc_co_u32_e64 v4, s[26:27], 0, -1, vcc
	v_cmp_ne_u32_e32 vcc, 0, v2
	v_lshlrev_b32_e32 v16, 30, v1
	v_xor_b32_e32 v2, vcc_hi, v4
	v_xor_b32_e32 v3, vcc_lo, v3
	v_cmp_gt_i64_e32 vcc, 0, v[15:16]
	v_not_b32_e32 v4, v16
	v_ashrrev_i32_e32 v4, 31, v4
	v_and_b32_e32 v2, exec_hi, v2
	v_xor_b32_e32 v16, vcc_hi, v4
	v_and_b32_e32 v3, exec_lo, v3
	v_xor_b32_e32 v4, vcc_lo, v4
	v_and_b32_e32 v2, v2, v16
	v_lshlrev_b32_e32 v16, 29, v1
	v_and_b32_e32 v3, v3, v4
	v_cmp_gt_i64_e32 vcc, 0, v[15:16]
	v_not_b32_e32 v4, v16
	v_ashrrev_i32_e32 v4, 31, v4
	v_xor_b32_e32 v16, vcc_hi, v4
	v_xor_b32_e32 v4, vcc_lo, v4
	v_and_b32_e32 v2, v2, v16
	v_lshlrev_b32_e32 v16, 28, v1
	v_and_b32_e32 v3, v3, v4
	v_cmp_gt_i64_e32 vcc, 0, v[15:16]
	v_not_b32_e32 v4, v16
	v_ashrrev_i32_e32 v4, 31, v4
	v_xor_b32_e32 v16, vcc_hi, v4
	;; [unrolled: 8-line block ×5, first 2 shown]
	v_and_b32_e32 v2, v2, v16
	v_lshlrev_b32_e32 v16, 24, v1
	v_xor_b32_e32 v4, vcc_lo, v4
	v_cmp_gt_i64_e32 vcc, 0, v[15:16]
	v_not_b32_e32 v1, v16
	v_ashrrev_i32_e32 v1, 31, v1
	v_and_b32_e32 v3, v3, v4
	v_xor_b32_e32 v4, vcc_hi, v1
	v_xor_b32_e32 v1, vcc_lo, v1
	; wave barrier
	ds_read_b32 v19, v20 offset:16
	v_and_b32_e32 v1, v3, v1
	v_and_b32_e32 v2, v2, v4
	v_mbcnt_lo_u32_b32 v3, v1, 0
	v_mbcnt_hi_u32_b32 v21, v2, v3
	v_cmp_ne_u64_e32 vcc, 0, v[1:2]
	v_cmp_eq_u32_e64 s[26:27], 0, v21
	s_and_b64 s[28:29], vcc, s[26:27]
	; wave barrier
	s_and_saveexec_b64 s[26:27], s[28:29]
	s_cbranch_execz .LBB223_12
; %bb.11:                               ;   in Loop: Header=BB223_4 Depth=2
	v_bcnt_u32_b32 v1, v1, 0
	v_bcnt_u32_b32 v1, v2, v1
	s_waitcnt lgkmcnt(0)
	v_add_u32_e32 v1, v19, v1
	ds_write_b32 v20, v1 offset:16
.LBB223_12:                             ;   in Loop: Header=BB223_4 Depth=2
	s_or_b64 exec, exec, s[26:27]
	v_lshrrev_b32_e32 v1, v34, v47
	v_lshlrev_b32_sdwa v2, v25, v1 dst_sel:DWORD dst_unused:UNUSED_PAD src0_sel:DWORD src1_sel:BYTE_0
	v_add_u32_e32 v23, v33, v2
	v_and_b32_e32 v2, 1, v1
	v_add_co_u32_e32 v3, vcc, -1, v2
	v_addc_co_u32_e64 v4, s[26:27], 0, -1, vcc
	v_cmp_ne_u32_e32 vcc, 0, v2
	v_lshlrev_b32_e32 v16, 30, v1
	v_xor_b32_e32 v2, vcc_hi, v4
	v_xor_b32_e32 v3, vcc_lo, v3
	v_cmp_gt_i64_e32 vcc, 0, v[15:16]
	v_not_b32_e32 v4, v16
	v_ashrrev_i32_e32 v4, 31, v4
	v_and_b32_e32 v2, exec_hi, v2
	v_xor_b32_e32 v16, vcc_hi, v4
	v_and_b32_e32 v3, exec_lo, v3
	v_xor_b32_e32 v4, vcc_lo, v4
	v_and_b32_e32 v2, v2, v16
	v_lshlrev_b32_e32 v16, 29, v1
	v_and_b32_e32 v3, v3, v4
	v_cmp_gt_i64_e32 vcc, 0, v[15:16]
	v_not_b32_e32 v4, v16
	v_ashrrev_i32_e32 v4, 31, v4
	v_xor_b32_e32 v16, vcc_hi, v4
	v_xor_b32_e32 v4, vcc_lo, v4
	v_and_b32_e32 v2, v2, v16
	v_lshlrev_b32_e32 v16, 28, v1
	v_and_b32_e32 v3, v3, v4
	v_cmp_gt_i64_e32 vcc, 0, v[15:16]
	v_not_b32_e32 v4, v16
	v_ashrrev_i32_e32 v4, 31, v4
	v_xor_b32_e32 v16, vcc_hi, v4
	;; [unrolled: 8-line block ×5, first 2 shown]
	v_and_b32_e32 v2, v2, v16
	v_lshlrev_b32_e32 v16, 24, v1
	v_xor_b32_e32 v4, vcc_lo, v4
	v_cmp_gt_i64_e32 vcc, 0, v[15:16]
	v_not_b32_e32 v1, v16
	v_ashrrev_i32_e32 v1, 31, v1
	v_and_b32_e32 v3, v3, v4
	v_xor_b32_e32 v4, vcc_hi, v1
	v_xor_b32_e32 v1, vcc_lo, v1
	; wave barrier
	ds_read_b32 v22, v23 offset:16
	v_and_b32_e32 v1, v3, v1
	v_and_b32_e32 v2, v2, v4
	v_mbcnt_lo_u32_b32 v3, v1, 0
	v_mbcnt_hi_u32_b32 v24, v2, v3
	v_cmp_ne_u64_e32 vcc, 0, v[1:2]
	v_cmp_eq_u32_e64 s[26:27], 0, v24
	s_and_b64 s[28:29], vcc, s[26:27]
	; wave barrier
	s_and_saveexec_b64 s[26:27], s[28:29]
	s_cbranch_execz .LBB223_14
; %bb.13:                               ;   in Loop: Header=BB223_4 Depth=2
	v_bcnt_u32_b32 v1, v1, 0
	v_bcnt_u32_b32 v1, v2, v1
	s_waitcnt lgkmcnt(0)
	v_add_u32_e32 v1, v22, v1
	ds_write_b32 v23, v1 offset:16
.LBB223_14:                             ;   in Loop: Header=BB223_4 Depth=2
	s_or_b64 exec, exec, s[26:27]
	v_lshrrev_b32_e32 v1, v34, v46
	v_lshlrev_b32_sdwa v2, v25, v1 dst_sel:DWORD dst_unused:UNUSED_PAD src0_sel:DWORD src1_sel:BYTE_0
	v_add_u32_e32 v52, v33, v2
	v_and_b32_e32 v2, 1, v1
	v_add_co_u32_e32 v3, vcc, -1, v2
	v_addc_co_u32_e64 v4, s[26:27], 0, -1, vcc
	v_cmp_ne_u32_e32 vcc, 0, v2
	v_lshlrev_b32_e32 v16, 30, v1
	v_xor_b32_e32 v2, vcc_hi, v4
	v_xor_b32_e32 v3, vcc_lo, v3
	v_cmp_gt_i64_e32 vcc, 0, v[15:16]
	v_not_b32_e32 v4, v16
	v_ashrrev_i32_e32 v4, 31, v4
	v_and_b32_e32 v2, exec_hi, v2
	v_xor_b32_e32 v16, vcc_hi, v4
	v_and_b32_e32 v3, exec_lo, v3
	v_xor_b32_e32 v4, vcc_lo, v4
	v_and_b32_e32 v2, v2, v16
	v_lshlrev_b32_e32 v16, 29, v1
	v_and_b32_e32 v3, v3, v4
	v_cmp_gt_i64_e32 vcc, 0, v[15:16]
	v_not_b32_e32 v4, v16
	v_ashrrev_i32_e32 v4, 31, v4
	v_xor_b32_e32 v16, vcc_hi, v4
	v_xor_b32_e32 v4, vcc_lo, v4
	v_and_b32_e32 v2, v2, v16
	v_lshlrev_b32_e32 v16, 28, v1
	v_and_b32_e32 v3, v3, v4
	v_cmp_gt_i64_e32 vcc, 0, v[15:16]
	v_not_b32_e32 v4, v16
	v_ashrrev_i32_e32 v4, 31, v4
	v_xor_b32_e32 v16, vcc_hi, v4
	;; [unrolled: 8-line block ×5, first 2 shown]
	v_and_b32_e32 v2, v2, v16
	v_lshlrev_b32_e32 v16, 24, v1
	v_xor_b32_e32 v4, vcc_lo, v4
	v_cmp_gt_i64_e32 vcc, 0, v[15:16]
	v_not_b32_e32 v1, v16
	v_ashrrev_i32_e32 v1, 31, v1
	v_and_b32_e32 v3, v3, v4
	v_xor_b32_e32 v4, vcc_hi, v1
	v_xor_b32_e32 v1, vcc_lo, v1
	; wave barrier
	ds_read_b32 v51, v52 offset:16
	v_and_b32_e32 v1, v3, v1
	v_and_b32_e32 v2, v2, v4
	v_mbcnt_lo_u32_b32 v3, v1, 0
	v_mbcnt_hi_u32_b32 v53, v2, v3
	v_cmp_ne_u64_e32 vcc, 0, v[1:2]
	v_cmp_eq_u32_e64 s[26:27], 0, v53
	s_and_b64 s[28:29], vcc, s[26:27]
	; wave barrier
	s_and_saveexec_b64 s[26:27], s[28:29]
	s_cbranch_execz .LBB223_16
; %bb.15:                               ;   in Loop: Header=BB223_4 Depth=2
	v_bcnt_u32_b32 v1, v1, 0
	v_bcnt_u32_b32 v1, v2, v1
	s_waitcnt lgkmcnt(0)
	v_add_u32_e32 v1, v51, v1
	ds_write_b32 v52, v1 offset:16
.LBB223_16:                             ;   in Loop: Header=BB223_4 Depth=2
	s_or_b64 exec, exec, s[26:27]
	v_lshrrev_b32_e32 v1, v34, v45
	v_lshlrev_b32_sdwa v2, v25, v1 dst_sel:DWORD dst_unused:UNUSED_PAD src0_sel:DWORD src1_sel:BYTE_0
	v_add_u32_e32 v55, v33, v2
	v_and_b32_e32 v2, 1, v1
	v_add_co_u32_e32 v3, vcc, -1, v2
	v_addc_co_u32_e64 v4, s[26:27], 0, -1, vcc
	v_cmp_ne_u32_e32 vcc, 0, v2
	v_lshlrev_b32_e32 v16, 30, v1
	v_xor_b32_e32 v2, vcc_hi, v4
	v_xor_b32_e32 v3, vcc_lo, v3
	v_cmp_gt_i64_e32 vcc, 0, v[15:16]
	v_not_b32_e32 v4, v16
	v_ashrrev_i32_e32 v4, 31, v4
	v_and_b32_e32 v2, exec_hi, v2
	v_xor_b32_e32 v16, vcc_hi, v4
	v_and_b32_e32 v3, exec_lo, v3
	v_xor_b32_e32 v4, vcc_lo, v4
	v_and_b32_e32 v2, v2, v16
	v_lshlrev_b32_e32 v16, 29, v1
	v_and_b32_e32 v3, v3, v4
	v_cmp_gt_i64_e32 vcc, 0, v[15:16]
	v_not_b32_e32 v4, v16
	v_ashrrev_i32_e32 v4, 31, v4
	v_xor_b32_e32 v16, vcc_hi, v4
	v_xor_b32_e32 v4, vcc_lo, v4
	v_and_b32_e32 v2, v2, v16
	v_lshlrev_b32_e32 v16, 28, v1
	v_and_b32_e32 v3, v3, v4
	v_cmp_gt_i64_e32 vcc, 0, v[15:16]
	v_not_b32_e32 v4, v16
	v_ashrrev_i32_e32 v4, 31, v4
	v_xor_b32_e32 v16, vcc_hi, v4
	;; [unrolled: 8-line block ×5, first 2 shown]
	v_and_b32_e32 v2, v2, v16
	v_lshlrev_b32_e32 v16, 24, v1
	v_xor_b32_e32 v4, vcc_lo, v4
	v_cmp_gt_i64_e32 vcc, 0, v[15:16]
	v_not_b32_e32 v1, v16
	v_ashrrev_i32_e32 v1, 31, v1
	v_and_b32_e32 v3, v3, v4
	v_xor_b32_e32 v4, vcc_hi, v1
	v_xor_b32_e32 v1, vcc_lo, v1
	; wave barrier
	ds_read_b32 v54, v55 offset:16
	v_and_b32_e32 v1, v3, v1
	v_and_b32_e32 v2, v2, v4
	v_mbcnt_lo_u32_b32 v3, v1, 0
	v_mbcnt_hi_u32_b32 v56, v2, v3
	v_cmp_ne_u64_e32 vcc, 0, v[1:2]
	v_cmp_eq_u32_e64 s[26:27], 0, v56
	s_and_b64 s[28:29], vcc, s[26:27]
	; wave barrier
	s_and_saveexec_b64 s[26:27], s[28:29]
	s_cbranch_execz .LBB223_18
; %bb.17:                               ;   in Loop: Header=BB223_4 Depth=2
	v_bcnt_u32_b32 v1, v1, 0
	v_bcnt_u32_b32 v1, v2, v1
	s_waitcnt lgkmcnt(0)
	v_add_u32_e32 v1, v54, v1
	ds_write_b32 v55, v1 offset:16
.LBB223_18:                             ;   in Loop: Header=BB223_4 Depth=2
	s_or_b64 exec, exec, s[26:27]
	v_lshrrev_b32_e32 v1, v34, v43
	v_lshlrev_b32_sdwa v2, v25, v1 dst_sel:DWORD dst_unused:UNUSED_PAD src0_sel:DWORD src1_sel:BYTE_0
	v_add_u32_e32 v58, v33, v2
	v_and_b32_e32 v2, 1, v1
	v_add_co_u32_e32 v3, vcc, -1, v2
	v_addc_co_u32_e64 v4, s[26:27], 0, -1, vcc
	v_cmp_ne_u32_e32 vcc, 0, v2
	v_lshlrev_b32_e32 v16, 30, v1
	v_xor_b32_e32 v2, vcc_hi, v4
	v_xor_b32_e32 v3, vcc_lo, v3
	v_cmp_gt_i64_e32 vcc, 0, v[15:16]
	v_not_b32_e32 v4, v16
	v_ashrrev_i32_e32 v4, 31, v4
	v_and_b32_e32 v2, exec_hi, v2
	v_xor_b32_e32 v16, vcc_hi, v4
	v_and_b32_e32 v3, exec_lo, v3
	v_xor_b32_e32 v4, vcc_lo, v4
	v_and_b32_e32 v2, v2, v16
	v_lshlrev_b32_e32 v16, 29, v1
	v_and_b32_e32 v3, v3, v4
	v_cmp_gt_i64_e32 vcc, 0, v[15:16]
	v_not_b32_e32 v4, v16
	v_ashrrev_i32_e32 v4, 31, v4
	v_xor_b32_e32 v16, vcc_hi, v4
	v_xor_b32_e32 v4, vcc_lo, v4
	v_and_b32_e32 v2, v2, v16
	v_lshlrev_b32_e32 v16, 28, v1
	v_and_b32_e32 v3, v3, v4
	v_cmp_gt_i64_e32 vcc, 0, v[15:16]
	v_not_b32_e32 v4, v16
	v_ashrrev_i32_e32 v4, 31, v4
	v_xor_b32_e32 v16, vcc_hi, v4
	;; [unrolled: 8-line block ×5, first 2 shown]
	v_and_b32_e32 v2, v2, v16
	v_lshlrev_b32_e32 v16, 24, v1
	v_xor_b32_e32 v4, vcc_lo, v4
	v_cmp_gt_i64_e32 vcc, 0, v[15:16]
	v_not_b32_e32 v1, v16
	v_ashrrev_i32_e32 v1, 31, v1
	v_and_b32_e32 v3, v3, v4
	v_xor_b32_e32 v4, vcc_hi, v1
	v_xor_b32_e32 v1, vcc_lo, v1
	; wave barrier
	ds_read_b32 v57, v58 offset:16
	v_and_b32_e32 v1, v3, v1
	v_and_b32_e32 v2, v2, v4
	v_mbcnt_lo_u32_b32 v3, v1, 0
	v_mbcnt_hi_u32_b32 v16, v2, v3
	v_cmp_ne_u64_e32 vcc, 0, v[1:2]
	v_cmp_eq_u32_e64 s[26:27], 0, v16
	s_and_b64 s[28:29], vcc, s[26:27]
	; wave barrier
	s_and_saveexec_b64 s[26:27], s[28:29]
	s_cbranch_execz .LBB223_20
; %bb.19:                               ;   in Loop: Header=BB223_4 Depth=2
	v_bcnt_u32_b32 v1, v1, 0
	v_bcnt_u32_b32 v1, v2, v1
	s_waitcnt lgkmcnt(0)
	v_add_u32_e32 v1, v57, v1
	ds_write_b32 v58, v1 offset:16
.LBB223_20:                             ;   in Loop: Header=BB223_4 Depth=2
	s_or_b64 exec, exec, s[26:27]
	; wave barrier
	s_waitcnt lgkmcnt(0)
	s_barrier
	ds_read2_b64 v[1:4], v26 offset0:2 offset1:3
	s_waitcnt lgkmcnt(0)
	v_add_u32_e32 v59, v2, v1
	v_add3_u32 v4, v59, v3, v4
	s_nop 1
	v_mov_b32_dpp v59, v4 row_shr:1 row_mask:0xf bank_mask:0xf
	v_cndmask_b32_e64 v59, v59, 0, s[10:11]
	v_add_u32_e32 v4, v59, v4
	s_nop 1
	v_mov_b32_dpp v59, v4 row_shr:2 row_mask:0xf bank_mask:0xf
	v_cndmask_b32_e64 v59, 0, v59, s[12:13]
	v_add_u32_e32 v4, v4, v59
	;; [unrolled: 4-line block ×4, first 2 shown]
	s_nop 1
	v_mov_b32_dpp v59, v4 row_bcast:15 row_mask:0xf bank_mask:0xf
	v_cndmask_b32_e64 v59, v59, 0, s[18:19]
	v_add_u32_e32 v4, v4, v59
	s_nop 1
	v_mov_b32_dpp v59, v4 row_bcast:31 row_mask:0xf bank_mask:0xf
	v_cndmask_b32_e64 v59, 0, v59, s[6:7]
	v_add_u32_e32 v4, v4, v59
	s_and_saveexec_b64 s[26:27], s[20:21]
; %bb.21:                               ;   in Loop: Header=BB223_4 Depth=2
	ds_write_b32 v29, v4
; %bb.22:                               ;   in Loop: Header=BB223_4 Depth=2
	s_or_b64 exec, exec, s[26:27]
	s_waitcnt lgkmcnt(0)
	s_barrier
	s_and_saveexec_b64 s[26:27], s[0:1]
	s_cbranch_execz .LBB223_24
; %bb.23:                               ;   in Loop: Header=BB223_4 Depth=2
	v_add_u32_e32 v59, v26, v27
	ds_read_b32 v60, v59
	s_waitcnt lgkmcnt(0)
	s_nop 0
	v_mov_b32_dpp v61, v60 row_shr:1 row_mask:0xf bank_mask:0xf
	v_cndmask_b32_e64 v61, v61, 0, s[22:23]
	v_add_u32_e32 v60, v61, v60
	s_nop 1
	v_mov_b32_dpp v61, v60 row_shr:2 row_mask:0xf bank_mask:0xf
	v_cndmask_b32_e64 v61, 0, v61, s[24:25]
	v_add_u32_e32 v60, v60, v61
	ds_write_b32 v59, v60
.LBB223_24:                             ;   in Loop: Header=BB223_4 Depth=2
	s_or_b64 exec, exec, s[26:27]
	v_mov_b32_e32 v59, 0
	s_waitcnt lgkmcnt(0)
	s_barrier
	s_and_saveexec_b64 s[26:27], s[2:3]
; %bb.25:                               ;   in Loop: Header=BB223_4 Depth=2
	ds_read_b32 v59, v31
; %bb.26:                               ;   in Loop: Header=BB223_4 Depth=2
	s_or_b64 exec, exec, s[26:27]
	s_waitcnt lgkmcnt(0)
	v_add_u32_e32 v4, v59, v4
	ds_bpermute_b32 v4, v32, v4
	v_cmp_lt_u32_e32 vcc, 23, v34
	s_and_b64 vcc, exec, vcc
	s_mov_b64 s[26:27], -1
	s_waitcnt lgkmcnt(0)
	v_cndmask_b32_e64 v4, v4, v59, s[8:9]
	v_cndmask_b32_e64 v59, v4, 0, s[4:5]
	v_add_u32_e32 v60, v59, v1
	v_add_u32_e32 v1, v60, v2
	;; [unrolled: 1-line block ×3, first 2 shown]
	ds_write2_b64 v26, v[59:60], v[1:2] offset0:2 offset1:3
	s_waitcnt lgkmcnt(0)
	s_barrier
	ds_read_b32 v1, v6 offset:16
	ds_read_b32 v2, v8 offset:16
	;; [unrolled: 1-line block ×8, first 2 shown]
	s_waitcnt lgkmcnt(7)
	v_add_u32_e32 v60, v1, v5
	s_waitcnt lgkmcnt(6)
	v_add3_u32 v59, v9, v7, v2
	s_waitcnt lgkmcnt(5)
	v_add3_u32 v58, v18, v10, v3
	;; [unrolled: 2-line block ×7, first 2 shown]
                                        ; implicit-def: $vgpr8
                                        ; implicit-def: $vgpr6
                                        ; implicit-def: $vgpr4
                                        ; implicit-def: $vgpr2
                                        ; implicit-def: $vgpr22
                                        ; implicit-def: $vgpr20
                                        ; implicit-def: $vgpr18
                                        ; implicit-def: $vgpr10
	s_cbranch_vccnz .LBB223_3
; %bb.27:                               ;   in Loop: Header=BB223_4 Depth=2
	v_lshlrev_b32_e32 v9, 2, v60
	v_lshlrev_b32_e32 v10, 2, v59
	;; [unrolled: 1-line block ×8, first 2 shown]
	s_barrier
	ds_write_b32 v9, v35
	ds_write_b32 v10, v50
	;; [unrolled: 1-line block ×8, first 2 shown]
	s_waitcnt lgkmcnt(0)
	s_barrier
	ds_read2st64_b32 v[1:2], v30 offset1:1
	ds_read2st64_b32 v[3:4], v30 offset0:2 offset1:3
	ds_read2st64_b32 v[5:6], v30 offset0:4 offset1:5
	;; [unrolled: 1-line block ×3, first 2 shown]
	s_waitcnt lgkmcnt(0)
	s_barrier
	ds_write_b32 v9, v44
	ds_write_b32 v10, v42
	;; [unrolled: 1-line block ×8, first 2 shown]
	s_waitcnt lgkmcnt(0)
	s_barrier
	ds_read2st64_b32 v[9:10], v30 offset1:1
	ds_read2st64_b32 v[17:18], v30 offset0:2 offset1:3
	ds_read2st64_b32 v[19:20], v30 offset0:4 offset1:5
	;; [unrolled: 1-line block ×3, first 2 shown]
	v_add_u32_e32 v34, 8, v34
	s_mov_b64 s[26:27], 0
	s_waitcnt lgkmcnt(0)
	s_barrier
	s_branch .LBB223_3
.LBB223_28:
	s_add_u32 s0, s30, s34
	s_addc_u32 s1, s31, s35
	v_lshlrev_b32_e32 v0, 2, v0
	s_waitcnt lgkmcnt(3)
	v_add_u32_e32 v1, v7, v18
	v_add_u32_e32 v2, v8, v19
	s_waitcnt lgkmcnt(2)
	v_add_u32_e32 v7, v9, v22
	v_add_u32_e32 v8, v10, v23
	v_mov_b32_e32 v9, s1
	v_add_co_u32_e32 v10, vcc, s0, v0
	v_addc_co_u32_e32 v9, vcc, 0, v9, vcc
	global_store_dword v0, v1, s[0:1]
	global_store_dword v0, v2, s[0:1] offset:1024
	global_store_dword v0, v7, s[0:1] offset:2048
	;; [unrolled: 1-line block ×3, first 2 shown]
	v_add_co_u32_e32 v0, vcc, 0x1000, v10
	s_waitcnt lgkmcnt(1)
	v_add_u32_e32 v3, v3, v16
	v_addc_co_u32_e32 v1, vcc, 0, v9, vcc
	v_add_u32_e32 v4, v4, v17
	s_waitcnt lgkmcnt(0)
	v_add_u32_e32 v5, v5, v20
	v_add_u32_e32 v6, v6, v21
	global_store_dword v[0:1], v3, off
	global_store_dword v[0:1], v4, off offset:1024
	global_store_dword v[0:1], v5, off offset:2048
	global_store_dword v[0:1], v6, off offset:3072
	s_endpgm
	.section	.rodata,"a",@progbits
	.p2align	6, 0x0
	.amdhsa_kernel _Z17sort_pairs_kernelI22helper_blocked_stripediLj256ELj8ELj10EEvPKT0_PS1_
		.amdhsa_group_segment_fixed_size 8192
		.amdhsa_private_segment_fixed_size 0
		.amdhsa_kernarg_size 272
		.amdhsa_user_sgpr_count 6
		.amdhsa_user_sgpr_private_segment_buffer 1
		.amdhsa_user_sgpr_dispatch_ptr 0
		.amdhsa_user_sgpr_queue_ptr 0
		.amdhsa_user_sgpr_kernarg_segment_ptr 1
		.amdhsa_user_sgpr_dispatch_id 0
		.amdhsa_user_sgpr_flat_scratch_init 0
		.amdhsa_user_sgpr_private_segment_size 0
		.amdhsa_uses_dynamic_stack 0
		.amdhsa_system_sgpr_private_segment_wavefront_offset 0
		.amdhsa_system_sgpr_workgroup_id_x 1
		.amdhsa_system_sgpr_workgroup_id_y 0
		.amdhsa_system_sgpr_workgroup_id_z 0
		.amdhsa_system_sgpr_workgroup_info 0
		.amdhsa_system_vgpr_workitem_id 2
		.amdhsa_next_free_vgpr 62
		.amdhsa_next_free_sgpr 61
		.amdhsa_reserve_vcc 1
		.amdhsa_reserve_flat_scratch 0
		.amdhsa_float_round_mode_32 0
		.amdhsa_float_round_mode_16_64 0
		.amdhsa_float_denorm_mode_32 3
		.amdhsa_float_denorm_mode_16_64 3
		.amdhsa_dx10_clamp 1
		.amdhsa_ieee_mode 1
		.amdhsa_fp16_overflow 0
		.amdhsa_exception_fp_ieee_invalid_op 0
		.amdhsa_exception_fp_denorm_src 0
		.amdhsa_exception_fp_ieee_div_zero 0
		.amdhsa_exception_fp_ieee_overflow 0
		.amdhsa_exception_fp_ieee_underflow 0
		.amdhsa_exception_fp_ieee_inexact 0
		.amdhsa_exception_int_div_zero 0
	.end_amdhsa_kernel
	.section	.text._Z17sort_pairs_kernelI22helper_blocked_stripediLj256ELj8ELj10EEvPKT0_PS1_,"axG",@progbits,_Z17sort_pairs_kernelI22helper_blocked_stripediLj256ELj8ELj10EEvPKT0_PS1_,comdat
.Lfunc_end223:
	.size	_Z17sort_pairs_kernelI22helper_blocked_stripediLj256ELj8ELj10EEvPKT0_PS1_, .Lfunc_end223-_Z17sort_pairs_kernelI22helper_blocked_stripediLj256ELj8ELj10EEvPKT0_PS1_
                                        ; -- End function
	.set _Z17sort_pairs_kernelI22helper_blocked_stripediLj256ELj8ELj10EEvPKT0_PS1_.num_vgpr, 62
	.set _Z17sort_pairs_kernelI22helper_blocked_stripediLj256ELj8ELj10EEvPKT0_PS1_.num_agpr, 0
	.set _Z17sort_pairs_kernelI22helper_blocked_stripediLj256ELj8ELj10EEvPKT0_PS1_.numbered_sgpr, 38
	.set _Z17sort_pairs_kernelI22helper_blocked_stripediLj256ELj8ELj10EEvPKT0_PS1_.num_named_barrier, 0
	.set _Z17sort_pairs_kernelI22helper_blocked_stripediLj256ELj8ELj10EEvPKT0_PS1_.private_seg_size, 0
	.set _Z17sort_pairs_kernelI22helper_blocked_stripediLj256ELj8ELj10EEvPKT0_PS1_.uses_vcc, 1
	.set _Z17sort_pairs_kernelI22helper_blocked_stripediLj256ELj8ELj10EEvPKT0_PS1_.uses_flat_scratch, 0
	.set _Z17sort_pairs_kernelI22helper_blocked_stripediLj256ELj8ELj10EEvPKT0_PS1_.has_dyn_sized_stack, 0
	.set _Z17sort_pairs_kernelI22helper_blocked_stripediLj256ELj8ELj10EEvPKT0_PS1_.has_recursion, 0
	.set _Z17sort_pairs_kernelI22helper_blocked_stripediLj256ELj8ELj10EEvPKT0_PS1_.has_indirect_call, 0
	.section	.AMDGPU.csdata,"",@progbits
; Kernel info:
; codeLenInByte = 4828
; TotalNumSgprs: 42
; NumVgprs: 62
; ScratchSize: 0
; MemoryBound: 0
; FloatMode: 240
; IeeeMode: 1
; LDSByteSize: 8192 bytes/workgroup (compile time only)
; SGPRBlocks: 8
; VGPRBlocks: 15
; NumSGPRsForWavesPerEU: 65
; NumVGPRsForWavesPerEU: 62
; Occupancy: 4
; WaveLimiterHint : 1
; COMPUTE_PGM_RSRC2:SCRATCH_EN: 0
; COMPUTE_PGM_RSRC2:USER_SGPR: 6
; COMPUTE_PGM_RSRC2:TRAP_HANDLER: 0
; COMPUTE_PGM_RSRC2:TGID_X_EN: 1
; COMPUTE_PGM_RSRC2:TGID_Y_EN: 0
; COMPUTE_PGM_RSRC2:TGID_Z_EN: 0
; COMPUTE_PGM_RSRC2:TIDIG_COMP_CNT: 2
	.section	.text._Z16sort_keys_kernelI22helper_blocked_stripediLj320ELj1ELj10EEvPKT0_PS1_,"axG",@progbits,_Z16sort_keys_kernelI22helper_blocked_stripediLj320ELj1ELj10EEvPKT0_PS1_,comdat
	.protected	_Z16sort_keys_kernelI22helper_blocked_stripediLj320ELj1ELj10EEvPKT0_PS1_ ; -- Begin function _Z16sort_keys_kernelI22helper_blocked_stripediLj320ELj1ELj10EEvPKT0_PS1_
	.globl	_Z16sort_keys_kernelI22helper_blocked_stripediLj320ELj1ELj10EEvPKT0_PS1_
	.p2align	8
	.type	_Z16sort_keys_kernelI22helper_blocked_stripediLj320ELj1ELj10EEvPKT0_PS1_,@function
_Z16sort_keys_kernelI22helper_blocked_stripediLj320ELj1ELj10EEvPKT0_PS1_: ; @_Z16sort_keys_kernelI22helper_blocked_stripediLj320ELj1ELj10EEvPKT0_PS1_
; %bb.0:
	s_load_dwordx4 s[28:31], s[4:5], 0x0
	s_load_dword s26, s[4:5], 0x1c
	s_mul_i32 s0, s6, 0x140
	s_mov_b32 s1, 0
	s_lshl_b64 s[34:35], s[0:1], 2
	s_waitcnt lgkmcnt(0)
	s_add_u32 s0, s28, s34
	s_addc_u32 s1, s29, s35
	v_lshlrev_b32_e32 v3, 2, v0
	global_load_dword v4, v3, s[0:1]
	v_mbcnt_lo_u32_b32 v5, -1, 0
	v_mbcnt_hi_u32_b32 v5, -1, v5
	v_subrev_co_u32_e64 v20, s[6:7], 1, v5
	v_and_b32_e32 v21, 64, v5
	v_cmp_lt_i32_e64 s[24:25], v20, v21
	v_cndmask_b32_e64 v20, v20, v5, s[24:25]
	s_lshr_b32 s24, s26, 16
	s_and_b32 s25, s26, 0xffff
	v_mad_u32_u24 v1, v2, s24, v1
	v_mad_u64_u32 v[1:2], s[24:25], v1, s25, v[0:1]
	v_and_b32_e32 v15, 0x1c0, v0
	v_and_b32_e32 v19, 16, v5
	v_lshlrev_b32_e32 v14, 4, v0
	v_lshrrev_b32_e32 v16, 4, v0
	v_mul_i32_i24_e32 v17, -12, v0
	v_and_b32_e32 v18, 15, v5
	v_cmp_eq_u32_e64 s[16:17], 0, v19
	v_lshlrev_b32_e32 v19, 2, v15
	v_min_u32_e32 v22, 0x100, v15
	v_cmp_lt_u32_e64 s[4:5], 31, v5
	v_cmp_eq_u32_e64 s[8:9], 0, v18
	v_cmp_lt_u32_e64 s[10:11], 1, v18
	v_cmp_lt_u32_e64 s[12:13], 3, v18
	;; [unrolled: 1-line block ×3, first 2 shown]
	v_and_b32_e32 v18, 7, v5
	v_and_b32_e32 v15, 28, v16
	v_add_u32_e32 v16, v14, v17
	v_lshl_add_u32 v17, v5, 2, v19
	v_or_b32_e32 v5, 63, v22
	v_lshrrev_b32_e32 v1, 4, v1
	v_mov_b32_e32 v3, 0
	s_mov_b32 s33, 10
	s_movk_i32 s36, 0xff
	v_mov_b32_e32 v6, 20
	v_mov_b32_e32 v7, 1
	;; [unrolled: 1-line block ×8, first 2 shown]
	v_cmp_gt_u32_e32 vcc, 5, v0
	v_cmp_lt_u32_e64 s[0:1], 63, v0
	v_cmp_eq_u32_e64 s[2:3], 0, v0
	v_cmp_eq_u32_e64 s[18:19], 0, v18
	v_cmp_lt_u32_e64 s[20:21], 1, v18
	v_cmp_lt_u32_e64 s[22:23], 3, v18
	v_add_u32_e32 v18, -4, v15
	v_cmp_eq_u32_e64 s[24:25], v0, v5
	v_lshlrev_b32_e32 v19, 2, v20
	v_and_b32_e32 v20, 0xffffffc, v1
	v_mov_b32_e32 v21, 24
	s_waitcnt vmcnt(0)
	v_xor_b32_e32 v22, 0x80000000, v4
	s_branch .LBB224_2
.LBB224_1:                              ;   in Loop: Header=BB224_2 Depth=1
	s_or_b64 exec, exec, s[26:27]
	s_waitcnt lgkmcnt(0)
	v_add_u32_e32 v2, v25, v2
	ds_bpermute_b32 v2, v19, v2
	s_add_i32 s33, s33, -1
	s_cmp_eq_u32 s33, 0
	s_waitcnt lgkmcnt(0)
	v_cndmask_b32_e64 v2, v2, v25, s[6:7]
	v_cndmask_b32_e64 v2, v2, 0, s[2:3]
	v_add_u32_e32 v4, v2, v4
	v_add_u32_e32 v5, v4, v5
	;; [unrolled: 1-line block ×3, first 2 shown]
	ds_write2_b32 v14, v2, v4 offset0:5 offset1:6
	ds_write2_b32 v14, v5, v1 offset0:7 offset1:8
	s_waitcnt lgkmcnt(0)
	s_barrier
	ds_read_b32 v1, v24 offset:20
	v_lshlrev_b32_e32 v2, 2, v23
	s_waitcnt lgkmcnt(0)
	s_barrier
	v_lshl_add_u32 v1, v1, 2, v2
	ds_write_b32 v1, v22
	s_waitcnt lgkmcnt(0)
	s_barrier
	ds_read_b32 v22, v16
	s_cbranch_scc1 .LBB224_34
.LBB224_2:                              ; =>This Inner Loop Header: Depth=1
	s_waitcnt lgkmcnt(0)
	v_and_b32_e32 v1, 1, v22
	v_add_co_u32_e64 v2, s[26:27], -1, v1
	v_addc_co_u32_e64 v4, s[26:27], 0, -1, s[26:27]
	v_cmp_ne_u32_e64 s[26:27], 0, v1
	v_xor_b32_e32 v1, s27, v4
	v_lshlrev_b32_e32 v4, 30, v22
	v_xor_b32_e32 v2, s26, v2
	v_cmp_gt_i64_e64 s[26:27], 0, v[3:4]
	v_not_b32_e32 v4, v4
	v_ashrrev_i32_e32 v4, 31, v4
	v_and_b32_e32 v2, exec_lo, v2
	v_xor_b32_e32 v23, s27, v4
	v_xor_b32_e32 v4, s26, v4
	v_and_b32_e32 v2, v2, v4
	v_lshlrev_b32_e32 v4, 29, v22
	v_cmp_gt_i64_e64 s[26:27], 0, v[3:4]
	v_not_b32_e32 v4, v4
	v_and_b32_e32 v1, exec_hi, v1
	v_ashrrev_i32_e32 v4, 31, v4
	v_and_b32_e32 v1, v1, v23
	v_xor_b32_e32 v23, s27, v4
	v_xor_b32_e32 v4, s26, v4
	v_and_b32_e32 v2, v2, v4
	v_lshlrev_b32_e32 v4, 28, v22
	v_cmp_gt_i64_e64 s[26:27], 0, v[3:4]
	v_not_b32_e32 v4, v4
	v_ashrrev_i32_e32 v4, 31, v4
	v_and_b32_e32 v1, v1, v23
	v_xor_b32_e32 v23, s27, v4
	v_xor_b32_e32 v4, s26, v4
	v_and_b32_e32 v2, v2, v4
	v_lshlrev_b32_e32 v4, 27, v22
	v_cmp_gt_i64_e64 s[26:27], 0, v[3:4]
	v_not_b32_e32 v4, v4
	;; [unrolled: 8-line block ×4, first 2 shown]
	v_ashrrev_i32_e32 v4, 31, v4
	v_and_b32_e32 v1, v1, v23
	v_xor_b32_e32 v23, s27, v4
	v_xor_b32_e32 v4, s26, v4
	v_and_b32_e32 v1, v1, v23
	v_and_b32_e32 v23, v2, v4
	v_lshlrev_b32_e32 v4, 24, v22
	v_cmp_gt_i64_e64 s[26:27], 0, v[3:4]
	v_not_b32_e32 v2, v4
	v_ashrrev_i32_e32 v2, 31, v2
	v_xor_b32_e32 v4, s27, v2
	v_xor_b32_e32 v24, s26, v2
	v_and_b32_e32 v2, v1, v4
	v_and_b32_e32 v1, v23, v24
	v_mbcnt_lo_u32_b32 v4, v1, 0
	v_mbcnt_hi_u32_b32 v23, v2, v4
	v_cmp_ne_u64_e64 s[26:27], 0, v[1:2]
	v_mul_u32_u24_sdwa v5, v22, v6 dst_sel:DWORD dst_unused:UNUSED_PAD src0_sel:BYTE_0 src1_sel:DWORD
	v_cmp_eq_u32_e64 s[28:29], 0, v23
	s_and_b64 s[28:29], s[26:27], s[28:29]
	v_add_u32_e32 v24, v20, v5
	ds_write2_b32 v14, v3, v3 offset0:5 offset1:6
	ds_write2_b32 v14, v3, v3 offset0:7 offset1:8
	s_waitcnt lgkmcnt(0)
	s_barrier
	; wave barrier
	s_and_saveexec_b64 s[26:27], s[28:29]
; %bb.3:                                ;   in Loop: Header=BB224_2 Depth=1
	v_bcnt_u32_b32 v1, v1, 0
	v_bcnt_u32_b32 v1, v2, v1
	ds_write_b32 v24, v1 offset:20
; %bb.4:                                ;   in Loop: Header=BB224_2 Depth=1
	s_or_b64 exec, exec, s[26:27]
	; wave barrier
	s_waitcnt lgkmcnt(0)
	s_barrier
	ds_read2_b32 v[4:5], v14 offset0:5 offset1:6
	ds_read2_b32 v[1:2], v14 offset0:7 offset1:8
	s_waitcnt lgkmcnt(1)
	v_add_u32_e32 v25, v5, v4
	s_waitcnt lgkmcnt(0)
	v_add3_u32 v2, v25, v1, v2
	s_nop 1
	v_mov_b32_dpp v25, v2 row_shr:1 row_mask:0xf bank_mask:0xf
	v_cndmask_b32_e64 v25, v25, 0, s[8:9]
	v_add_u32_e32 v2, v25, v2
	s_nop 1
	v_mov_b32_dpp v25, v2 row_shr:2 row_mask:0xf bank_mask:0xf
	v_cndmask_b32_e64 v25, 0, v25, s[10:11]
	v_add_u32_e32 v2, v2, v25
	;; [unrolled: 4-line block ×4, first 2 shown]
	s_nop 1
	v_mov_b32_dpp v25, v2 row_bcast:15 row_mask:0xf bank_mask:0xf
	v_cndmask_b32_e64 v25, v25, 0, s[16:17]
	v_add_u32_e32 v2, v2, v25
	s_nop 1
	v_mov_b32_dpp v25, v2 row_bcast:31 row_mask:0xf bank_mask:0xf
	v_cndmask_b32_e64 v25, 0, v25, s[4:5]
	v_add_u32_e32 v2, v2, v25
	s_and_saveexec_b64 s[26:27], s[24:25]
; %bb.5:                                ;   in Loop: Header=BB224_2 Depth=1
	ds_write_b32 v15, v2
; %bb.6:                                ;   in Loop: Header=BB224_2 Depth=1
	s_or_b64 exec, exec, s[26:27]
	s_waitcnt lgkmcnt(0)
	s_barrier
	s_and_saveexec_b64 s[26:27], vcc
	s_cbranch_execz .LBB224_8
; %bb.7:                                ;   in Loop: Header=BB224_2 Depth=1
	ds_read_b32 v25, v16
	s_waitcnt lgkmcnt(0)
	s_nop 0
	v_mov_b32_dpp v26, v25 row_shr:1 row_mask:0xf bank_mask:0xf
	v_cndmask_b32_e64 v26, v26, 0, s[18:19]
	v_add_u32_e32 v25, v26, v25
	s_nop 1
	v_mov_b32_dpp v26, v25 row_shr:2 row_mask:0xf bank_mask:0xf
	v_cndmask_b32_e64 v26, 0, v26, s[20:21]
	v_add_u32_e32 v25, v25, v26
	;; [unrolled: 4-line block ×3, first 2 shown]
	ds_write_b32 v16, v25
.LBB224_8:                              ;   in Loop: Header=BB224_2 Depth=1
	s_or_b64 exec, exec, s[26:27]
	v_mov_b32_e32 v25, 0
	s_waitcnt lgkmcnt(0)
	s_barrier
	s_and_saveexec_b64 s[26:27], s[0:1]
; %bb.9:                                ;   in Loop: Header=BB224_2 Depth=1
	ds_read_b32 v25, v18
; %bb.10:                               ;   in Loop: Header=BB224_2 Depth=1
	s_or_b64 exec, exec, s[26:27]
	s_waitcnt lgkmcnt(0)
	v_add_u32_e32 v2, v25, v2
	ds_bpermute_b32 v2, v19, v2
	s_waitcnt lgkmcnt(0)
	v_cndmask_b32_e64 v2, v2, v25, s[6:7]
	v_cndmask_b32_e64 v2, v2, 0, s[2:3]
	v_add_u32_e32 v4, v2, v4
	v_add_u32_e32 v5, v4, v5
	;; [unrolled: 1-line block ×3, first 2 shown]
	ds_write2_b32 v14, v2, v4 offset0:5 offset1:6
	ds_write2_b32 v14, v5, v1 offset0:7 offset1:8
	s_waitcnt lgkmcnt(0)
	s_barrier
	ds_read_b32 v1, v24 offset:20
	v_lshlrev_b32_e32 v2, 2, v23
	s_waitcnt lgkmcnt(0)
	s_barrier
	v_lshl_add_u32 v1, v1, 2, v2
	ds_write_b32 v1, v22
	s_waitcnt lgkmcnt(0)
	s_barrier
	ds_read_b32 v22, v17
	s_waitcnt lgkmcnt(0)
	s_barrier
	ds_write2_b32 v14, v3, v3 offset0:5 offset1:6
	ds_write2_b32 v14, v3, v3 offset0:7 offset1:8
	v_lshrrev_b32_e32 v1, 8, v22
	v_and_b32_e32 v2, 1, v1
	v_add_co_u32_e64 v4, s[26:27], -1, v2
	v_addc_co_u32_e64 v23, s[26:27], 0, -1, s[26:27]
	v_cmp_ne_u32_e64 s[26:27], 0, v2
	v_xor_b32_e32 v4, s26, v4
	v_xor_b32_e32 v2, s27, v23
	v_and_b32_e32 v23, exec_lo, v4
	v_lshlrev_b32_e32 v4, 30, v1
	v_cmp_gt_i64_e64 s[26:27], 0, v[3:4]
	v_not_b32_e32 v4, v4
	v_ashrrev_i32_e32 v4, 31, v4
	v_xor_b32_e32 v24, s27, v4
	v_xor_b32_e32 v4, s26, v4
	v_and_b32_e32 v23, v23, v4
	v_lshlrev_b32_e32 v4, 29, v1
	v_cmp_gt_i64_e64 s[26:27], 0, v[3:4]
	v_not_b32_e32 v4, v4
	v_and_b32_e32 v2, exec_hi, v2
	v_ashrrev_i32_e32 v4, 31, v4
	v_and_b32_e32 v2, v2, v24
	v_xor_b32_e32 v24, s27, v4
	v_xor_b32_e32 v4, s26, v4
	v_and_b32_e32 v23, v23, v4
	v_lshlrev_b32_e32 v4, 28, v1
	v_cmp_gt_i64_e64 s[26:27], 0, v[3:4]
	v_not_b32_e32 v4, v4
	v_ashrrev_i32_e32 v4, 31, v4
	v_and_b32_e32 v2, v2, v24
	v_xor_b32_e32 v24, s27, v4
	v_xor_b32_e32 v4, s26, v4
	v_and_b32_e32 v23, v23, v4
	v_lshlrev_b32_e32 v4, 27, v1
	v_cmp_gt_i64_e64 s[26:27], 0, v[3:4]
	v_not_b32_e32 v4, v4
	;; [unrolled: 8-line block ×4, first 2 shown]
	v_ashrrev_i32_e32 v4, 31, v4
	v_and_b32_e32 v2, v2, v24
	v_xor_b32_e32 v24, s27, v4
	v_xor_b32_e32 v4, s26, v4
	v_and_b32_e32 v23, v23, v4
	v_lshlrev_b32_e32 v4, 24, v1
	v_mul_u32_u24_sdwa v5, v1, v6 dst_sel:DWORD dst_unused:UNUSED_PAD src0_sel:BYTE_0 src1_sel:DWORD
	v_cmp_gt_i64_e64 s[26:27], 0, v[3:4]
	v_not_b32_e32 v1, v4
	v_ashrrev_i32_e32 v1, 31, v1
	v_xor_b32_e32 v4, s27, v1
	v_xor_b32_e32 v1, s26, v1
	v_and_b32_e32 v2, v2, v24
	v_and_b32_e32 v1, v23, v1
	;; [unrolled: 1-line block ×3, first 2 shown]
	v_mbcnt_lo_u32_b32 v4, v1, 0
	v_mbcnt_hi_u32_b32 v23, v2, v4
	v_cmp_ne_u64_e64 s[26:27], 0, v[1:2]
	v_cmp_eq_u32_e64 s[28:29], 0, v23
	s_and_b64 s[28:29], s[26:27], s[28:29]
	v_add_u32_e32 v24, v20, v5
	s_waitcnt lgkmcnt(0)
	s_barrier
	; wave barrier
	s_and_saveexec_b64 s[26:27], s[28:29]
; %bb.11:                               ;   in Loop: Header=BB224_2 Depth=1
	v_bcnt_u32_b32 v1, v1, 0
	v_bcnt_u32_b32 v1, v2, v1
	ds_write_b32 v24, v1 offset:20
; %bb.12:                               ;   in Loop: Header=BB224_2 Depth=1
	s_or_b64 exec, exec, s[26:27]
	; wave barrier
	s_waitcnt lgkmcnt(0)
	s_barrier
	ds_read2_b32 v[4:5], v14 offset0:5 offset1:6
	ds_read2_b32 v[1:2], v14 offset0:7 offset1:8
	s_waitcnt lgkmcnt(1)
	v_add_u32_e32 v25, v5, v4
	s_waitcnt lgkmcnt(0)
	v_add3_u32 v2, v25, v1, v2
	s_nop 1
	v_mov_b32_dpp v25, v2 row_shr:1 row_mask:0xf bank_mask:0xf
	v_cndmask_b32_e64 v25, v25, 0, s[8:9]
	v_add_u32_e32 v2, v25, v2
	s_nop 1
	v_mov_b32_dpp v25, v2 row_shr:2 row_mask:0xf bank_mask:0xf
	v_cndmask_b32_e64 v25, 0, v25, s[10:11]
	v_add_u32_e32 v2, v2, v25
	;; [unrolled: 4-line block ×4, first 2 shown]
	s_nop 1
	v_mov_b32_dpp v25, v2 row_bcast:15 row_mask:0xf bank_mask:0xf
	v_cndmask_b32_e64 v25, v25, 0, s[16:17]
	v_add_u32_e32 v2, v2, v25
	s_nop 1
	v_mov_b32_dpp v25, v2 row_bcast:31 row_mask:0xf bank_mask:0xf
	v_cndmask_b32_e64 v25, 0, v25, s[4:5]
	v_add_u32_e32 v2, v2, v25
	s_and_saveexec_b64 s[26:27], s[24:25]
; %bb.13:                               ;   in Loop: Header=BB224_2 Depth=1
	ds_write_b32 v15, v2
; %bb.14:                               ;   in Loop: Header=BB224_2 Depth=1
	s_or_b64 exec, exec, s[26:27]
	s_waitcnt lgkmcnt(0)
	s_barrier
	s_and_saveexec_b64 s[26:27], vcc
	s_cbranch_execz .LBB224_16
; %bb.15:                               ;   in Loop: Header=BB224_2 Depth=1
	ds_read_b32 v25, v16
	s_waitcnt lgkmcnt(0)
	s_nop 0
	v_mov_b32_dpp v26, v25 row_shr:1 row_mask:0xf bank_mask:0xf
	v_cndmask_b32_e64 v26, v26, 0, s[18:19]
	v_add_u32_e32 v25, v26, v25
	s_nop 1
	v_mov_b32_dpp v26, v25 row_shr:2 row_mask:0xf bank_mask:0xf
	v_cndmask_b32_e64 v26, 0, v26, s[20:21]
	v_add_u32_e32 v25, v25, v26
	;; [unrolled: 4-line block ×3, first 2 shown]
	ds_write_b32 v16, v25
.LBB224_16:                             ;   in Loop: Header=BB224_2 Depth=1
	s_or_b64 exec, exec, s[26:27]
	v_mov_b32_e32 v25, 0
	s_waitcnt lgkmcnt(0)
	s_barrier
	s_and_saveexec_b64 s[26:27], s[0:1]
; %bb.17:                               ;   in Loop: Header=BB224_2 Depth=1
	ds_read_b32 v25, v18
; %bb.18:                               ;   in Loop: Header=BB224_2 Depth=1
	s_or_b64 exec, exec, s[26:27]
	s_waitcnt lgkmcnt(0)
	v_add_u32_e32 v2, v25, v2
	ds_bpermute_b32 v2, v19, v2
	s_waitcnt lgkmcnt(0)
	v_cndmask_b32_e64 v2, v2, v25, s[6:7]
	v_cndmask_b32_e64 v2, v2, 0, s[2:3]
	v_add_u32_e32 v4, v2, v4
	v_add_u32_e32 v5, v4, v5
	;; [unrolled: 1-line block ×3, first 2 shown]
	ds_write2_b32 v14, v2, v4 offset0:5 offset1:6
	ds_write2_b32 v14, v5, v1 offset0:7 offset1:8
	s_waitcnt lgkmcnt(0)
	s_barrier
	ds_read_b32 v1, v24 offset:20
	v_lshlrev_b32_e32 v2, 2, v23
	s_waitcnt lgkmcnt(0)
	s_barrier
	v_lshl_add_u32 v1, v1, 2, v2
	ds_write_b32 v1, v22
	s_waitcnt lgkmcnt(0)
	s_barrier
	ds_read_b32 v22, v17
	s_waitcnt lgkmcnt(0)
	s_barrier
	ds_write2_b32 v14, v3, v3 offset0:5 offset1:6
	ds_write2_b32 v14, v3, v3 offset0:7 offset1:8
	v_and_b32_sdwa v1, v22, s36 dst_sel:DWORD dst_unused:UNUSED_PAD src0_sel:WORD_1 src1_sel:DWORD
	v_mul_u32_u24_e32 v5, 20, v1
	v_and_b32_sdwa v1, v22, v7 dst_sel:DWORD dst_unused:UNUSED_PAD src0_sel:WORD_1 src1_sel:DWORD
	v_add_co_u32_e64 v2, s[26:27], -1, v1
	v_addc_co_u32_e64 v4, s[26:27], 0, -1, s[26:27]
	v_cmp_ne_u32_e64 s[26:27], 0, v1
	v_xor_b32_e32 v1, s27, v4
	v_lshlrev_b32_sdwa v4, v8, v22 dst_sel:DWORD dst_unused:UNUSED_PAD src0_sel:DWORD src1_sel:WORD_1
	v_xor_b32_e32 v2, s26, v2
	v_cmp_gt_i64_e64 s[26:27], 0, v[3:4]
	v_not_b32_e32 v4, v4
	v_ashrrev_i32_e32 v4, 31, v4
	v_and_b32_e32 v2, exec_lo, v2
	v_xor_b32_e32 v23, s27, v4
	v_xor_b32_e32 v4, s26, v4
	v_and_b32_e32 v2, v2, v4
	v_lshlrev_b32_sdwa v4, v9, v22 dst_sel:DWORD dst_unused:UNUSED_PAD src0_sel:DWORD src1_sel:WORD_1
	v_cmp_gt_i64_e64 s[26:27], 0, v[3:4]
	v_not_b32_e32 v4, v4
	v_and_b32_e32 v1, exec_hi, v1
	v_ashrrev_i32_e32 v4, 31, v4
	v_and_b32_e32 v1, v1, v23
	v_xor_b32_e32 v23, s27, v4
	v_xor_b32_e32 v4, s26, v4
	v_and_b32_e32 v2, v2, v4
	v_lshlrev_b32_sdwa v4, v10, v22 dst_sel:DWORD dst_unused:UNUSED_PAD src0_sel:DWORD src1_sel:WORD_1
	v_cmp_gt_i64_e64 s[26:27], 0, v[3:4]
	v_not_b32_e32 v4, v4
	v_ashrrev_i32_e32 v4, 31, v4
	v_and_b32_e32 v1, v1, v23
	v_xor_b32_e32 v23, s27, v4
	v_xor_b32_e32 v4, s26, v4
	v_and_b32_e32 v2, v2, v4
	v_lshlrev_b32_sdwa v4, v11, v22 dst_sel:DWORD dst_unused:UNUSED_PAD src0_sel:DWORD src1_sel:WORD_1
	v_cmp_gt_i64_e64 s[26:27], 0, v[3:4]
	v_not_b32_e32 v4, v4
	;; [unrolled: 8-line block ×4, first 2 shown]
	v_ashrrev_i32_e32 v4, 31, v4
	v_and_b32_e32 v1, v1, v23
	v_xor_b32_e32 v23, s27, v4
	v_xor_b32_e32 v4, s26, v4
	v_and_b32_e32 v1, v1, v23
	v_and_b32_e32 v23, v2, v4
	v_lshlrev_b32_sdwa v4, v21, v22 dst_sel:DWORD dst_unused:UNUSED_PAD src0_sel:DWORD src1_sel:WORD_1
	v_cmp_gt_i64_e64 s[26:27], 0, v[3:4]
	v_not_b32_e32 v2, v4
	v_ashrrev_i32_e32 v2, 31, v2
	v_xor_b32_e32 v4, s27, v2
	v_xor_b32_e32 v24, s26, v2
	v_and_b32_e32 v2, v1, v4
	v_and_b32_e32 v1, v23, v24
	v_mbcnt_lo_u32_b32 v4, v1, 0
	v_mbcnt_hi_u32_b32 v23, v2, v4
	v_cmp_ne_u64_e64 s[26:27], 0, v[1:2]
	v_cmp_eq_u32_e64 s[28:29], 0, v23
	s_and_b64 s[28:29], s[26:27], s[28:29]
	v_add_u32_e32 v24, v20, v5
	s_waitcnt lgkmcnt(0)
	s_barrier
	; wave barrier
	s_and_saveexec_b64 s[26:27], s[28:29]
; %bb.19:                               ;   in Loop: Header=BB224_2 Depth=1
	v_bcnt_u32_b32 v1, v1, 0
	v_bcnt_u32_b32 v1, v2, v1
	ds_write_b32 v24, v1 offset:20
; %bb.20:                               ;   in Loop: Header=BB224_2 Depth=1
	s_or_b64 exec, exec, s[26:27]
	; wave barrier
	s_waitcnt lgkmcnt(0)
	s_barrier
	ds_read2_b32 v[4:5], v14 offset0:5 offset1:6
	ds_read2_b32 v[1:2], v14 offset0:7 offset1:8
	s_waitcnt lgkmcnt(1)
	v_add_u32_e32 v25, v5, v4
	s_waitcnt lgkmcnt(0)
	v_add3_u32 v2, v25, v1, v2
	s_nop 1
	v_mov_b32_dpp v25, v2 row_shr:1 row_mask:0xf bank_mask:0xf
	v_cndmask_b32_e64 v25, v25, 0, s[8:9]
	v_add_u32_e32 v2, v25, v2
	s_nop 1
	v_mov_b32_dpp v25, v2 row_shr:2 row_mask:0xf bank_mask:0xf
	v_cndmask_b32_e64 v25, 0, v25, s[10:11]
	v_add_u32_e32 v2, v2, v25
	;; [unrolled: 4-line block ×4, first 2 shown]
	s_nop 1
	v_mov_b32_dpp v25, v2 row_bcast:15 row_mask:0xf bank_mask:0xf
	v_cndmask_b32_e64 v25, v25, 0, s[16:17]
	v_add_u32_e32 v2, v2, v25
	s_nop 1
	v_mov_b32_dpp v25, v2 row_bcast:31 row_mask:0xf bank_mask:0xf
	v_cndmask_b32_e64 v25, 0, v25, s[4:5]
	v_add_u32_e32 v2, v2, v25
	s_and_saveexec_b64 s[26:27], s[24:25]
; %bb.21:                               ;   in Loop: Header=BB224_2 Depth=1
	ds_write_b32 v15, v2
; %bb.22:                               ;   in Loop: Header=BB224_2 Depth=1
	s_or_b64 exec, exec, s[26:27]
	s_waitcnt lgkmcnt(0)
	s_barrier
	s_and_saveexec_b64 s[26:27], vcc
	s_cbranch_execz .LBB224_24
; %bb.23:                               ;   in Loop: Header=BB224_2 Depth=1
	ds_read_b32 v25, v16
	s_waitcnt lgkmcnt(0)
	s_nop 0
	v_mov_b32_dpp v26, v25 row_shr:1 row_mask:0xf bank_mask:0xf
	v_cndmask_b32_e64 v26, v26, 0, s[18:19]
	v_add_u32_e32 v25, v26, v25
	s_nop 1
	v_mov_b32_dpp v26, v25 row_shr:2 row_mask:0xf bank_mask:0xf
	v_cndmask_b32_e64 v26, 0, v26, s[20:21]
	v_add_u32_e32 v25, v25, v26
	;; [unrolled: 4-line block ×3, first 2 shown]
	ds_write_b32 v16, v25
.LBB224_24:                             ;   in Loop: Header=BB224_2 Depth=1
	s_or_b64 exec, exec, s[26:27]
	v_mov_b32_e32 v25, 0
	s_waitcnt lgkmcnt(0)
	s_barrier
	s_and_saveexec_b64 s[26:27], s[0:1]
; %bb.25:                               ;   in Loop: Header=BB224_2 Depth=1
	ds_read_b32 v25, v18
; %bb.26:                               ;   in Loop: Header=BB224_2 Depth=1
	s_or_b64 exec, exec, s[26:27]
	s_waitcnt lgkmcnt(0)
	v_add_u32_e32 v2, v25, v2
	ds_bpermute_b32 v2, v19, v2
	s_waitcnt lgkmcnt(0)
	v_cndmask_b32_e64 v2, v2, v25, s[6:7]
	v_cndmask_b32_e64 v2, v2, 0, s[2:3]
	v_add_u32_e32 v4, v2, v4
	v_add_u32_e32 v5, v4, v5
	;; [unrolled: 1-line block ×3, first 2 shown]
	ds_write2_b32 v14, v2, v4 offset0:5 offset1:6
	ds_write2_b32 v14, v5, v1 offset0:7 offset1:8
	s_waitcnt lgkmcnt(0)
	s_barrier
	ds_read_b32 v1, v24 offset:20
	v_lshlrev_b32_e32 v2, 2, v23
	s_waitcnt lgkmcnt(0)
	s_barrier
	v_lshl_add_u32 v1, v1, 2, v2
	ds_write_b32 v1, v22
	s_waitcnt lgkmcnt(0)
	s_barrier
	ds_read_b32 v22, v17
	s_waitcnt lgkmcnt(0)
	s_barrier
	ds_write2_b32 v14, v3, v3 offset0:5 offset1:6
	ds_write2_b32 v14, v3, v3 offset0:7 offset1:8
	v_and_b32_sdwa v1, v22, v7 dst_sel:DWORD dst_unused:UNUSED_PAD src0_sel:BYTE_3 src1_sel:DWORD
	v_add_co_u32_e64 v2, s[26:27], -1, v1
	v_addc_co_u32_e64 v4, s[26:27], 0, -1, s[26:27]
	v_cmp_ne_u32_e64 s[26:27], 0, v1
	v_xor_b32_e32 v1, s27, v4
	v_lshlrev_b32_sdwa v4, v8, v22 dst_sel:DWORD dst_unused:UNUSED_PAD src0_sel:DWORD src1_sel:BYTE_3
	v_xor_b32_e32 v2, s26, v2
	v_cmp_gt_i64_e64 s[26:27], 0, v[3:4]
	v_not_b32_e32 v4, v4
	v_ashrrev_i32_e32 v4, 31, v4
	v_and_b32_e32 v2, exec_lo, v2
	v_xor_b32_e32 v23, s27, v4
	v_xor_b32_e32 v4, s26, v4
	v_and_b32_e32 v2, v2, v4
	v_lshlrev_b32_sdwa v4, v9, v22 dst_sel:DWORD dst_unused:UNUSED_PAD src0_sel:DWORD src1_sel:BYTE_3
	v_cmp_gt_i64_e64 s[26:27], 0, v[3:4]
	v_not_b32_e32 v4, v4
	v_and_b32_e32 v1, exec_hi, v1
	v_ashrrev_i32_e32 v4, 31, v4
	v_and_b32_e32 v1, v1, v23
	v_xor_b32_e32 v23, s27, v4
	v_xor_b32_e32 v4, s26, v4
	v_and_b32_e32 v2, v2, v4
	v_lshlrev_b32_sdwa v4, v10, v22 dst_sel:DWORD dst_unused:UNUSED_PAD src0_sel:DWORD src1_sel:BYTE_3
	v_cmp_gt_i64_e64 s[26:27], 0, v[3:4]
	v_not_b32_e32 v4, v4
	v_ashrrev_i32_e32 v4, 31, v4
	v_and_b32_e32 v1, v1, v23
	v_xor_b32_e32 v23, s27, v4
	v_xor_b32_e32 v4, s26, v4
	v_and_b32_e32 v2, v2, v4
	v_lshlrev_b32_sdwa v4, v11, v22 dst_sel:DWORD dst_unused:UNUSED_PAD src0_sel:DWORD src1_sel:BYTE_3
	v_cmp_gt_i64_e64 s[26:27], 0, v[3:4]
	v_not_b32_e32 v4, v4
	;; [unrolled: 8-line block ×4, first 2 shown]
	v_ashrrev_i32_e32 v4, 31, v4
	v_and_b32_e32 v1, v1, v23
	v_xor_b32_e32 v23, s27, v4
	v_xor_b32_e32 v4, s26, v4
	v_and_b32_e32 v1, v1, v23
	v_and_b32_e32 v23, v2, v4
	v_lshlrev_b32_sdwa v4, v21, v22 dst_sel:DWORD dst_unused:UNUSED_PAD src0_sel:DWORD src1_sel:BYTE_3
	v_cmp_gt_i64_e64 s[26:27], 0, v[3:4]
	v_not_b32_e32 v2, v4
	v_ashrrev_i32_e32 v2, 31, v2
	v_xor_b32_e32 v4, s27, v2
	v_xor_b32_e32 v24, s26, v2
	v_and_b32_e32 v2, v1, v4
	v_and_b32_e32 v1, v23, v24
	v_mbcnt_lo_u32_b32 v4, v1, 0
	v_mbcnt_hi_u32_b32 v23, v2, v4
	v_cmp_ne_u64_e64 s[26:27], 0, v[1:2]
	v_mul_u32_u24_sdwa v5, v22, v6 dst_sel:DWORD dst_unused:UNUSED_PAD src0_sel:BYTE_3 src1_sel:DWORD
	v_cmp_eq_u32_e64 s[28:29], 0, v23
	s_and_b64 s[28:29], s[26:27], s[28:29]
	v_add_u32_e32 v24, v20, v5
	s_waitcnt lgkmcnt(0)
	s_barrier
	; wave barrier
	s_and_saveexec_b64 s[26:27], s[28:29]
; %bb.27:                               ;   in Loop: Header=BB224_2 Depth=1
	v_bcnt_u32_b32 v1, v1, 0
	v_bcnt_u32_b32 v1, v2, v1
	ds_write_b32 v24, v1 offset:20
; %bb.28:                               ;   in Loop: Header=BB224_2 Depth=1
	s_or_b64 exec, exec, s[26:27]
	; wave barrier
	s_waitcnt lgkmcnt(0)
	s_barrier
	ds_read2_b32 v[4:5], v14 offset0:5 offset1:6
	ds_read2_b32 v[1:2], v14 offset0:7 offset1:8
	s_waitcnt lgkmcnt(1)
	v_add_u32_e32 v25, v5, v4
	s_waitcnt lgkmcnt(0)
	v_add3_u32 v2, v25, v1, v2
	s_nop 1
	v_mov_b32_dpp v25, v2 row_shr:1 row_mask:0xf bank_mask:0xf
	v_cndmask_b32_e64 v25, v25, 0, s[8:9]
	v_add_u32_e32 v2, v25, v2
	s_nop 1
	v_mov_b32_dpp v25, v2 row_shr:2 row_mask:0xf bank_mask:0xf
	v_cndmask_b32_e64 v25, 0, v25, s[10:11]
	v_add_u32_e32 v2, v2, v25
	;; [unrolled: 4-line block ×4, first 2 shown]
	s_nop 1
	v_mov_b32_dpp v25, v2 row_bcast:15 row_mask:0xf bank_mask:0xf
	v_cndmask_b32_e64 v25, v25, 0, s[16:17]
	v_add_u32_e32 v2, v2, v25
	s_nop 1
	v_mov_b32_dpp v25, v2 row_bcast:31 row_mask:0xf bank_mask:0xf
	v_cndmask_b32_e64 v25, 0, v25, s[4:5]
	v_add_u32_e32 v2, v2, v25
	s_and_saveexec_b64 s[26:27], s[24:25]
; %bb.29:                               ;   in Loop: Header=BB224_2 Depth=1
	ds_write_b32 v15, v2
; %bb.30:                               ;   in Loop: Header=BB224_2 Depth=1
	s_or_b64 exec, exec, s[26:27]
	s_waitcnt lgkmcnt(0)
	s_barrier
	s_and_saveexec_b64 s[26:27], vcc
	s_cbranch_execz .LBB224_32
; %bb.31:                               ;   in Loop: Header=BB224_2 Depth=1
	ds_read_b32 v25, v16
	s_waitcnt lgkmcnt(0)
	s_nop 0
	v_mov_b32_dpp v26, v25 row_shr:1 row_mask:0xf bank_mask:0xf
	v_cndmask_b32_e64 v26, v26, 0, s[18:19]
	v_add_u32_e32 v25, v26, v25
	s_nop 1
	v_mov_b32_dpp v26, v25 row_shr:2 row_mask:0xf bank_mask:0xf
	v_cndmask_b32_e64 v26, 0, v26, s[20:21]
	v_add_u32_e32 v25, v25, v26
	;; [unrolled: 4-line block ×3, first 2 shown]
	ds_write_b32 v16, v25
.LBB224_32:                             ;   in Loop: Header=BB224_2 Depth=1
	s_or_b64 exec, exec, s[26:27]
	v_mov_b32_e32 v25, 0
	s_waitcnt lgkmcnt(0)
	s_barrier
	s_and_saveexec_b64 s[26:27], s[0:1]
	s_cbranch_execz .LBB224_1
; %bb.33:                               ;   in Loop: Header=BB224_2 Depth=1
	ds_read_b32 v25, v18
	s_branch .LBB224_1
.LBB224_34:
	s_add_u32 s0, s30, s34
	s_waitcnt lgkmcnt(0)
	v_xor_b32_e32 v1, 0x80000000, v22
	s_addc_u32 s1, s31, s35
	v_lshlrev_b32_e32 v0, 2, v0
	global_store_dword v0, v1, s[0:1]
	s_endpgm
	.section	.rodata,"a",@progbits
	.p2align	6, 0x0
	.amdhsa_kernel _Z16sort_keys_kernelI22helper_blocked_stripediLj320ELj1ELj10EEvPKT0_PS1_
		.amdhsa_group_segment_fixed_size 5152
		.amdhsa_private_segment_fixed_size 0
		.amdhsa_kernarg_size 272
		.amdhsa_user_sgpr_count 6
		.amdhsa_user_sgpr_private_segment_buffer 1
		.amdhsa_user_sgpr_dispatch_ptr 0
		.amdhsa_user_sgpr_queue_ptr 0
		.amdhsa_user_sgpr_kernarg_segment_ptr 1
		.amdhsa_user_sgpr_dispatch_id 0
		.amdhsa_user_sgpr_flat_scratch_init 0
		.amdhsa_user_sgpr_private_segment_size 0
		.amdhsa_uses_dynamic_stack 0
		.amdhsa_system_sgpr_private_segment_wavefront_offset 0
		.amdhsa_system_sgpr_workgroup_id_x 1
		.amdhsa_system_sgpr_workgroup_id_y 0
		.amdhsa_system_sgpr_workgroup_id_z 0
		.amdhsa_system_sgpr_workgroup_info 0
		.amdhsa_system_vgpr_workitem_id 2
		.amdhsa_next_free_vgpr 27
		.amdhsa_next_free_sgpr 37
		.amdhsa_reserve_vcc 1
		.amdhsa_reserve_flat_scratch 0
		.amdhsa_float_round_mode_32 0
		.amdhsa_float_round_mode_16_64 0
		.amdhsa_float_denorm_mode_32 3
		.amdhsa_float_denorm_mode_16_64 3
		.amdhsa_dx10_clamp 1
		.amdhsa_ieee_mode 1
		.amdhsa_fp16_overflow 0
		.amdhsa_exception_fp_ieee_invalid_op 0
		.amdhsa_exception_fp_denorm_src 0
		.amdhsa_exception_fp_ieee_div_zero 0
		.amdhsa_exception_fp_ieee_overflow 0
		.amdhsa_exception_fp_ieee_underflow 0
		.amdhsa_exception_fp_ieee_inexact 0
		.amdhsa_exception_int_div_zero 0
	.end_amdhsa_kernel
	.section	.text._Z16sort_keys_kernelI22helper_blocked_stripediLj320ELj1ELj10EEvPKT0_PS1_,"axG",@progbits,_Z16sort_keys_kernelI22helper_blocked_stripediLj320ELj1ELj10EEvPKT0_PS1_,comdat
.Lfunc_end224:
	.size	_Z16sort_keys_kernelI22helper_blocked_stripediLj320ELj1ELj10EEvPKT0_PS1_, .Lfunc_end224-_Z16sort_keys_kernelI22helper_blocked_stripediLj320ELj1ELj10EEvPKT0_PS1_
                                        ; -- End function
	.set _Z16sort_keys_kernelI22helper_blocked_stripediLj320ELj1ELj10EEvPKT0_PS1_.num_vgpr, 27
	.set _Z16sort_keys_kernelI22helper_blocked_stripediLj320ELj1ELj10EEvPKT0_PS1_.num_agpr, 0
	.set _Z16sort_keys_kernelI22helper_blocked_stripediLj320ELj1ELj10EEvPKT0_PS1_.numbered_sgpr, 37
	.set _Z16sort_keys_kernelI22helper_blocked_stripediLj320ELj1ELj10EEvPKT0_PS1_.num_named_barrier, 0
	.set _Z16sort_keys_kernelI22helper_blocked_stripediLj320ELj1ELj10EEvPKT0_PS1_.private_seg_size, 0
	.set _Z16sort_keys_kernelI22helper_blocked_stripediLj320ELj1ELj10EEvPKT0_PS1_.uses_vcc, 1
	.set _Z16sort_keys_kernelI22helper_blocked_stripediLj320ELj1ELj10EEvPKT0_PS1_.uses_flat_scratch, 0
	.set _Z16sort_keys_kernelI22helper_blocked_stripediLj320ELj1ELj10EEvPKT0_PS1_.has_dyn_sized_stack, 0
	.set _Z16sort_keys_kernelI22helper_blocked_stripediLj320ELj1ELj10EEvPKT0_PS1_.has_recursion, 0
	.set _Z16sort_keys_kernelI22helper_blocked_stripediLj320ELj1ELj10EEvPKT0_PS1_.has_indirect_call, 0
	.section	.AMDGPU.csdata,"",@progbits
; Kernel info:
; codeLenInByte = 4004
; TotalNumSgprs: 41
; NumVgprs: 27
; ScratchSize: 0
; MemoryBound: 0
; FloatMode: 240
; IeeeMode: 1
; LDSByteSize: 5152 bytes/workgroup (compile time only)
; SGPRBlocks: 5
; VGPRBlocks: 6
; NumSGPRsForWavesPerEU: 41
; NumVGPRsForWavesPerEU: 27
; Occupancy: 9
; WaveLimiterHint : 0
; COMPUTE_PGM_RSRC2:SCRATCH_EN: 0
; COMPUTE_PGM_RSRC2:USER_SGPR: 6
; COMPUTE_PGM_RSRC2:TRAP_HANDLER: 0
; COMPUTE_PGM_RSRC2:TGID_X_EN: 1
; COMPUTE_PGM_RSRC2:TGID_Y_EN: 0
; COMPUTE_PGM_RSRC2:TGID_Z_EN: 0
; COMPUTE_PGM_RSRC2:TIDIG_COMP_CNT: 2
	.section	.text._Z17sort_pairs_kernelI22helper_blocked_stripediLj320ELj1ELj10EEvPKT0_PS1_,"axG",@progbits,_Z17sort_pairs_kernelI22helper_blocked_stripediLj320ELj1ELj10EEvPKT0_PS1_,comdat
	.protected	_Z17sort_pairs_kernelI22helper_blocked_stripediLj320ELj1ELj10EEvPKT0_PS1_ ; -- Begin function _Z17sort_pairs_kernelI22helper_blocked_stripediLj320ELj1ELj10EEvPKT0_PS1_
	.globl	_Z17sort_pairs_kernelI22helper_blocked_stripediLj320ELj1ELj10EEvPKT0_PS1_
	.p2align	8
	.type	_Z17sort_pairs_kernelI22helper_blocked_stripediLj320ELj1ELj10EEvPKT0_PS1_,@function
_Z17sort_pairs_kernelI22helper_blocked_stripediLj320ELj1ELj10EEvPKT0_PS1_: ; @_Z17sort_pairs_kernelI22helper_blocked_stripediLj320ELj1ELj10EEvPKT0_PS1_
; %bb.0:
	s_load_dwordx4 s[28:31], s[4:5], 0x0
	s_load_dword s26, s[4:5], 0x1c
	s_mul_i32 s0, s6, 0x140
	s_mov_b32 s1, 0
	s_lshl_b64 s[34:35], s[0:1], 2
	s_waitcnt lgkmcnt(0)
	s_add_u32 s0, s28, s34
	s_addc_u32 s1, s29, s35
	v_lshlrev_b32_e32 v3, 2, v0
	global_load_dword v3, v3, s[0:1]
	v_mbcnt_lo_u32_b32 v4, -1, 0
	v_mbcnt_hi_u32_b32 v4, -1, v4
	v_subrev_co_u32_e64 v20, s[6:7], 1, v4
	v_and_b32_e32 v21, 64, v4
	v_cmp_lt_i32_e64 s[24:25], v20, v21
	v_cndmask_b32_e64 v20, v20, v4, s[24:25]
	s_lshr_b32 s24, s26, 16
	s_and_b32 s25, s26, 0xffff
	v_mad_u32_u24 v1, v2, s24, v1
	v_mad_u64_u32 v[1:2], s[24:25], v1, s25, v[0:1]
	v_and_b32_e32 v5, 0x1c0, v0
	v_lshrrev_b32_e32 v16, 4, v0
	v_and_b32_e32 v18, 15, v4
	v_lshlrev_b32_e32 v23, 2, v5
	v_min_u32_e32 v5, 0x100, v5
	v_lshlrev_b32_e32 v15, 4, v0
	v_mul_i32_i24_e32 v17, -12, v0
	v_and_b32_e32 v19, 16, v4
	v_cmp_lt_u32_e64 s[4:5], 31, v4
	v_and_b32_e32 v22, 7, v4
	v_and_b32_e32 v16, 28, v16
	v_cmp_eq_u32_e64 s[8:9], 0, v18
	v_cmp_lt_u32_e64 s[10:11], 1, v18
	v_cmp_lt_u32_e64 s[12:13], 3, v18
	;; [unrolled: 1-line block ×3, first 2 shown]
	v_lshl_add_u32 v18, v4, 2, v23
	v_or_b32_e32 v4, 63, v5
	v_lshrrev_b32_e32 v1, 4, v1
	s_mov_b32 s33, 10
	s_movk_i32 s36, 0xff
	v_mov_b32_e32 v6, 20
	v_mov_b32_e32 v7, 1
	;; [unrolled: 1-line block ×9, first 2 shown]
	v_cmp_gt_u32_e32 vcc, 5, v0
	v_cmp_lt_u32_e64 s[0:1], 63, v0
	v_cmp_eq_u32_e64 s[2:3], 0, v0
	v_add_u32_e32 v17, v15, v17
	v_cmp_eq_u32_e64 s[16:17], 0, v19
	v_cmp_eq_u32_e64 s[18:19], 0, v22
	v_cmp_lt_u32_e64 s[20:21], 1, v22
	v_cmp_lt_u32_e64 s[22:23], 3, v22
	v_add_u32_e32 v19, -4, v16
	v_cmp_eq_u32_e64 s[24:25], v0, v4
	v_lshlrev_b32_e32 v20, 2, v20
	v_and_b32_e32 v21, 0xffffffc, v1
	v_mov_b32_e32 v1, 0
	s_waitcnt vmcnt(0)
	v_add_u32_e32 v22, 1, v3
	v_xor_b32_e32 v23, 0x80000000, v3
	s_branch .LBB225_2
.LBB225_1:                              ;   in Loop: Header=BB225_2 Depth=1
	s_or_b64 exec, exec, s[26:27]
	s_waitcnt lgkmcnt(0)
	v_add_u32_e32 v3, v26, v3
	ds_bpermute_b32 v3, v20, v3
	s_add_i32 s33, s33, -1
	s_cmp_eq_u32 s33, 0
	s_waitcnt lgkmcnt(0)
	v_cndmask_b32_e64 v3, v3, v26, s[6:7]
	v_cndmask_b32_e64 v3, v3, 0, s[2:3]
	v_add_u32_e32 v4, v3, v4
	v_add_u32_e32 v5, v4, v5
	;; [unrolled: 1-line block ×3, first 2 shown]
	ds_write2_b32 v15, v3, v4 offset0:5 offset1:6
	ds_write2_b32 v15, v5, v2 offset0:7 offset1:8
	s_waitcnt lgkmcnt(0)
	s_barrier
	ds_read_b32 v2, v25 offset:20
	v_lshlrev_b32_e32 v3, 2, v24
	s_waitcnt lgkmcnt(0)
	s_barrier
	v_lshl_add_u32 v2, v2, 2, v3
	ds_write_b32 v2, v23
	s_waitcnt lgkmcnt(0)
	s_barrier
	ds_read_b32 v23, v17
	s_waitcnt lgkmcnt(0)
	s_barrier
	ds_write_b32 v2, v22
	s_waitcnt lgkmcnt(0)
	s_barrier
	ds_read_b32 v22, v17
	s_cbranch_scc1 .LBB225_34
.LBB225_2:                              ; =>This Inner Loop Header: Depth=1
	v_and_b32_e32 v2, 1, v23
	v_add_co_u32_e64 v3, s[26:27], -1, v2
	v_addc_co_u32_e64 v5, s[26:27], 0, -1, s[26:27]
	v_cmp_ne_u32_e64 s[26:27], 0, v2
	v_xor_b32_e32 v2, s27, v5
	v_and_b32_e32 v5, exec_hi, v2
	v_lshlrev_b32_e32 v2, 30, v23
	v_xor_b32_e32 v3, s26, v3
	v_cmp_gt_i64_e64 s[26:27], 0, v[1:2]
	v_not_b32_e32 v2, v2
	v_ashrrev_i32_e32 v2, 31, v2
	v_and_b32_e32 v3, exec_lo, v3
	v_xor_b32_e32 v24, s27, v2
	v_xor_b32_e32 v2, s26, v2
	v_and_b32_e32 v3, v3, v2
	v_lshlrev_b32_e32 v2, 29, v23
	v_cmp_gt_i64_e64 s[26:27], 0, v[1:2]
	v_not_b32_e32 v2, v2
	v_ashrrev_i32_e32 v2, 31, v2
	v_and_b32_e32 v5, v5, v24
	v_xor_b32_e32 v24, s27, v2
	v_xor_b32_e32 v2, s26, v2
	v_and_b32_e32 v3, v3, v2
	v_lshlrev_b32_e32 v2, 28, v23
	v_cmp_gt_i64_e64 s[26:27], 0, v[1:2]
	v_not_b32_e32 v2, v2
	v_ashrrev_i32_e32 v2, 31, v2
	v_and_b32_e32 v5, v5, v24
	;; [unrolled: 8-line block ×5, first 2 shown]
	v_xor_b32_e32 v24, s27, v2
	v_xor_b32_e32 v2, s26, v2
	v_and_b32_e32 v5, v5, v24
	v_and_b32_e32 v24, v3, v2
	v_lshlrev_b32_e32 v2, 24, v23
	v_cmp_gt_i64_e64 s[26:27], 0, v[1:2]
	v_not_b32_e32 v2, v2
	v_ashrrev_i32_e32 v2, 31, v2
	v_xor_b32_e32 v3, s27, v2
	v_xor_b32_e32 v2, s26, v2
	v_and_b32_e32 v2, v24, v2
	v_and_b32_e32 v3, v5, v3
	v_mbcnt_lo_u32_b32 v5, v2, 0
	v_mbcnt_hi_u32_b32 v24, v3, v5
	v_cmp_ne_u64_e64 s[26:27], 0, v[2:3]
	v_mul_u32_u24_sdwa v4, v23, v6 dst_sel:DWORD dst_unused:UNUSED_PAD src0_sel:BYTE_0 src1_sel:DWORD
	v_cmp_eq_u32_e64 s[28:29], 0, v24
	s_and_b64 s[28:29], s[26:27], s[28:29]
	v_add_u32_e32 v25, v21, v4
	ds_write2_b32 v15, v1, v1 offset0:5 offset1:6
	ds_write2_b32 v15, v1, v1 offset0:7 offset1:8
	s_waitcnt lgkmcnt(0)
	s_barrier
	; wave barrier
	s_and_saveexec_b64 s[26:27], s[28:29]
; %bb.3:                                ;   in Loop: Header=BB225_2 Depth=1
	v_bcnt_u32_b32 v2, v2, 0
	v_bcnt_u32_b32 v2, v3, v2
	ds_write_b32 v25, v2 offset:20
; %bb.4:                                ;   in Loop: Header=BB225_2 Depth=1
	s_or_b64 exec, exec, s[26:27]
	; wave barrier
	s_waitcnt lgkmcnt(0)
	s_barrier
	ds_read2_b32 v[4:5], v15 offset0:5 offset1:6
	ds_read2_b32 v[2:3], v15 offset0:7 offset1:8
	s_waitcnt lgkmcnt(1)
	v_add_u32_e32 v26, v5, v4
	s_waitcnt lgkmcnt(0)
	v_add3_u32 v3, v26, v2, v3
	s_nop 1
	v_mov_b32_dpp v26, v3 row_shr:1 row_mask:0xf bank_mask:0xf
	v_cndmask_b32_e64 v26, v26, 0, s[8:9]
	v_add_u32_e32 v3, v26, v3
	s_nop 1
	v_mov_b32_dpp v26, v3 row_shr:2 row_mask:0xf bank_mask:0xf
	v_cndmask_b32_e64 v26, 0, v26, s[10:11]
	v_add_u32_e32 v3, v3, v26
	s_nop 1
	v_mov_b32_dpp v26, v3 row_shr:4 row_mask:0xf bank_mask:0xf
	v_cndmask_b32_e64 v26, 0, v26, s[12:13]
	v_add_u32_e32 v3, v3, v26
	s_nop 1
	v_mov_b32_dpp v26, v3 row_shr:8 row_mask:0xf bank_mask:0xf
	v_cndmask_b32_e64 v26, 0, v26, s[14:15]
	v_add_u32_e32 v3, v3, v26
	s_nop 1
	v_mov_b32_dpp v26, v3 row_bcast:15 row_mask:0xf bank_mask:0xf
	v_cndmask_b32_e64 v26, v26, 0, s[16:17]
	v_add_u32_e32 v3, v3, v26
	s_nop 1
	v_mov_b32_dpp v26, v3 row_bcast:31 row_mask:0xf bank_mask:0xf
	v_cndmask_b32_e64 v26, 0, v26, s[4:5]
	v_add_u32_e32 v3, v3, v26
	s_and_saveexec_b64 s[26:27], s[24:25]
; %bb.5:                                ;   in Loop: Header=BB225_2 Depth=1
	ds_write_b32 v16, v3
; %bb.6:                                ;   in Loop: Header=BB225_2 Depth=1
	s_or_b64 exec, exec, s[26:27]
	s_waitcnt lgkmcnt(0)
	s_barrier
	s_and_saveexec_b64 s[26:27], vcc
	s_cbranch_execz .LBB225_8
; %bb.7:                                ;   in Loop: Header=BB225_2 Depth=1
	ds_read_b32 v26, v17
	s_waitcnt lgkmcnt(0)
	s_nop 0
	v_mov_b32_dpp v27, v26 row_shr:1 row_mask:0xf bank_mask:0xf
	v_cndmask_b32_e64 v27, v27, 0, s[18:19]
	v_add_u32_e32 v26, v27, v26
	s_nop 1
	v_mov_b32_dpp v27, v26 row_shr:2 row_mask:0xf bank_mask:0xf
	v_cndmask_b32_e64 v27, 0, v27, s[20:21]
	v_add_u32_e32 v26, v26, v27
	s_nop 1
	v_mov_b32_dpp v27, v26 row_shr:4 row_mask:0xf bank_mask:0xf
	v_cndmask_b32_e64 v27, 0, v27, s[22:23]
	v_add_u32_e32 v26, v26, v27
	ds_write_b32 v17, v26
.LBB225_8:                              ;   in Loop: Header=BB225_2 Depth=1
	s_or_b64 exec, exec, s[26:27]
	v_mov_b32_e32 v26, 0
	s_waitcnt lgkmcnt(0)
	s_barrier
	s_and_saveexec_b64 s[26:27], s[0:1]
; %bb.9:                                ;   in Loop: Header=BB225_2 Depth=1
	ds_read_b32 v26, v19
; %bb.10:                               ;   in Loop: Header=BB225_2 Depth=1
	s_or_b64 exec, exec, s[26:27]
	s_waitcnt lgkmcnt(0)
	v_add_u32_e32 v3, v26, v3
	ds_bpermute_b32 v3, v20, v3
	s_waitcnt lgkmcnt(0)
	v_cndmask_b32_e64 v3, v3, v26, s[6:7]
	v_cndmask_b32_e64 v3, v3, 0, s[2:3]
	v_add_u32_e32 v4, v3, v4
	v_add_u32_e32 v5, v4, v5
	;; [unrolled: 1-line block ×3, first 2 shown]
	ds_write2_b32 v15, v3, v4 offset0:5 offset1:6
	ds_write2_b32 v15, v5, v2 offset0:7 offset1:8
	s_waitcnt lgkmcnt(0)
	s_barrier
	ds_read_b32 v2, v25 offset:20
	v_lshlrev_b32_e32 v3, 2, v24
	s_waitcnt lgkmcnt(0)
	s_barrier
	v_lshl_add_u32 v2, v2, 2, v3
	ds_write_b32 v2, v23
	s_waitcnt lgkmcnt(0)
	s_barrier
	ds_read_b32 v23, v18
	s_waitcnt lgkmcnt(0)
	s_barrier
	ds_write_b32 v2, v22
	v_lshrrev_b32_e32 v3, 8, v23
	v_and_b32_e32 v2, 1, v3
	v_add_co_u32_e64 v5, s[26:27], -1, v2
	v_addc_co_u32_e64 v24, s[26:27], 0, -1, s[26:27]
	v_cmp_ne_u32_e64 s[26:27], 0, v2
	v_xor_b32_e32 v2, s27, v24
	v_and_b32_e32 v24, exec_hi, v2
	v_lshlrev_b32_e32 v2, 30, v3
	v_xor_b32_e32 v5, s26, v5
	v_cmp_gt_i64_e64 s[26:27], 0, v[1:2]
	v_not_b32_e32 v2, v2
	v_ashrrev_i32_e32 v2, 31, v2
	v_and_b32_e32 v5, exec_lo, v5
	v_xor_b32_e32 v25, s27, v2
	v_xor_b32_e32 v2, s26, v2
	v_and_b32_e32 v5, v5, v2
	v_lshlrev_b32_e32 v2, 29, v3
	v_cmp_gt_i64_e64 s[26:27], 0, v[1:2]
	v_not_b32_e32 v2, v2
	v_ashrrev_i32_e32 v2, 31, v2
	v_and_b32_e32 v24, v24, v25
	v_xor_b32_e32 v25, s27, v2
	v_xor_b32_e32 v2, s26, v2
	v_and_b32_e32 v5, v5, v2
	v_lshlrev_b32_e32 v2, 28, v3
	v_cmp_gt_i64_e64 s[26:27], 0, v[1:2]
	v_not_b32_e32 v2, v2
	v_ashrrev_i32_e32 v2, 31, v2
	v_and_b32_e32 v24, v24, v25
	;; [unrolled: 8-line block ×5, first 2 shown]
	v_xor_b32_e32 v25, s27, v2
	v_xor_b32_e32 v2, s26, v2
	v_and_b32_e32 v5, v5, v2
	v_lshlrev_b32_e32 v2, 24, v3
	v_cmp_gt_i64_e64 s[26:27], 0, v[1:2]
	v_not_b32_e32 v2, v2
	v_ashrrev_i32_e32 v2, 31, v2
	v_mul_u32_u24_sdwa v4, v3, v6 dst_sel:DWORD dst_unused:UNUSED_PAD src0_sel:BYTE_0 src1_sel:DWORD
	v_xor_b32_e32 v3, s27, v2
	v_xor_b32_e32 v2, s26, v2
	s_waitcnt lgkmcnt(0)
	s_barrier
	ds_read_b32 v22, v18
	v_and_b32_e32 v24, v24, v25
	v_and_b32_e32 v2, v5, v2
	;; [unrolled: 1-line block ×3, first 2 shown]
	v_mbcnt_lo_u32_b32 v5, v2, 0
	v_mbcnt_hi_u32_b32 v24, v3, v5
	v_cmp_ne_u64_e64 s[26:27], 0, v[2:3]
	v_cmp_eq_u32_e64 s[28:29], 0, v24
	s_and_b64 s[28:29], s[26:27], s[28:29]
	v_add_u32_e32 v25, v21, v4
	s_waitcnt lgkmcnt(0)
	s_barrier
	ds_write2_b32 v15, v1, v1 offset0:5 offset1:6
	ds_write2_b32 v15, v1, v1 offset0:7 offset1:8
	s_waitcnt lgkmcnt(0)
	s_barrier
	; wave barrier
	s_and_saveexec_b64 s[26:27], s[28:29]
; %bb.11:                               ;   in Loop: Header=BB225_2 Depth=1
	v_bcnt_u32_b32 v2, v2, 0
	v_bcnt_u32_b32 v2, v3, v2
	ds_write_b32 v25, v2 offset:20
; %bb.12:                               ;   in Loop: Header=BB225_2 Depth=1
	s_or_b64 exec, exec, s[26:27]
	; wave barrier
	s_waitcnt lgkmcnt(0)
	s_barrier
	ds_read2_b32 v[4:5], v15 offset0:5 offset1:6
	ds_read2_b32 v[2:3], v15 offset0:7 offset1:8
	s_waitcnt lgkmcnt(1)
	v_add_u32_e32 v26, v5, v4
	s_waitcnt lgkmcnt(0)
	v_add3_u32 v3, v26, v2, v3
	s_nop 1
	v_mov_b32_dpp v26, v3 row_shr:1 row_mask:0xf bank_mask:0xf
	v_cndmask_b32_e64 v26, v26, 0, s[8:9]
	v_add_u32_e32 v3, v26, v3
	s_nop 1
	v_mov_b32_dpp v26, v3 row_shr:2 row_mask:0xf bank_mask:0xf
	v_cndmask_b32_e64 v26, 0, v26, s[10:11]
	v_add_u32_e32 v3, v3, v26
	;; [unrolled: 4-line block ×4, first 2 shown]
	s_nop 1
	v_mov_b32_dpp v26, v3 row_bcast:15 row_mask:0xf bank_mask:0xf
	v_cndmask_b32_e64 v26, v26, 0, s[16:17]
	v_add_u32_e32 v3, v3, v26
	s_nop 1
	v_mov_b32_dpp v26, v3 row_bcast:31 row_mask:0xf bank_mask:0xf
	v_cndmask_b32_e64 v26, 0, v26, s[4:5]
	v_add_u32_e32 v3, v3, v26
	s_and_saveexec_b64 s[26:27], s[24:25]
; %bb.13:                               ;   in Loop: Header=BB225_2 Depth=1
	ds_write_b32 v16, v3
; %bb.14:                               ;   in Loop: Header=BB225_2 Depth=1
	s_or_b64 exec, exec, s[26:27]
	s_waitcnt lgkmcnt(0)
	s_barrier
	s_and_saveexec_b64 s[26:27], vcc
	s_cbranch_execz .LBB225_16
; %bb.15:                               ;   in Loop: Header=BB225_2 Depth=1
	ds_read_b32 v26, v17
	s_waitcnt lgkmcnt(0)
	s_nop 0
	v_mov_b32_dpp v27, v26 row_shr:1 row_mask:0xf bank_mask:0xf
	v_cndmask_b32_e64 v27, v27, 0, s[18:19]
	v_add_u32_e32 v26, v27, v26
	s_nop 1
	v_mov_b32_dpp v27, v26 row_shr:2 row_mask:0xf bank_mask:0xf
	v_cndmask_b32_e64 v27, 0, v27, s[20:21]
	v_add_u32_e32 v26, v26, v27
	;; [unrolled: 4-line block ×3, first 2 shown]
	ds_write_b32 v17, v26
.LBB225_16:                             ;   in Loop: Header=BB225_2 Depth=1
	s_or_b64 exec, exec, s[26:27]
	v_mov_b32_e32 v26, 0
	s_waitcnt lgkmcnt(0)
	s_barrier
	s_and_saveexec_b64 s[26:27], s[0:1]
; %bb.17:                               ;   in Loop: Header=BB225_2 Depth=1
	ds_read_b32 v26, v19
; %bb.18:                               ;   in Loop: Header=BB225_2 Depth=1
	s_or_b64 exec, exec, s[26:27]
	s_waitcnt lgkmcnt(0)
	v_add_u32_e32 v3, v26, v3
	ds_bpermute_b32 v3, v20, v3
	s_waitcnt lgkmcnt(0)
	v_cndmask_b32_e64 v3, v3, v26, s[6:7]
	v_cndmask_b32_e64 v3, v3, 0, s[2:3]
	v_add_u32_e32 v4, v3, v4
	v_add_u32_e32 v5, v4, v5
	;; [unrolled: 1-line block ×3, first 2 shown]
	ds_write2_b32 v15, v3, v4 offset0:5 offset1:6
	ds_write2_b32 v15, v5, v2 offset0:7 offset1:8
	s_waitcnt lgkmcnt(0)
	s_barrier
	ds_read_b32 v2, v25 offset:20
	v_lshlrev_b32_e32 v3, 2, v24
	s_waitcnt lgkmcnt(0)
	s_barrier
	v_lshl_add_u32 v2, v2, 2, v3
	ds_write_b32 v2, v23
	s_waitcnt lgkmcnt(0)
	s_barrier
	ds_read_b32 v23, v18
	s_waitcnt lgkmcnt(0)
	s_barrier
	ds_write_b32 v2, v22
	v_and_b32_sdwa v2, v23, s36 dst_sel:DWORD dst_unused:UNUSED_PAD src0_sel:WORD_1 src1_sel:DWORD
	v_mul_u32_u24_e32 v4, 20, v2
	v_and_b32_sdwa v2, v23, v7 dst_sel:DWORD dst_unused:UNUSED_PAD src0_sel:WORD_1 src1_sel:DWORD
	v_add_co_u32_e64 v3, s[26:27], -1, v2
	v_addc_co_u32_e64 v5, s[26:27], 0, -1, s[26:27]
	v_cmp_ne_u32_e64 s[26:27], 0, v2
	v_xor_b32_e32 v2, s27, v5
	v_and_b32_e32 v5, exec_hi, v2
	v_lshlrev_b32_sdwa v2, v8, v23 dst_sel:DWORD dst_unused:UNUSED_PAD src0_sel:DWORD src1_sel:WORD_1
	v_xor_b32_e32 v3, s26, v3
	v_cmp_gt_i64_e64 s[26:27], 0, v[1:2]
	v_not_b32_e32 v2, v2
	v_ashrrev_i32_e32 v2, 31, v2
	v_and_b32_e32 v3, exec_lo, v3
	v_xor_b32_e32 v24, s27, v2
	v_xor_b32_e32 v2, s26, v2
	v_and_b32_e32 v3, v3, v2
	v_lshlrev_b32_sdwa v2, v9, v23 dst_sel:DWORD dst_unused:UNUSED_PAD src0_sel:DWORD src1_sel:WORD_1
	v_cmp_gt_i64_e64 s[26:27], 0, v[1:2]
	v_not_b32_e32 v2, v2
	v_ashrrev_i32_e32 v2, 31, v2
	v_and_b32_e32 v5, v5, v24
	v_xor_b32_e32 v24, s27, v2
	v_xor_b32_e32 v2, s26, v2
	v_and_b32_e32 v3, v3, v2
	v_lshlrev_b32_sdwa v2, v10, v23 dst_sel:DWORD dst_unused:UNUSED_PAD src0_sel:DWORD src1_sel:WORD_1
	v_cmp_gt_i64_e64 s[26:27], 0, v[1:2]
	v_not_b32_e32 v2, v2
	v_ashrrev_i32_e32 v2, 31, v2
	v_and_b32_e32 v5, v5, v24
	;; [unrolled: 8-line block ×5, first 2 shown]
	v_xor_b32_e32 v24, s27, v2
	v_xor_b32_e32 v2, s26, v2
	v_and_b32_e32 v5, v5, v24
	v_and_b32_e32 v24, v3, v2
	v_lshlrev_b32_sdwa v2, v14, v23 dst_sel:DWORD dst_unused:UNUSED_PAD src0_sel:DWORD src1_sel:WORD_1
	v_cmp_gt_i64_e64 s[26:27], 0, v[1:2]
	v_not_b32_e32 v2, v2
	v_ashrrev_i32_e32 v2, 31, v2
	v_xor_b32_e32 v3, s27, v2
	v_xor_b32_e32 v2, s26, v2
	s_waitcnt lgkmcnt(0)
	s_barrier
	ds_read_b32 v22, v18
	v_and_b32_e32 v2, v24, v2
	v_and_b32_e32 v3, v5, v3
	v_mbcnt_lo_u32_b32 v5, v2, 0
	v_mbcnt_hi_u32_b32 v24, v3, v5
	v_cmp_ne_u64_e64 s[26:27], 0, v[2:3]
	v_cmp_eq_u32_e64 s[28:29], 0, v24
	s_and_b64 s[28:29], s[26:27], s[28:29]
	v_add_u32_e32 v25, v21, v4
	s_waitcnt lgkmcnt(0)
	s_barrier
	ds_write2_b32 v15, v1, v1 offset0:5 offset1:6
	ds_write2_b32 v15, v1, v1 offset0:7 offset1:8
	s_waitcnt lgkmcnt(0)
	s_barrier
	; wave barrier
	s_and_saveexec_b64 s[26:27], s[28:29]
; %bb.19:                               ;   in Loop: Header=BB225_2 Depth=1
	v_bcnt_u32_b32 v2, v2, 0
	v_bcnt_u32_b32 v2, v3, v2
	ds_write_b32 v25, v2 offset:20
; %bb.20:                               ;   in Loop: Header=BB225_2 Depth=1
	s_or_b64 exec, exec, s[26:27]
	; wave barrier
	s_waitcnt lgkmcnt(0)
	s_barrier
	ds_read2_b32 v[4:5], v15 offset0:5 offset1:6
	ds_read2_b32 v[2:3], v15 offset0:7 offset1:8
	s_waitcnt lgkmcnt(1)
	v_add_u32_e32 v26, v5, v4
	s_waitcnt lgkmcnt(0)
	v_add3_u32 v3, v26, v2, v3
	s_nop 1
	v_mov_b32_dpp v26, v3 row_shr:1 row_mask:0xf bank_mask:0xf
	v_cndmask_b32_e64 v26, v26, 0, s[8:9]
	v_add_u32_e32 v3, v26, v3
	s_nop 1
	v_mov_b32_dpp v26, v3 row_shr:2 row_mask:0xf bank_mask:0xf
	v_cndmask_b32_e64 v26, 0, v26, s[10:11]
	v_add_u32_e32 v3, v3, v26
	;; [unrolled: 4-line block ×4, first 2 shown]
	s_nop 1
	v_mov_b32_dpp v26, v3 row_bcast:15 row_mask:0xf bank_mask:0xf
	v_cndmask_b32_e64 v26, v26, 0, s[16:17]
	v_add_u32_e32 v3, v3, v26
	s_nop 1
	v_mov_b32_dpp v26, v3 row_bcast:31 row_mask:0xf bank_mask:0xf
	v_cndmask_b32_e64 v26, 0, v26, s[4:5]
	v_add_u32_e32 v3, v3, v26
	s_and_saveexec_b64 s[26:27], s[24:25]
; %bb.21:                               ;   in Loop: Header=BB225_2 Depth=1
	ds_write_b32 v16, v3
; %bb.22:                               ;   in Loop: Header=BB225_2 Depth=1
	s_or_b64 exec, exec, s[26:27]
	s_waitcnt lgkmcnt(0)
	s_barrier
	s_and_saveexec_b64 s[26:27], vcc
	s_cbranch_execz .LBB225_24
; %bb.23:                               ;   in Loop: Header=BB225_2 Depth=1
	ds_read_b32 v26, v17
	s_waitcnt lgkmcnt(0)
	s_nop 0
	v_mov_b32_dpp v27, v26 row_shr:1 row_mask:0xf bank_mask:0xf
	v_cndmask_b32_e64 v27, v27, 0, s[18:19]
	v_add_u32_e32 v26, v27, v26
	s_nop 1
	v_mov_b32_dpp v27, v26 row_shr:2 row_mask:0xf bank_mask:0xf
	v_cndmask_b32_e64 v27, 0, v27, s[20:21]
	v_add_u32_e32 v26, v26, v27
	;; [unrolled: 4-line block ×3, first 2 shown]
	ds_write_b32 v17, v26
.LBB225_24:                             ;   in Loop: Header=BB225_2 Depth=1
	s_or_b64 exec, exec, s[26:27]
	v_mov_b32_e32 v26, 0
	s_waitcnt lgkmcnt(0)
	s_barrier
	s_and_saveexec_b64 s[26:27], s[0:1]
; %bb.25:                               ;   in Loop: Header=BB225_2 Depth=1
	ds_read_b32 v26, v19
; %bb.26:                               ;   in Loop: Header=BB225_2 Depth=1
	s_or_b64 exec, exec, s[26:27]
	s_waitcnt lgkmcnt(0)
	v_add_u32_e32 v3, v26, v3
	ds_bpermute_b32 v3, v20, v3
	s_waitcnt lgkmcnt(0)
	v_cndmask_b32_e64 v3, v3, v26, s[6:7]
	v_cndmask_b32_e64 v3, v3, 0, s[2:3]
	v_add_u32_e32 v4, v3, v4
	v_add_u32_e32 v5, v4, v5
	;; [unrolled: 1-line block ×3, first 2 shown]
	ds_write2_b32 v15, v3, v4 offset0:5 offset1:6
	ds_write2_b32 v15, v5, v2 offset0:7 offset1:8
	s_waitcnt lgkmcnt(0)
	s_barrier
	ds_read_b32 v2, v25 offset:20
	v_lshlrev_b32_e32 v3, 2, v24
	s_waitcnt lgkmcnt(0)
	s_barrier
	v_lshl_add_u32 v2, v2, 2, v3
	ds_write_b32 v2, v23
	s_waitcnt lgkmcnt(0)
	s_barrier
	ds_read_b32 v23, v18
	s_waitcnt lgkmcnt(0)
	s_barrier
	ds_write_b32 v2, v22
	v_and_b32_sdwa v2, v23, v7 dst_sel:DWORD dst_unused:UNUSED_PAD src0_sel:BYTE_3 src1_sel:DWORD
	v_add_co_u32_e64 v3, s[26:27], -1, v2
	v_addc_co_u32_e64 v5, s[26:27], 0, -1, s[26:27]
	v_cmp_ne_u32_e64 s[26:27], 0, v2
	v_xor_b32_e32 v2, s27, v5
	v_and_b32_e32 v5, exec_hi, v2
	v_lshlrev_b32_sdwa v2, v8, v23 dst_sel:DWORD dst_unused:UNUSED_PAD src0_sel:DWORD src1_sel:BYTE_3
	v_xor_b32_e32 v3, s26, v3
	v_cmp_gt_i64_e64 s[26:27], 0, v[1:2]
	v_not_b32_e32 v2, v2
	v_ashrrev_i32_e32 v2, 31, v2
	v_and_b32_e32 v3, exec_lo, v3
	v_xor_b32_e32 v24, s27, v2
	v_xor_b32_e32 v2, s26, v2
	v_and_b32_e32 v3, v3, v2
	v_lshlrev_b32_sdwa v2, v9, v23 dst_sel:DWORD dst_unused:UNUSED_PAD src0_sel:DWORD src1_sel:BYTE_3
	v_cmp_gt_i64_e64 s[26:27], 0, v[1:2]
	v_not_b32_e32 v2, v2
	v_ashrrev_i32_e32 v2, 31, v2
	v_and_b32_e32 v5, v5, v24
	v_xor_b32_e32 v24, s27, v2
	v_xor_b32_e32 v2, s26, v2
	v_and_b32_e32 v3, v3, v2
	v_lshlrev_b32_sdwa v2, v10, v23 dst_sel:DWORD dst_unused:UNUSED_PAD src0_sel:DWORD src1_sel:BYTE_3
	v_cmp_gt_i64_e64 s[26:27], 0, v[1:2]
	v_not_b32_e32 v2, v2
	v_ashrrev_i32_e32 v2, 31, v2
	v_and_b32_e32 v5, v5, v24
	;; [unrolled: 8-line block ×5, first 2 shown]
	v_xor_b32_e32 v24, s27, v2
	v_xor_b32_e32 v2, s26, v2
	v_and_b32_e32 v5, v5, v24
	v_and_b32_e32 v24, v3, v2
	v_lshlrev_b32_sdwa v2, v14, v23 dst_sel:DWORD dst_unused:UNUSED_PAD src0_sel:DWORD src1_sel:BYTE_3
	v_cmp_gt_i64_e64 s[26:27], 0, v[1:2]
	v_not_b32_e32 v2, v2
	v_ashrrev_i32_e32 v2, 31, v2
	v_xor_b32_e32 v3, s27, v2
	v_xor_b32_e32 v2, s26, v2
	s_waitcnt lgkmcnt(0)
	s_barrier
	ds_read_b32 v22, v18
	v_and_b32_e32 v2, v24, v2
	v_and_b32_e32 v3, v5, v3
	v_mbcnt_lo_u32_b32 v5, v2, 0
	v_mbcnt_hi_u32_b32 v24, v3, v5
	v_cmp_ne_u64_e64 s[26:27], 0, v[2:3]
	v_mul_u32_u24_sdwa v4, v23, v6 dst_sel:DWORD dst_unused:UNUSED_PAD src0_sel:BYTE_3 src1_sel:DWORD
	v_cmp_eq_u32_e64 s[28:29], 0, v24
	s_and_b64 s[28:29], s[26:27], s[28:29]
	v_add_u32_e32 v25, v21, v4
	s_waitcnt lgkmcnt(0)
	s_barrier
	ds_write2_b32 v15, v1, v1 offset0:5 offset1:6
	ds_write2_b32 v15, v1, v1 offset0:7 offset1:8
	s_waitcnt lgkmcnt(0)
	s_barrier
	; wave barrier
	s_and_saveexec_b64 s[26:27], s[28:29]
; %bb.27:                               ;   in Loop: Header=BB225_2 Depth=1
	v_bcnt_u32_b32 v2, v2, 0
	v_bcnt_u32_b32 v2, v3, v2
	ds_write_b32 v25, v2 offset:20
; %bb.28:                               ;   in Loop: Header=BB225_2 Depth=1
	s_or_b64 exec, exec, s[26:27]
	; wave barrier
	s_waitcnt lgkmcnt(0)
	s_barrier
	ds_read2_b32 v[4:5], v15 offset0:5 offset1:6
	ds_read2_b32 v[2:3], v15 offset0:7 offset1:8
	s_waitcnt lgkmcnt(1)
	v_add_u32_e32 v26, v5, v4
	s_waitcnt lgkmcnt(0)
	v_add3_u32 v3, v26, v2, v3
	s_nop 1
	v_mov_b32_dpp v26, v3 row_shr:1 row_mask:0xf bank_mask:0xf
	v_cndmask_b32_e64 v26, v26, 0, s[8:9]
	v_add_u32_e32 v3, v26, v3
	s_nop 1
	v_mov_b32_dpp v26, v3 row_shr:2 row_mask:0xf bank_mask:0xf
	v_cndmask_b32_e64 v26, 0, v26, s[10:11]
	v_add_u32_e32 v3, v3, v26
	;; [unrolled: 4-line block ×4, first 2 shown]
	s_nop 1
	v_mov_b32_dpp v26, v3 row_bcast:15 row_mask:0xf bank_mask:0xf
	v_cndmask_b32_e64 v26, v26, 0, s[16:17]
	v_add_u32_e32 v3, v3, v26
	s_nop 1
	v_mov_b32_dpp v26, v3 row_bcast:31 row_mask:0xf bank_mask:0xf
	v_cndmask_b32_e64 v26, 0, v26, s[4:5]
	v_add_u32_e32 v3, v3, v26
	s_and_saveexec_b64 s[26:27], s[24:25]
; %bb.29:                               ;   in Loop: Header=BB225_2 Depth=1
	ds_write_b32 v16, v3
; %bb.30:                               ;   in Loop: Header=BB225_2 Depth=1
	s_or_b64 exec, exec, s[26:27]
	s_waitcnt lgkmcnt(0)
	s_barrier
	s_and_saveexec_b64 s[26:27], vcc
	s_cbranch_execz .LBB225_32
; %bb.31:                               ;   in Loop: Header=BB225_2 Depth=1
	ds_read_b32 v26, v17
	s_waitcnt lgkmcnt(0)
	s_nop 0
	v_mov_b32_dpp v27, v26 row_shr:1 row_mask:0xf bank_mask:0xf
	v_cndmask_b32_e64 v27, v27, 0, s[18:19]
	v_add_u32_e32 v26, v27, v26
	s_nop 1
	v_mov_b32_dpp v27, v26 row_shr:2 row_mask:0xf bank_mask:0xf
	v_cndmask_b32_e64 v27, 0, v27, s[20:21]
	v_add_u32_e32 v26, v26, v27
	;; [unrolled: 4-line block ×3, first 2 shown]
	ds_write_b32 v17, v26
.LBB225_32:                             ;   in Loop: Header=BB225_2 Depth=1
	s_or_b64 exec, exec, s[26:27]
	v_mov_b32_e32 v26, 0
	s_waitcnt lgkmcnt(0)
	s_barrier
	s_and_saveexec_b64 s[26:27], s[0:1]
	s_cbranch_execz .LBB225_1
; %bb.33:                               ;   in Loop: Header=BB225_2 Depth=1
	ds_read_b32 v26, v19
	s_branch .LBB225_1
.LBB225_34:
	s_brev_b32 s0, 1
	s_waitcnt lgkmcnt(0)
	v_add3_u32 v1, v22, v23, s0
	s_add_u32 s0, s30, s34
	s_addc_u32 s1, s31, s35
	v_lshlrev_b32_e32 v0, 2, v0
	global_store_dword v0, v1, s[0:1]
	s_endpgm
	.section	.rodata,"a",@progbits
	.p2align	6, 0x0
	.amdhsa_kernel _Z17sort_pairs_kernelI22helper_blocked_stripediLj320ELj1ELj10EEvPKT0_PS1_
		.amdhsa_group_segment_fixed_size 5152
		.amdhsa_private_segment_fixed_size 0
		.amdhsa_kernarg_size 272
		.amdhsa_user_sgpr_count 6
		.amdhsa_user_sgpr_private_segment_buffer 1
		.amdhsa_user_sgpr_dispatch_ptr 0
		.amdhsa_user_sgpr_queue_ptr 0
		.amdhsa_user_sgpr_kernarg_segment_ptr 1
		.amdhsa_user_sgpr_dispatch_id 0
		.amdhsa_user_sgpr_flat_scratch_init 0
		.amdhsa_user_sgpr_private_segment_size 0
		.amdhsa_uses_dynamic_stack 0
		.amdhsa_system_sgpr_private_segment_wavefront_offset 0
		.amdhsa_system_sgpr_workgroup_id_x 1
		.amdhsa_system_sgpr_workgroup_id_y 0
		.amdhsa_system_sgpr_workgroup_id_z 0
		.amdhsa_system_sgpr_workgroup_info 0
		.amdhsa_system_vgpr_workitem_id 2
		.amdhsa_next_free_vgpr 28
		.amdhsa_next_free_sgpr 37
		.amdhsa_reserve_vcc 1
		.amdhsa_reserve_flat_scratch 0
		.amdhsa_float_round_mode_32 0
		.amdhsa_float_round_mode_16_64 0
		.amdhsa_float_denorm_mode_32 3
		.amdhsa_float_denorm_mode_16_64 3
		.amdhsa_dx10_clamp 1
		.amdhsa_ieee_mode 1
		.amdhsa_fp16_overflow 0
		.amdhsa_exception_fp_ieee_invalid_op 0
		.amdhsa_exception_fp_denorm_src 0
		.amdhsa_exception_fp_ieee_div_zero 0
		.amdhsa_exception_fp_ieee_overflow 0
		.amdhsa_exception_fp_ieee_underflow 0
		.amdhsa_exception_fp_ieee_inexact 0
		.amdhsa_exception_int_div_zero 0
	.end_amdhsa_kernel
	.section	.text._Z17sort_pairs_kernelI22helper_blocked_stripediLj320ELj1ELj10EEvPKT0_PS1_,"axG",@progbits,_Z17sort_pairs_kernelI22helper_blocked_stripediLj320ELj1ELj10EEvPKT0_PS1_,comdat
.Lfunc_end225:
	.size	_Z17sort_pairs_kernelI22helper_blocked_stripediLj320ELj1ELj10EEvPKT0_PS1_, .Lfunc_end225-_Z17sort_pairs_kernelI22helper_blocked_stripediLj320ELj1ELj10EEvPKT0_PS1_
                                        ; -- End function
	.set _Z17sort_pairs_kernelI22helper_blocked_stripediLj320ELj1ELj10EEvPKT0_PS1_.num_vgpr, 28
	.set _Z17sort_pairs_kernelI22helper_blocked_stripediLj320ELj1ELj10EEvPKT0_PS1_.num_agpr, 0
	.set _Z17sort_pairs_kernelI22helper_blocked_stripediLj320ELj1ELj10EEvPKT0_PS1_.numbered_sgpr, 37
	.set _Z17sort_pairs_kernelI22helper_blocked_stripediLj320ELj1ELj10EEvPKT0_PS1_.num_named_barrier, 0
	.set _Z17sort_pairs_kernelI22helper_blocked_stripediLj320ELj1ELj10EEvPKT0_PS1_.private_seg_size, 0
	.set _Z17sort_pairs_kernelI22helper_blocked_stripediLj320ELj1ELj10EEvPKT0_PS1_.uses_vcc, 1
	.set _Z17sort_pairs_kernelI22helper_blocked_stripediLj320ELj1ELj10EEvPKT0_PS1_.uses_flat_scratch, 0
	.set _Z17sort_pairs_kernelI22helper_blocked_stripediLj320ELj1ELj10EEvPKT0_PS1_.has_dyn_sized_stack, 0
	.set _Z17sort_pairs_kernelI22helper_blocked_stripediLj320ELj1ELj10EEvPKT0_PS1_.has_recursion, 0
	.set _Z17sort_pairs_kernelI22helper_blocked_stripediLj320ELj1ELj10EEvPKT0_PS1_.has_indirect_call, 0
	.section	.AMDGPU.csdata,"",@progbits
; Kernel info:
; codeLenInByte = 4136
; TotalNumSgprs: 41
; NumVgprs: 28
; ScratchSize: 0
; MemoryBound: 0
; FloatMode: 240
; IeeeMode: 1
; LDSByteSize: 5152 bytes/workgroup (compile time only)
; SGPRBlocks: 5
; VGPRBlocks: 6
; NumSGPRsForWavesPerEU: 41
; NumVGPRsForWavesPerEU: 28
; Occupancy: 9
; WaveLimiterHint : 0
; COMPUTE_PGM_RSRC2:SCRATCH_EN: 0
; COMPUTE_PGM_RSRC2:USER_SGPR: 6
; COMPUTE_PGM_RSRC2:TRAP_HANDLER: 0
; COMPUTE_PGM_RSRC2:TGID_X_EN: 1
; COMPUTE_PGM_RSRC2:TGID_Y_EN: 0
; COMPUTE_PGM_RSRC2:TGID_Z_EN: 0
; COMPUTE_PGM_RSRC2:TIDIG_COMP_CNT: 2
	.section	.text._Z16sort_keys_kernelI22helper_blocked_stripediLj320ELj3ELj10EEvPKT0_PS1_,"axG",@progbits,_Z16sort_keys_kernelI22helper_blocked_stripediLj320ELj3ELj10EEvPKT0_PS1_,comdat
	.protected	_Z16sort_keys_kernelI22helper_blocked_stripediLj320ELj3ELj10EEvPKT0_PS1_ ; -- Begin function _Z16sort_keys_kernelI22helper_blocked_stripediLj320ELj3ELj10EEvPKT0_PS1_
	.globl	_Z16sort_keys_kernelI22helper_blocked_stripediLj320ELj3ELj10EEvPKT0_PS1_
	.p2align	8
	.type	_Z16sort_keys_kernelI22helper_blocked_stripediLj320ELj3ELj10EEvPKT0_PS1_,@function
_Z16sort_keys_kernelI22helper_blocked_stripediLj320ELj3ELj10EEvPKT0_PS1_: ; @_Z16sort_keys_kernelI22helper_blocked_stripediLj320ELj3ELj10EEvPKT0_PS1_
; %bb.0:
	s_load_dwordx4 s[28:31], s[4:5], 0x0
	s_load_dword s2, s[4:5], 0x1c
	s_mul_i32 s34, s6, 0x3c0
	s_mov_b32 s35, 0
	s_lshl_b64 s[36:37], s[34:35], 2
	s_waitcnt lgkmcnt(0)
	s_add_u32 s0, s28, s36
	v_mul_u32_u24_e32 v3, 3, v0
	s_addc_u32 s1, s29, s37
	v_lshlrev_b32_e32 v3, 2, v3
	global_load_dwordx3 v[3:5], v3, s[0:1]
	s_lshr_b32 s0, s2, 16
	v_mbcnt_lo_u32_b32 v6, -1, 0
	s_and_b32 s1, s2, 0xffff
	v_mad_u32_u24 v1, v2, s0, v1
	v_mbcnt_hi_u32_b32 v12, -1, v6
	v_mad_u64_u32 v[1:2], s[0:1], v1, s1, v[0:1]
	v_and_b32_e32 v2, 15, v12
	v_cmp_eq_u32_e64 s[0:1], 0, v2
	v_cmp_lt_u32_e64 s[2:3], 1, v2
	v_cmp_lt_u32_e64 s[4:5], 3, v2
	;; [unrolled: 1-line block ×3, first 2 shown]
	v_and_b32_e32 v2, 16, v12
	v_cmp_eq_u32_e64 s[8:9], 0, v2
	v_and_b32_e32 v2, 0x1c0, v0
	v_min_u32_e32 v9, 0x100, v2
	v_lshrrev_b32_e32 v10, 6, v0
	v_or_b32_e32 v9, 63, v9
	v_mul_u32_u24_e32 v6, 0xc0, v10
	v_cmp_eq_u32_e64 s[12:13], v0, v9
	v_subrev_co_u32_e64 v9, s[18:19], 1, v12
	v_and_b32_e32 v11, 64, v12
	v_lshlrev_b32_e32 v7, 2, v6
	v_cmp_lt_i32_e32 vcc, v9, v11
	v_mad_u32_u24 v6, v12, 12, v7
	v_lshlrev_b32_e32 v14, 2, v12
	v_cmp_lt_u32_e64 s[10:11], 31, v12
	v_cndmask_b32_e32 v9, v9, v12, vcc
	v_lshlrev_b32_e32 v10, 2, v10
	v_and_b32_e32 v12, 7, v12
	v_mul_u32_u24_e32 v2, 12, v2
	v_lshrrev_b32_e32 v1, 4, v1
	v_add_u32_e32 v7, v14, v7
	v_lshlrev_b32_e32 v8, 4, v0
	v_cmp_gt_u32_e64 s[14:15], 5, v0
	v_cmp_lt_u32_e64 s[16:17], 63, v0
	v_lshlrev_b32_e32 v9, 2, v9
	v_cmp_eq_u32_e64 s[20:21], 0, v0
	v_mul_i32_i24_e32 v11, -12, v0
	v_cmp_eq_u32_e64 s[22:23], 0, v12
	v_cmp_lt_u32_e64 s[24:25], 1, v12
	v_cmp_lt_u32_e64 s[26:27], 3, v12
	v_add_u32_e32 v12, -4, v10
	v_and_b32_e32 v13, 0xffffffc, v1
	v_mov_b32_e32 v1, 0
	v_add_u32_e32 v14, v14, v2
	v_mov_b32_e32 v15, 20
	s_branch .LBB226_2
.LBB226_1:                              ;   in Loop: Header=BB226_2 Depth=1
	v_lshlrev_b32_e32 v2, 2, v20
	s_barrier
	ds_write_b32 v2, v19
	v_lshlrev_b32_e32 v2, 2, v5
	ds_write_b32 v2, v17
	v_lshlrev_b32_e32 v2, 2, v4
	ds_write_b32 v2, v16
	v_add_u32_e32 v2, v8, v11
	s_waitcnt lgkmcnt(0)
	s_barrier
	ds_read2st64_b32 v[3:4], v2 offset1:5
	ds_read_b32 v2, v2 offset:2560
	s_add_i32 s35, s35, 1
	s_cmp_eq_u32 s35, 10
	s_waitcnt lgkmcnt(1)
	v_xor_b32_e32 v3, 0x80000000, v3
	v_xor_b32_e32 v4, 0x80000000, v4
	s_waitcnt lgkmcnt(0)
	v_xor_b32_e32 v5, 0x80000000, v2
	s_cbranch_scc1 .LBB226_18
.LBB226_2:                              ; =>This Loop Header: Depth=1
                                        ;     Child Loop BB226_4 Depth 2
	s_waitcnt vmcnt(0)
	v_xor_b32_e32 v2, 0x80000000, v3
	v_xor_b32_e32 v3, 0x80000000, v4
	;; [unrolled: 1-line block ×3, first 2 shown]
	ds_write2_b32 v6, v2, v3 offset1:1
	ds_write_b32 v6, v4 offset:8
	; wave barrier
	ds_read2st64_b32 v[2:3], v7 offset1:1
	ds_read_b32 v21, v7 offset:512
	v_mov_b32_e32 v18, v1
	s_waitcnt lgkmcnt(0)
	s_barrier
	; wave barrier
	s_barrier
	s_branch .LBB226_4
.LBB226_3:                              ;   in Loop: Header=BB226_4 Depth=2
	s_andn2_b64 vcc, exec, s[28:29]
	s_cbranch_vccz .LBB226_1
.LBB226_4:                              ;   Parent Loop BB226_2 Depth=1
                                        ; =>  This Inner Loop Header: Depth=2
	v_mov_b32_e32 v19, v2
	v_mov_b32_e32 v17, v3
	v_lshrrev_b32_e32 v3, v18, v19
	v_and_b32_e32 v2, 1, v3
	v_add_co_u32_e32 v5, vcc, -1, v2
	v_addc_co_u32_e64 v20, s[28:29], 0, -1, vcc
	v_cmp_ne_u32_e32 vcc, 0, v2
	v_xor_b32_e32 v2, vcc_hi, v20
	v_and_b32_e32 v20, exec_hi, v2
	v_lshlrev_b32_e32 v2, 30, v3
	v_xor_b32_e32 v5, vcc_lo, v5
	v_cmp_gt_i64_e32 vcc, 0, v[1:2]
	v_not_b32_e32 v2, v2
	v_ashrrev_i32_e32 v2, 31, v2
	v_mov_b32_e32 v16, v21
	v_and_b32_e32 v5, exec_lo, v5
	v_xor_b32_e32 v21, vcc_hi, v2
	v_xor_b32_e32 v2, vcc_lo, v2
	v_and_b32_e32 v5, v5, v2
	v_lshlrev_b32_e32 v2, 29, v3
	v_cmp_gt_i64_e32 vcc, 0, v[1:2]
	v_not_b32_e32 v2, v2
	v_ashrrev_i32_e32 v2, 31, v2
	v_and_b32_e32 v20, v20, v21
	v_xor_b32_e32 v21, vcc_hi, v2
	v_xor_b32_e32 v2, vcc_lo, v2
	v_and_b32_e32 v5, v5, v2
	v_lshlrev_b32_e32 v2, 28, v3
	v_cmp_gt_i64_e32 vcc, 0, v[1:2]
	v_not_b32_e32 v2, v2
	v_ashrrev_i32_e32 v2, 31, v2
	v_and_b32_e32 v20, v20, v21
	;; [unrolled: 8-line block ×5, first 2 shown]
	v_xor_b32_e32 v21, vcc_hi, v2
	v_xor_b32_e32 v2, vcc_lo, v2
	v_and_b32_e32 v5, v5, v2
	v_lshlrev_b32_e32 v2, 24, v3
	v_cmp_gt_i64_e32 vcc, 0, v[1:2]
	v_not_b32_e32 v2, v2
	v_ashrrev_i32_e32 v2, 31, v2
	v_mul_u32_u24_sdwa v4, v3, v15 dst_sel:DWORD dst_unused:UNUSED_PAD src0_sel:BYTE_0 src1_sel:DWORD
	v_xor_b32_e32 v3, vcc_hi, v2
	v_xor_b32_e32 v2, vcc_lo, v2
	v_and_b32_e32 v20, v20, v21
	v_and_b32_e32 v2, v5, v2
	;; [unrolled: 1-line block ×3, first 2 shown]
	v_mbcnt_lo_u32_b32 v5, v2, 0
	v_mbcnt_hi_u32_b32 v20, v3, v5
	v_cmp_ne_u64_e32 vcc, 0, v[2:3]
	v_cmp_eq_u32_e64 s[28:29], 0, v20
	s_and_b64 s[38:39], vcc, s[28:29]
	v_add_u32_e32 v21, v13, v4
	ds_write2_b32 v8, v1, v1 offset0:5 offset1:6
	ds_write2_b32 v8, v1, v1 offset0:7 offset1:8
	s_waitcnt lgkmcnt(0)
	s_barrier
	; wave barrier
	s_and_saveexec_b64 s[28:29], s[38:39]
; %bb.5:                                ;   in Loop: Header=BB226_4 Depth=2
	v_bcnt_u32_b32 v2, v2, 0
	v_bcnt_u32_b32 v2, v3, v2
	ds_write_b32 v21, v2 offset:20
; %bb.6:                                ;   in Loop: Header=BB226_4 Depth=2
	s_or_b64 exec, exec, s[28:29]
	v_lshrrev_b32_e32 v3, v18, v17
	v_and_b32_e32 v2, 0xff, v3
	v_mul_u32_u24_e32 v4, 20, v2
	v_mad_u32_u24 v2, v2, 20, v13
	; wave barrier
	ds_read_b32 v22, v2 offset:20
	v_and_b32_e32 v2, 1, v3
	v_add_co_u32_e32 v5, vcc, -1, v2
	v_addc_co_u32_e64 v23, s[28:29], 0, -1, vcc
	v_cmp_ne_u32_e32 vcc, 0, v2
	v_xor_b32_e32 v2, vcc_hi, v23
	v_and_b32_e32 v23, exec_hi, v2
	v_lshlrev_b32_e32 v2, 30, v3
	v_xor_b32_e32 v5, vcc_lo, v5
	v_cmp_gt_i64_e32 vcc, 0, v[1:2]
	v_not_b32_e32 v2, v2
	v_ashrrev_i32_e32 v2, 31, v2
	v_and_b32_e32 v5, exec_lo, v5
	v_xor_b32_e32 v24, vcc_hi, v2
	v_xor_b32_e32 v2, vcc_lo, v2
	v_and_b32_e32 v5, v5, v2
	v_lshlrev_b32_e32 v2, 29, v3
	v_cmp_gt_i64_e32 vcc, 0, v[1:2]
	v_not_b32_e32 v2, v2
	v_ashrrev_i32_e32 v2, 31, v2
	v_and_b32_e32 v23, v23, v24
	v_xor_b32_e32 v24, vcc_hi, v2
	v_xor_b32_e32 v2, vcc_lo, v2
	v_and_b32_e32 v5, v5, v2
	v_lshlrev_b32_e32 v2, 28, v3
	v_cmp_gt_i64_e32 vcc, 0, v[1:2]
	v_not_b32_e32 v2, v2
	v_ashrrev_i32_e32 v2, 31, v2
	v_and_b32_e32 v23, v23, v24
	;; [unrolled: 8-line block ×5, first 2 shown]
	v_xor_b32_e32 v24, vcc_hi, v2
	v_xor_b32_e32 v2, vcc_lo, v2
	v_and_b32_e32 v5, v5, v2
	v_lshlrev_b32_e32 v2, 24, v3
	v_cmp_gt_i64_e32 vcc, 0, v[1:2]
	v_not_b32_e32 v2, v2
	v_ashrrev_i32_e32 v2, 31, v2
	v_xor_b32_e32 v3, vcc_hi, v2
	v_xor_b32_e32 v2, vcc_lo, v2
	v_and_b32_e32 v23, v23, v24
	v_and_b32_e32 v2, v5, v2
	;; [unrolled: 1-line block ×3, first 2 shown]
	v_mbcnt_lo_u32_b32 v5, v2, 0
	v_mbcnt_hi_u32_b32 v23, v3, v5
	v_cmp_ne_u64_e32 vcc, 0, v[2:3]
	v_cmp_eq_u32_e64 s[28:29], 0, v23
	s_and_b64 s[38:39], vcc, s[28:29]
	v_add_u32_e32 v24, v13, v4
	; wave barrier
	s_and_saveexec_b64 s[28:29], s[38:39]
	s_cbranch_execz .LBB226_8
; %bb.7:                                ;   in Loop: Header=BB226_4 Depth=2
	v_bcnt_u32_b32 v2, v2, 0
	v_bcnt_u32_b32 v2, v3, v2
	s_waitcnt lgkmcnt(0)
	v_add_u32_e32 v2, v22, v2
	ds_write_b32 v24, v2 offset:20
.LBB226_8:                              ;   in Loop: Header=BB226_4 Depth=2
	s_or_b64 exec, exec, s[28:29]
	v_lshrrev_b32_e32 v3, v18, v16
	v_and_b32_e32 v2, 0xff, v3
	v_mul_u32_u24_e32 v4, 20, v2
	v_mad_u32_u24 v2, v2, 20, v13
	; wave barrier
	ds_read_b32 v25, v2 offset:20
	v_and_b32_e32 v2, 1, v3
	v_add_co_u32_e32 v5, vcc, -1, v2
	v_addc_co_u32_e64 v26, s[28:29], 0, -1, vcc
	v_cmp_ne_u32_e32 vcc, 0, v2
	v_xor_b32_e32 v2, vcc_hi, v26
	v_and_b32_e32 v26, exec_hi, v2
	v_lshlrev_b32_e32 v2, 30, v3
	v_xor_b32_e32 v5, vcc_lo, v5
	v_cmp_gt_i64_e32 vcc, 0, v[1:2]
	v_not_b32_e32 v2, v2
	v_ashrrev_i32_e32 v2, 31, v2
	v_and_b32_e32 v5, exec_lo, v5
	v_xor_b32_e32 v27, vcc_hi, v2
	v_xor_b32_e32 v2, vcc_lo, v2
	v_and_b32_e32 v5, v5, v2
	v_lshlrev_b32_e32 v2, 29, v3
	v_cmp_gt_i64_e32 vcc, 0, v[1:2]
	v_not_b32_e32 v2, v2
	v_ashrrev_i32_e32 v2, 31, v2
	v_and_b32_e32 v26, v26, v27
	v_xor_b32_e32 v27, vcc_hi, v2
	v_xor_b32_e32 v2, vcc_lo, v2
	v_and_b32_e32 v5, v5, v2
	v_lshlrev_b32_e32 v2, 28, v3
	v_cmp_gt_i64_e32 vcc, 0, v[1:2]
	v_not_b32_e32 v2, v2
	v_ashrrev_i32_e32 v2, 31, v2
	v_and_b32_e32 v26, v26, v27
	;; [unrolled: 8-line block ×5, first 2 shown]
	v_xor_b32_e32 v27, vcc_hi, v2
	v_xor_b32_e32 v2, vcc_lo, v2
	v_and_b32_e32 v5, v5, v2
	v_lshlrev_b32_e32 v2, 24, v3
	v_cmp_gt_i64_e32 vcc, 0, v[1:2]
	v_not_b32_e32 v2, v2
	v_ashrrev_i32_e32 v2, 31, v2
	v_xor_b32_e32 v3, vcc_hi, v2
	v_xor_b32_e32 v2, vcc_lo, v2
	v_and_b32_e32 v26, v26, v27
	v_and_b32_e32 v2, v5, v2
	;; [unrolled: 1-line block ×3, first 2 shown]
	v_mbcnt_lo_u32_b32 v5, v2, 0
	v_mbcnt_hi_u32_b32 v26, v3, v5
	v_cmp_ne_u64_e32 vcc, 0, v[2:3]
	v_cmp_eq_u32_e64 s[28:29], 0, v26
	s_and_b64 s[38:39], vcc, s[28:29]
	v_add_u32_e32 v27, v13, v4
	; wave barrier
	s_and_saveexec_b64 s[28:29], s[38:39]
	s_cbranch_execz .LBB226_10
; %bb.9:                                ;   in Loop: Header=BB226_4 Depth=2
	v_bcnt_u32_b32 v2, v2, 0
	v_bcnt_u32_b32 v2, v3, v2
	s_waitcnt lgkmcnt(0)
	v_add_u32_e32 v2, v25, v2
	ds_write_b32 v27, v2 offset:20
.LBB226_10:                             ;   in Loop: Header=BB226_4 Depth=2
	s_or_b64 exec, exec, s[28:29]
	; wave barrier
	s_waitcnt lgkmcnt(0)
	s_barrier
	ds_read2_b32 v[4:5], v8 offset0:5 offset1:6
	ds_read2_b32 v[2:3], v8 offset0:7 offset1:8
	s_waitcnt lgkmcnt(1)
	v_add_u32_e32 v28, v5, v4
	s_waitcnt lgkmcnt(0)
	v_add3_u32 v3, v28, v2, v3
	s_nop 1
	v_mov_b32_dpp v28, v3 row_shr:1 row_mask:0xf bank_mask:0xf
	v_cndmask_b32_e64 v28, v28, 0, s[0:1]
	v_add_u32_e32 v3, v28, v3
	s_nop 1
	v_mov_b32_dpp v28, v3 row_shr:2 row_mask:0xf bank_mask:0xf
	v_cndmask_b32_e64 v28, 0, v28, s[2:3]
	v_add_u32_e32 v3, v3, v28
	;; [unrolled: 4-line block ×4, first 2 shown]
	s_nop 1
	v_mov_b32_dpp v28, v3 row_bcast:15 row_mask:0xf bank_mask:0xf
	v_cndmask_b32_e64 v28, v28, 0, s[8:9]
	v_add_u32_e32 v3, v3, v28
	s_nop 1
	v_mov_b32_dpp v28, v3 row_bcast:31 row_mask:0xf bank_mask:0xf
	v_cndmask_b32_e64 v28, 0, v28, s[10:11]
	v_add_u32_e32 v3, v3, v28
	s_and_saveexec_b64 s[28:29], s[12:13]
; %bb.11:                               ;   in Loop: Header=BB226_4 Depth=2
	ds_write_b32 v10, v3
; %bb.12:                               ;   in Loop: Header=BB226_4 Depth=2
	s_or_b64 exec, exec, s[28:29]
	s_waitcnt lgkmcnt(0)
	s_barrier
	s_and_saveexec_b64 s[28:29], s[14:15]
	s_cbranch_execz .LBB226_14
; %bb.13:                               ;   in Loop: Header=BB226_4 Depth=2
	v_add_u32_e32 v28, v8, v11
	ds_read_b32 v29, v28
	s_waitcnt lgkmcnt(0)
	s_nop 0
	v_mov_b32_dpp v30, v29 row_shr:1 row_mask:0xf bank_mask:0xf
	v_cndmask_b32_e64 v30, v30, 0, s[22:23]
	v_add_u32_e32 v29, v30, v29
	s_nop 1
	v_mov_b32_dpp v30, v29 row_shr:2 row_mask:0xf bank_mask:0xf
	v_cndmask_b32_e64 v30, 0, v30, s[24:25]
	v_add_u32_e32 v29, v29, v30
	;; [unrolled: 4-line block ×3, first 2 shown]
	ds_write_b32 v28, v29
.LBB226_14:                             ;   in Loop: Header=BB226_4 Depth=2
	s_or_b64 exec, exec, s[28:29]
	v_mov_b32_e32 v28, 0
	s_waitcnt lgkmcnt(0)
	s_barrier
	s_and_saveexec_b64 s[28:29], s[16:17]
; %bb.15:                               ;   in Loop: Header=BB226_4 Depth=2
	ds_read_b32 v28, v12
; %bb.16:                               ;   in Loop: Header=BB226_4 Depth=2
	s_or_b64 exec, exec, s[28:29]
	s_waitcnt lgkmcnt(0)
	v_add_u32_e32 v3, v28, v3
	ds_bpermute_b32 v3, v9, v3
	v_cmp_lt_u32_e32 vcc, 23, v18
	s_and_b64 vcc, exec, vcc
	s_mov_b64 s[28:29], -1
	s_waitcnt lgkmcnt(0)
	v_cndmask_b32_e64 v3, v3, v28, s[18:19]
	v_cndmask_b32_e64 v3, v3, 0, s[20:21]
	v_add_u32_e32 v4, v3, v4
	v_add_u32_e32 v5, v4, v5
	;; [unrolled: 1-line block ×3, first 2 shown]
	ds_write2_b32 v8, v3, v4 offset0:5 offset1:6
	ds_write2_b32 v8, v5, v2 offset0:7 offset1:8
	s_waitcnt lgkmcnt(0)
	s_barrier
	ds_read_b32 v2, v21 offset:20
	ds_read_b32 v3, v24 offset:20
	ds_read_b32 v4, v27 offset:20
                                        ; implicit-def: $vgpr21
	s_waitcnt lgkmcnt(2)
	v_add_u32_e32 v20, v2, v20
	s_waitcnt lgkmcnt(1)
	v_add3_u32 v5, v23, v22, v3
	s_waitcnt lgkmcnt(0)
	v_add3_u32 v4, v26, v25, v4
                                        ; implicit-def: $vgpr3
	s_cbranch_vccnz .LBB226_3
; %bb.17:                               ;   in Loop: Header=BB226_4 Depth=2
	v_lshlrev_b32_e32 v2, 2, v20
	s_barrier
	ds_write_b32 v2, v19
	v_lshlrev_b32_e32 v2, 2, v5
	ds_write_b32 v2, v17
	v_lshlrev_b32_e32 v2, 2, v4
	ds_write_b32 v2, v16
	s_waitcnt lgkmcnt(0)
	s_barrier
	ds_read2st64_b32 v[2:3], v14 offset1:1
	ds_read_b32 v21, v14 offset:512
	v_add_u32_e32 v18, 8, v18
	s_mov_b64 s[28:29], 0
	s_waitcnt lgkmcnt(0)
	s_barrier
	s_branch .LBB226_3
.LBB226_18:
	s_add_u32 s0, s30, s36
	s_addc_u32 s1, s31, s37
	v_lshlrev_b32_e32 v0, 2, v0
	global_store_dword v0, v3, s[0:1]
	global_store_dword v0, v4, s[0:1] offset:1280
	global_store_dword v0, v5, s[0:1] offset:2560
	s_endpgm
	.section	.rodata,"a",@progbits
	.p2align	6, 0x0
	.amdhsa_kernel _Z16sort_keys_kernelI22helper_blocked_stripediLj320ELj3ELj10EEvPKT0_PS1_
		.amdhsa_group_segment_fixed_size 5152
		.amdhsa_private_segment_fixed_size 0
		.amdhsa_kernarg_size 272
		.amdhsa_user_sgpr_count 6
		.amdhsa_user_sgpr_private_segment_buffer 1
		.amdhsa_user_sgpr_dispatch_ptr 0
		.amdhsa_user_sgpr_queue_ptr 0
		.amdhsa_user_sgpr_kernarg_segment_ptr 1
		.amdhsa_user_sgpr_dispatch_id 0
		.amdhsa_user_sgpr_flat_scratch_init 0
		.amdhsa_user_sgpr_private_segment_size 0
		.amdhsa_uses_dynamic_stack 0
		.amdhsa_system_sgpr_private_segment_wavefront_offset 0
		.amdhsa_system_sgpr_workgroup_id_x 1
		.amdhsa_system_sgpr_workgroup_id_y 0
		.amdhsa_system_sgpr_workgroup_id_z 0
		.amdhsa_system_sgpr_workgroup_info 0
		.amdhsa_system_vgpr_workitem_id 2
		.amdhsa_next_free_vgpr 31
		.amdhsa_next_free_sgpr 40
		.amdhsa_reserve_vcc 1
		.amdhsa_reserve_flat_scratch 0
		.amdhsa_float_round_mode_32 0
		.amdhsa_float_round_mode_16_64 0
		.amdhsa_float_denorm_mode_32 3
		.amdhsa_float_denorm_mode_16_64 3
		.amdhsa_dx10_clamp 1
		.amdhsa_ieee_mode 1
		.amdhsa_fp16_overflow 0
		.amdhsa_exception_fp_ieee_invalid_op 0
		.amdhsa_exception_fp_denorm_src 0
		.amdhsa_exception_fp_ieee_div_zero 0
		.amdhsa_exception_fp_ieee_overflow 0
		.amdhsa_exception_fp_ieee_underflow 0
		.amdhsa_exception_fp_ieee_inexact 0
		.amdhsa_exception_int_div_zero 0
	.end_amdhsa_kernel
	.section	.text._Z16sort_keys_kernelI22helper_blocked_stripediLj320ELj3ELj10EEvPKT0_PS1_,"axG",@progbits,_Z16sort_keys_kernelI22helper_blocked_stripediLj320ELj3ELj10EEvPKT0_PS1_,comdat
.Lfunc_end226:
	.size	_Z16sort_keys_kernelI22helper_blocked_stripediLj320ELj3ELj10EEvPKT0_PS1_, .Lfunc_end226-_Z16sort_keys_kernelI22helper_blocked_stripediLj320ELj3ELj10EEvPKT0_PS1_
                                        ; -- End function
	.set _Z16sort_keys_kernelI22helper_blocked_stripediLj320ELj3ELj10EEvPKT0_PS1_.num_vgpr, 31
	.set _Z16sort_keys_kernelI22helper_blocked_stripediLj320ELj3ELj10EEvPKT0_PS1_.num_agpr, 0
	.set _Z16sort_keys_kernelI22helper_blocked_stripediLj320ELj3ELj10EEvPKT0_PS1_.numbered_sgpr, 40
	.set _Z16sort_keys_kernelI22helper_blocked_stripediLj320ELj3ELj10EEvPKT0_PS1_.num_named_barrier, 0
	.set _Z16sort_keys_kernelI22helper_blocked_stripediLj320ELj3ELj10EEvPKT0_PS1_.private_seg_size, 0
	.set _Z16sort_keys_kernelI22helper_blocked_stripediLj320ELj3ELj10EEvPKT0_PS1_.uses_vcc, 1
	.set _Z16sort_keys_kernelI22helper_blocked_stripediLj320ELj3ELj10EEvPKT0_PS1_.uses_flat_scratch, 0
	.set _Z16sort_keys_kernelI22helper_blocked_stripediLj320ELj3ELj10EEvPKT0_PS1_.has_dyn_sized_stack, 0
	.set _Z16sort_keys_kernelI22helper_blocked_stripediLj320ELj3ELj10EEvPKT0_PS1_.has_recursion, 0
	.set _Z16sort_keys_kernelI22helper_blocked_stripediLj320ELj3ELj10EEvPKT0_PS1_.has_indirect_call, 0
	.section	.AMDGPU.csdata,"",@progbits
; Kernel info:
; codeLenInByte = 2280
; TotalNumSgprs: 44
; NumVgprs: 31
; ScratchSize: 0
; MemoryBound: 0
; FloatMode: 240
; IeeeMode: 1
; LDSByteSize: 5152 bytes/workgroup (compile time only)
; SGPRBlocks: 5
; VGPRBlocks: 7
; NumSGPRsForWavesPerEU: 44
; NumVGPRsForWavesPerEU: 31
; Occupancy: 8
; WaveLimiterHint : 1
; COMPUTE_PGM_RSRC2:SCRATCH_EN: 0
; COMPUTE_PGM_RSRC2:USER_SGPR: 6
; COMPUTE_PGM_RSRC2:TRAP_HANDLER: 0
; COMPUTE_PGM_RSRC2:TGID_X_EN: 1
; COMPUTE_PGM_RSRC2:TGID_Y_EN: 0
; COMPUTE_PGM_RSRC2:TGID_Z_EN: 0
; COMPUTE_PGM_RSRC2:TIDIG_COMP_CNT: 2
	.section	.text._Z17sort_pairs_kernelI22helper_blocked_stripediLj320ELj3ELj10EEvPKT0_PS1_,"axG",@progbits,_Z17sort_pairs_kernelI22helper_blocked_stripediLj320ELj3ELj10EEvPKT0_PS1_,comdat
	.protected	_Z17sort_pairs_kernelI22helper_blocked_stripediLj320ELj3ELj10EEvPKT0_PS1_ ; -- Begin function _Z17sort_pairs_kernelI22helper_blocked_stripediLj320ELj3ELj10EEvPKT0_PS1_
	.globl	_Z17sort_pairs_kernelI22helper_blocked_stripediLj320ELj3ELj10EEvPKT0_PS1_
	.p2align	8
	.type	_Z17sort_pairs_kernelI22helper_blocked_stripediLj320ELj3ELj10EEvPKT0_PS1_,@function
_Z17sort_pairs_kernelI22helper_blocked_stripediLj320ELj3ELj10EEvPKT0_PS1_: ; @_Z17sort_pairs_kernelI22helper_blocked_stripediLj320ELj3ELj10EEvPKT0_PS1_
; %bb.0:
	s_load_dwordx4 s[28:31], s[4:5], 0x0
	s_load_dword s26, s[4:5], 0x1c
	s_mul_i32 s36, s6, 0x3c0
	s_mov_b32 s37, 0
	s_lshl_b64 s[34:35], s[36:37], 2
	s_waitcnt lgkmcnt(0)
	s_add_u32 s0, s28, s34
	v_mul_u32_u24_e32 v3, 3, v0
	s_addc_u32 s1, s29, s35
	v_lshlrev_b32_e32 v3, 2, v3
	global_load_dwordx3 v[3:5], v3, s[0:1]
	s_lshr_b32 s27, s26, 16
	s_and_b32 s26, s26, 0xffff
	v_mad_u32_u24 v1, v2, s27, v1
	v_mbcnt_lo_u32_b32 v7, -1, 0
	v_mad_u64_u32 v[1:2], s[26:27], v1, s26, v[0:1]
	v_mbcnt_hi_u32_b32 v7, -1, v7
	v_lshrrev_b32_e32 v8, 6, v0
	v_and_b32_e32 v12, 0x1c0, v0
	v_subrev_co_u32_e64 v18, s[8:9], 1, v7
	v_and_b32_e32 v19, 64, v7
	v_mul_u32_u24_e32 v13, 0xc0, v8
	v_and_b32_e32 v16, 16, v7
	v_min_u32_e32 v17, 0x100, v12
	v_cmp_lt_i32_e32 vcc, v18, v19
	v_lshlrev_b32_e32 v15, 2, v7
	v_and_b32_e32 v14, 15, v7
	v_lshlrev_b32_e32 v11, 2, v8
	v_and_b32_e32 v8, 7, v7
	v_mul_u32_u24_e32 v20, 12, v12
	v_cmp_eq_u32_e64 s[18:19], 0, v16
	v_lshlrev_b32_e32 v16, 2, v13
	v_or_b32_e32 v17, 63, v17
	v_cndmask_b32_e32 v18, v18, v7, vcc
	v_lshrrev_b32_e32 v1, 4, v1
	v_mov_b32_e32 v6, 0
	v_lshlrev_b32_e32 v9, 4, v0
	v_cmp_gt_u32_e64 s[0:1], 5, v0
	v_cmp_lt_u32_e64 s[2:3], 63, v0
	v_cmp_eq_u32_e64 s[4:5], 0, v0
	v_mul_i32_i24_e32 v10, -12, v0
	v_cmp_lt_u32_e64 s[6:7], 31, v7
	v_cmp_eq_u32_e64 s[10:11], 0, v14
	v_cmp_lt_u32_e64 s[12:13], 1, v14
	v_cmp_lt_u32_e64 s[14:15], 3, v14
	v_cmp_lt_u32_e64 s[16:17], 7, v14
	v_cmp_eq_u32_e64 s[20:21], 0, v8
	v_cmp_lt_u32_e64 s[22:23], 1, v8
	v_cmp_lt_u32_e64 s[24:25], 3, v8
	v_add_u32_e32 v12, -4, v11
	v_add_u32_e32 v13, v15, v20
	v_mad_u32_u24 v14, v7, 12, v16
	v_add_u32_e32 v15, v15, v16
	v_cmp_eq_u32_e64 s[26:27], v0, v17
	v_lshlrev_b32_e32 v16, 2, v18
	v_and_b32_e32 v17, 0xffffffc, v1
	v_mov_b32_e32 v18, 20
	s_waitcnt vmcnt(0)
	v_add_u32_e32 v7, 1, v3
	v_add_u32_e32 v8, 1, v4
	;; [unrolled: 1-line block ×3, first 2 shown]
	s_branch .LBB227_2
.LBB227_1:                              ;   in Loop: Header=BB227_2 Depth=1
	v_lshlrev_b32_e32 v3, 2, v25
	v_lshlrev_b32_e32 v4, 2, v24
	;; [unrolled: 1-line block ×3, first 2 shown]
	s_barrier
	ds_write_b32 v3, v23
	ds_write_b32 v4, v22
	;; [unrolled: 1-line block ×3, first 2 shown]
	v_add_u32_e32 v20, v9, v10
	s_waitcnt lgkmcnt(0)
	s_barrier
	ds_read2st64_b32 v[1:2], v20 offset1:5
	ds_read_b32 v21, v20 offset:2560
	s_waitcnt lgkmcnt(0)
	s_barrier
	ds_write_b32 v3, v19
	ds_write_b32 v4, v8
	;; [unrolled: 1-line block ×3, first 2 shown]
	s_waitcnt lgkmcnt(0)
	s_barrier
	ds_read2st64_b32 v[7:8], v20 offset1:5
	ds_read_b32 v19, v20 offset:2560
	s_add_i32 s37, s37, 1
	v_xor_b32_e32 v3, 0x80000000, v1
	v_xor_b32_e32 v4, 0x80000000, v2
	s_cmp_eq_u32 s37, 10
	v_xor_b32_e32 v5, 0x80000000, v21
	s_cbranch_scc1 .LBB227_18
.LBB227_2:                              ; =>This Loop Header: Depth=1
                                        ;     Child Loop BB227_4 Depth 2
	v_xor_b32_e32 v1, 0x80000000, v3
	v_xor_b32_e32 v2, 0x80000000, v4
	;; [unrolled: 1-line block ×3, first 2 shown]
	ds_write2_b32 v14, v1, v2 offset1:1
	ds_write_b32 v14, v3 offset:8
	; wave barrier
	ds_read2st64_b32 v[1:2], v15 offset1:1
	ds_read_b32 v26, v15 offset:512
	; wave barrier
	s_waitcnt lgkmcnt(5)
	ds_write2_b32 v14, v7, v8 offset1:1
	s_waitcnt lgkmcnt(5)
	ds_write_b32 v14, v19 offset:8
	; wave barrier
	ds_read2st64_b32 v[3:4], v15 offset1:1
	ds_read_b32 v27, v15 offset:512
	v_mov_b32_e32 v21, v6
	s_waitcnt lgkmcnt(0)
	s_barrier
	s_branch .LBB227_4
.LBB227_3:                              ;   in Loop: Header=BB227_4 Depth=2
	s_andn2_b64 vcc, exec, s[28:29]
	s_cbranch_vccz .LBB227_1
.LBB227_4:                              ;   Parent Loop BB227_2 Depth=1
                                        ; =>  This Inner Loop Header: Depth=2
	v_mov_b32_e32 v23, v1
	v_lshrrev_b32_e32 v1, v21, v23
	v_mov_b32_e32 v22, v2
	v_and_b32_e32 v2, 1, v1
	v_mov_b32_e32 v8, v4
	v_add_co_u32_e32 v4, vcc, -1, v2
	v_addc_co_u32_e64 v7, s[28:29], 0, -1, vcc
	v_cmp_ne_u32_e32 vcc, 0, v2
	v_xor_b32_e32 v2, vcc_hi, v7
	v_lshlrev_b32_e32 v7, 30, v1
	v_xor_b32_e32 v4, vcc_lo, v4
	v_cmp_gt_i64_e32 vcc, 0, v[6:7]
	v_not_b32_e32 v7, v7
	v_ashrrev_i32_e32 v7, 31, v7
	v_and_b32_e32 v4, exec_lo, v4
	v_xor_b32_e32 v24, vcc_hi, v7
	v_xor_b32_e32 v7, vcc_lo, v7
	v_and_b32_e32 v4, v4, v7
	v_lshlrev_b32_e32 v7, 29, v1
	v_cmp_gt_i64_e32 vcc, 0, v[6:7]
	v_not_b32_e32 v7, v7
	v_and_b32_e32 v2, exec_hi, v2
	v_ashrrev_i32_e32 v7, 31, v7
	v_and_b32_e32 v2, v2, v24
	v_xor_b32_e32 v24, vcc_hi, v7
	v_xor_b32_e32 v7, vcc_lo, v7
	v_and_b32_e32 v4, v4, v7
	v_lshlrev_b32_e32 v7, 28, v1
	v_cmp_gt_i64_e32 vcc, 0, v[6:7]
	v_not_b32_e32 v7, v7
	v_ashrrev_i32_e32 v7, 31, v7
	v_and_b32_e32 v2, v2, v24
	v_xor_b32_e32 v24, vcc_hi, v7
	v_xor_b32_e32 v7, vcc_lo, v7
	v_and_b32_e32 v4, v4, v7
	v_lshlrev_b32_e32 v7, 27, v1
	v_cmp_gt_i64_e32 vcc, 0, v[6:7]
	v_not_b32_e32 v7, v7
	;; [unrolled: 8-line block ×4, first 2 shown]
	v_ashrrev_i32_e32 v7, 31, v7
	v_and_b32_e32 v2, v2, v24
	v_xor_b32_e32 v24, vcc_hi, v7
	v_xor_b32_e32 v7, vcc_lo, v7
	v_and_b32_e32 v4, v4, v7
	v_lshlrev_b32_e32 v7, 24, v1
	v_mov_b32_e32 v19, v3
	v_mul_u32_u24_sdwa v3, v1, v18 dst_sel:DWORD dst_unused:UNUSED_PAD src0_sel:BYTE_0 src1_sel:DWORD
	v_cmp_gt_i64_e32 vcc, 0, v[6:7]
	v_not_b32_e32 v1, v7
	v_ashrrev_i32_e32 v1, 31, v1
	v_xor_b32_e32 v7, vcc_hi, v1
	v_xor_b32_e32 v1, vcc_lo, v1
	v_and_b32_e32 v2, v2, v24
	v_and_b32_e32 v1, v4, v1
	;; [unrolled: 1-line block ×3, first 2 shown]
	v_mbcnt_lo_u32_b32 v4, v1, 0
	v_mbcnt_hi_u32_b32 v24, v2, v4
	v_cmp_ne_u64_e32 vcc, 0, v[1:2]
	v_cmp_eq_u32_e64 s[28:29], 0, v24
	v_mov_b32_e32 v20, v26
	v_mov_b32_e32 v5, v27
	s_and_b64 s[38:39], vcc, s[28:29]
	v_add_u32_e32 v25, v17, v3
	ds_write2_b32 v9, v6, v6 offset0:5 offset1:6
	ds_write2_b32 v9, v6, v6 offset0:7 offset1:8
	s_waitcnt lgkmcnt(0)
	s_barrier
	; wave barrier
	s_and_saveexec_b64 s[28:29], s[38:39]
; %bb.5:                                ;   in Loop: Header=BB227_4 Depth=2
	v_bcnt_u32_b32 v1, v1, 0
	v_bcnt_u32_b32 v1, v2, v1
	ds_write_b32 v25, v1 offset:20
; %bb.6:                                ;   in Loop: Header=BB227_4 Depth=2
	s_or_b64 exec, exec, s[28:29]
	v_lshrrev_b32_e32 v1, v21, v22
	v_and_b32_e32 v2, 0xff, v1
	v_mul_u32_u24_e32 v3, 20, v2
	v_mad_u32_u24 v2, v2, 20, v17
	; wave barrier
	ds_read_b32 v26, v2 offset:20
	v_and_b32_e32 v2, 1, v1
	v_add_co_u32_e32 v4, vcc, -1, v2
	v_addc_co_u32_e64 v7, s[28:29], 0, -1, vcc
	v_cmp_ne_u32_e32 vcc, 0, v2
	v_xor_b32_e32 v2, vcc_hi, v7
	v_lshlrev_b32_e32 v7, 30, v1
	v_xor_b32_e32 v4, vcc_lo, v4
	v_cmp_gt_i64_e32 vcc, 0, v[6:7]
	v_not_b32_e32 v7, v7
	v_ashrrev_i32_e32 v7, 31, v7
	v_and_b32_e32 v4, exec_lo, v4
	v_xor_b32_e32 v27, vcc_hi, v7
	v_xor_b32_e32 v7, vcc_lo, v7
	v_and_b32_e32 v4, v4, v7
	v_lshlrev_b32_e32 v7, 29, v1
	v_cmp_gt_i64_e32 vcc, 0, v[6:7]
	v_not_b32_e32 v7, v7
	v_and_b32_e32 v2, exec_hi, v2
	v_ashrrev_i32_e32 v7, 31, v7
	v_and_b32_e32 v2, v2, v27
	v_xor_b32_e32 v27, vcc_hi, v7
	v_xor_b32_e32 v7, vcc_lo, v7
	v_and_b32_e32 v4, v4, v7
	v_lshlrev_b32_e32 v7, 28, v1
	v_cmp_gt_i64_e32 vcc, 0, v[6:7]
	v_not_b32_e32 v7, v7
	v_ashrrev_i32_e32 v7, 31, v7
	v_and_b32_e32 v2, v2, v27
	v_xor_b32_e32 v27, vcc_hi, v7
	v_xor_b32_e32 v7, vcc_lo, v7
	v_and_b32_e32 v4, v4, v7
	v_lshlrev_b32_e32 v7, 27, v1
	v_cmp_gt_i64_e32 vcc, 0, v[6:7]
	v_not_b32_e32 v7, v7
	;; [unrolled: 8-line block ×5, first 2 shown]
	v_ashrrev_i32_e32 v1, 31, v1
	v_xor_b32_e32 v7, vcc_hi, v1
	v_xor_b32_e32 v1, vcc_lo, v1
	v_and_b32_e32 v2, v2, v27
	v_and_b32_e32 v1, v4, v1
	;; [unrolled: 1-line block ×3, first 2 shown]
	v_mbcnt_lo_u32_b32 v4, v1, 0
	v_mbcnt_hi_u32_b32 v27, v2, v4
	v_cmp_ne_u64_e32 vcc, 0, v[1:2]
	v_cmp_eq_u32_e64 s[28:29], 0, v27
	s_and_b64 s[38:39], vcc, s[28:29]
	v_add_u32_e32 v28, v17, v3
	; wave barrier
	s_and_saveexec_b64 s[28:29], s[38:39]
	s_cbranch_execz .LBB227_8
; %bb.7:                                ;   in Loop: Header=BB227_4 Depth=2
	v_bcnt_u32_b32 v1, v1, 0
	v_bcnt_u32_b32 v1, v2, v1
	s_waitcnt lgkmcnt(0)
	v_add_u32_e32 v1, v26, v1
	ds_write_b32 v28, v1 offset:20
.LBB227_8:                              ;   in Loop: Header=BB227_4 Depth=2
	s_or_b64 exec, exec, s[28:29]
	v_lshrrev_b32_e32 v1, v21, v20
	v_and_b32_e32 v2, 0xff, v1
	v_mul_u32_u24_e32 v3, 20, v2
	v_mad_u32_u24 v2, v2, 20, v17
	; wave barrier
	ds_read_b32 v29, v2 offset:20
	v_and_b32_e32 v2, 1, v1
	v_add_co_u32_e32 v4, vcc, -1, v2
	v_addc_co_u32_e64 v7, s[28:29], 0, -1, vcc
	v_cmp_ne_u32_e32 vcc, 0, v2
	v_xor_b32_e32 v2, vcc_hi, v7
	v_lshlrev_b32_e32 v7, 30, v1
	v_xor_b32_e32 v4, vcc_lo, v4
	v_cmp_gt_i64_e32 vcc, 0, v[6:7]
	v_not_b32_e32 v7, v7
	v_ashrrev_i32_e32 v7, 31, v7
	v_and_b32_e32 v4, exec_lo, v4
	v_xor_b32_e32 v30, vcc_hi, v7
	v_xor_b32_e32 v7, vcc_lo, v7
	v_and_b32_e32 v4, v4, v7
	v_lshlrev_b32_e32 v7, 29, v1
	v_cmp_gt_i64_e32 vcc, 0, v[6:7]
	v_not_b32_e32 v7, v7
	v_and_b32_e32 v2, exec_hi, v2
	v_ashrrev_i32_e32 v7, 31, v7
	v_and_b32_e32 v2, v2, v30
	v_xor_b32_e32 v30, vcc_hi, v7
	v_xor_b32_e32 v7, vcc_lo, v7
	v_and_b32_e32 v4, v4, v7
	v_lshlrev_b32_e32 v7, 28, v1
	v_cmp_gt_i64_e32 vcc, 0, v[6:7]
	v_not_b32_e32 v7, v7
	v_ashrrev_i32_e32 v7, 31, v7
	v_and_b32_e32 v2, v2, v30
	v_xor_b32_e32 v30, vcc_hi, v7
	v_xor_b32_e32 v7, vcc_lo, v7
	v_and_b32_e32 v4, v4, v7
	v_lshlrev_b32_e32 v7, 27, v1
	v_cmp_gt_i64_e32 vcc, 0, v[6:7]
	v_not_b32_e32 v7, v7
	;; [unrolled: 8-line block ×5, first 2 shown]
	v_ashrrev_i32_e32 v1, 31, v1
	v_xor_b32_e32 v7, vcc_hi, v1
	v_xor_b32_e32 v1, vcc_lo, v1
	v_and_b32_e32 v2, v2, v30
	v_and_b32_e32 v1, v4, v1
	;; [unrolled: 1-line block ×3, first 2 shown]
	v_mbcnt_lo_u32_b32 v4, v1, 0
	v_mbcnt_hi_u32_b32 v7, v2, v4
	v_cmp_ne_u64_e32 vcc, 0, v[1:2]
	v_cmp_eq_u32_e64 s[28:29], 0, v7
	s_and_b64 s[38:39], vcc, s[28:29]
	v_add_u32_e32 v30, v17, v3
	; wave barrier
	s_and_saveexec_b64 s[28:29], s[38:39]
	s_cbranch_execz .LBB227_10
; %bb.9:                                ;   in Loop: Header=BB227_4 Depth=2
	v_bcnt_u32_b32 v1, v1, 0
	v_bcnt_u32_b32 v1, v2, v1
	s_waitcnt lgkmcnt(0)
	v_add_u32_e32 v1, v29, v1
	ds_write_b32 v30, v1 offset:20
.LBB227_10:                             ;   in Loop: Header=BB227_4 Depth=2
	s_or_b64 exec, exec, s[28:29]
	; wave barrier
	s_waitcnt lgkmcnt(0)
	s_barrier
	ds_read2_b32 v[3:4], v9 offset0:5 offset1:6
	ds_read2_b32 v[1:2], v9 offset0:7 offset1:8
	s_waitcnt lgkmcnt(1)
	v_add_u32_e32 v31, v4, v3
	s_waitcnt lgkmcnt(0)
	v_add3_u32 v2, v31, v1, v2
	s_nop 1
	v_mov_b32_dpp v31, v2 row_shr:1 row_mask:0xf bank_mask:0xf
	v_cndmask_b32_e64 v31, v31, 0, s[10:11]
	v_add_u32_e32 v2, v31, v2
	s_nop 1
	v_mov_b32_dpp v31, v2 row_shr:2 row_mask:0xf bank_mask:0xf
	v_cndmask_b32_e64 v31, 0, v31, s[12:13]
	v_add_u32_e32 v2, v2, v31
	;; [unrolled: 4-line block ×4, first 2 shown]
	s_nop 1
	v_mov_b32_dpp v31, v2 row_bcast:15 row_mask:0xf bank_mask:0xf
	v_cndmask_b32_e64 v31, v31, 0, s[18:19]
	v_add_u32_e32 v2, v2, v31
	s_nop 1
	v_mov_b32_dpp v31, v2 row_bcast:31 row_mask:0xf bank_mask:0xf
	v_cndmask_b32_e64 v31, 0, v31, s[6:7]
	v_add_u32_e32 v2, v2, v31
	s_and_saveexec_b64 s[28:29], s[26:27]
; %bb.11:                               ;   in Loop: Header=BB227_4 Depth=2
	ds_write_b32 v11, v2
; %bb.12:                               ;   in Loop: Header=BB227_4 Depth=2
	s_or_b64 exec, exec, s[28:29]
	s_waitcnt lgkmcnt(0)
	s_barrier
	s_and_saveexec_b64 s[28:29], s[0:1]
	s_cbranch_execz .LBB227_14
; %bb.13:                               ;   in Loop: Header=BB227_4 Depth=2
	v_add_u32_e32 v31, v9, v10
	ds_read_b32 v32, v31
	s_waitcnt lgkmcnt(0)
	s_nop 0
	v_mov_b32_dpp v33, v32 row_shr:1 row_mask:0xf bank_mask:0xf
	v_cndmask_b32_e64 v33, v33, 0, s[20:21]
	v_add_u32_e32 v32, v33, v32
	s_nop 1
	v_mov_b32_dpp v33, v32 row_shr:2 row_mask:0xf bank_mask:0xf
	v_cndmask_b32_e64 v33, 0, v33, s[22:23]
	v_add_u32_e32 v32, v32, v33
	;; [unrolled: 4-line block ×3, first 2 shown]
	ds_write_b32 v31, v32
.LBB227_14:                             ;   in Loop: Header=BB227_4 Depth=2
	s_or_b64 exec, exec, s[28:29]
	v_mov_b32_e32 v31, 0
	s_waitcnt lgkmcnt(0)
	s_barrier
	s_and_saveexec_b64 s[28:29], s[2:3]
; %bb.15:                               ;   in Loop: Header=BB227_4 Depth=2
	ds_read_b32 v31, v12
; %bb.16:                               ;   in Loop: Header=BB227_4 Depth=2
	s_or_b64 exec, exec, s[28:29]
	s_waitcnt lgkmcnt(0)
	v_add_u32_e32 v2, v31, v2
	ds_bpermute_b32 v2, v16, v2
	v_cmp_lt_u32_e32 vcc, 23, v21
	s_and_b64 vcc, exec, vcc
	s_mov_b64 s[28:29], -1
	s_waitcnt lgkmcnt(0)
	v_cndmask_b32_e64 v2, v2, v31, s[8:9]
	v_cndmask_b32_e64 v2, v2, 0, s[4:5]
	v_add_u32_e32 v3, v2, v3
	v_add_u32_e32 v4, v3, v4
	;; [unrolled: 1-line block ×3, first 2 shown]
	ds_write2_b32 v9, v2, v3 offset0:5 offset1:6
	ds_write2_b32 v9, v4, v1 offset0:7 offset1:8
	s_waitcnt lgkmcnt(0)
	s_barrier
	ds_read_b32 v1, v25 offset:20
	ds_read_b32 v2, v28 offset:20
	;; [unrolled: 1-line block ×3, first 2 shown]
	s_waitcnt lgkmcnt(2)
	v_add_u32_e32 v25, v1, v24
	s_waitcnt lgkmcnt(1)
	v_add3_u32 v24, v27, v26, v2
	s_waitcnt lgkmcnt(0)
	v_add3_u32 v7, v7, v29, v3
                                        ; implicit-def: $vgpr26
                                        ; implicit-def: $vgpr2
                                        ; implicit-def: $vgpr27
                                        ; implicit-def: $vgpr4
	s_cbranch_vccnz .LBB227_3
; %bb.17:                               ;   in Loop: Header=BB227_4 Depth=2
	v_lshlrev_b32_e32 v3, 2, v25
	v_lshlrev_b32_e32 v4, 2, v24
	;; [unrolled: 1-line block ×3, first 2 shown]
	s_barrier
	ds_write_b32 v3, v23
	ds_write_b32 v4, v22
	;; [unrolled: 1-line block ×3, first 2 shown]
	s_waitcnt lgkmcnt(0)
	s_barrier
	ds_read2st64_b32 v[1:2], v13 offset1:1
	ds_read_b32 v26, v13 offset:512
	s_waitcnt lgkmcnt(0)
	s_barrier
	ds_write_b32 v3, v19
	ds_write_b32 v4, v8
	;; [unrolled: 1-line block ×3, first 2 shown]
	s_waitcnt lgkmcnt(0)
	s_barrier
	ds_read2st64_b32 v[3:4], v13 offset1:1
	ds_read_b32 v27, v13 offset:512
	v_add_u32_e32 v21, 8, v21
	s_mov_b64 s[28:29], 0
	s_waitcnt lgkmcnt(0)
	s_barrier
	s_branch .LBB227_3
.LBB227_18:
	s_add_u32 s0, s30, s34
	s_waitcnt lgkmcnt(1)
	v_add_u32_e32 v1, v3, v7
	s_addc_u32 s1, s31, s35
	v_lshlrev_b32_e32 v0, 2, v0
	v_add_u32_e32 v2, v4, v8
	s_waitcnt lgkmcnt(0)
	v_add_u32_e32 v3, v5, v19
	global_store_dword v0, v1, s[0:1]
	global_store_dword v0, v2, s[0:1] offset:1280
	global_store_dword v0, v3, s[0:1] offset:2560
	s_endpgm
	.section	.rodata,"a",@progbits
	.p2align	6, 0x0
	.amdhsa_kernel _Z17sort_pairs_kernelI22helper_blocked_stripediLj320ELj3ELj10EEvPKT0_PS1_
		.amdhsa_group_segment_fixed_size 5152
		.amdhsa_private_segment_fixed_size 0
		.amdhsa_kernarg_size 272
		.amdhsa_user_sgpr_count 6
		.amdhsa_user_sgpr_private_segment_buffer 1
		.amdhsa_user_sgpr_dispatch_ptr 0
		.amdhsa_user_sgpr_queue_ptr 0
		.amdhsa_user_sgpr_kernarg_segment_ptr 1
		.amdhsa_user_sgpr_dispatch_id 0
		.amdhsa_user_sgpr_flat_scratch_init 0
		.amdhsa_user_sgpr_private_segment_size 0
		.amdhsa_uses_dynamic_stack 0
		.amdhsa_system_sgpr_private_segment_wavefront_offset 0
		.amdhsa_system_sgpr_workgroup_id_x 1
		.amdhsa_system_sgpr_workgroup_id_y 0
		.amdhsa_system_sgpr_workgroup_id_z 0
		.amdhsa_system_sgpr_workgroup_info 0
		.amdhsa_system_vgpr_workitem_id 2
		.amdhsa_next_free_vgpr 34
		.amdhsa_next_free_sgpr 40
		.amdhsa_reserve_vcc 1
		.amdhsa_reserve_flat_scratch 0
		.amdhsa_float_round_mode_32 0
		.amdhsa_float_round_mode_16_64 0
		.amdhsa_float_denorm_mode_32 3
		.amdhsa_float_denorm_mode_16_64 3
		.amdhsa_dx10_clamp 1
		.amdhsa_ieee_mode 1
		.amdhsa_fp16_overflow 0
		.amdhsa_exception_fp_ieee_invalid_op 0
		.amdhsa_exception_fp_denorm_src 0
		.amdhsa_exception_fp_ieee_div_zero 0
		.amdhsa_exception_fp_ieee_overflow 0
		.amdhsa_exception_fp_ieee_underflow 0
		.amdhsa_exception_fp_ieee_inexact 0
		.amdhsa_exception_int_div_zero 0
	.end_amdhsa_kernel
	.section	.text._Z17sort_pairs_kernelI22helper_blocked_stripediLj320ELj3ELj10EEvPKT0_PS1_,"axG",@progbits,_Z17sort_pairs_kernelI22helper_blocked_stripediLj320ELj3ELj10EEvPKT0_PS1_,comdat
.Lfunc_end227:
	.size	_Z17sort_pairs_kernelI22helper_blocked_stripediLj320ELj3ELj10EEvPKT0_PS1_, .Lfunc_end227-_Z17sort_pairs_kernelI22helper_blocked_stripediLj320ELj3ELj10EEvPKT0_PS1_
                                        ; -- End function
	.set _Z17sort_pairs_kernelI22helper_blocked_stripediLj320ELj3ELj10EEvPKT0_PS1_.num_vgpr, 34
	.set _Z17sort_pairs_kernelI22helper_blocked_stripediLj320ELj3ELj10EEvPKT0_PS1_.num_agpr, 0
	.set _Z17sort_pairs_kernelI22helper_blocked_stripediLj320ELj3ELj10EEvPKT0_PS1_.numbered_sgpr, 40
	.set _Z17sort_pairs_kernelI22helper_blocked_stripediLj320ELj3ELj10EEvPKT0_PS1_.num_named_barrier, 0
	.set _Z17sort_pairs_kernelI22helper_blocked_stripediLj320ELj3ELj10EEvPKT0_PS1_.private_seg_size, 0
	.set _Z17sort_pairs_kernelI22helper_blocked_stripediLj320ELj3ELj10EEvPKT0_PS1_.uses_vcc, 1
	.set _Z17sort_pairs_kernelI22helper_blocked_stripediLj320ELj3ELj10EEvPKT0_PS1_.uses_flat_scratch, 0
	.set _Z17sort_pairs_kernelI22helper_blocked_stripediLj320ELj3ELj10EEvPKT0_PS1_.has_dyn_sized_stack, 0
	.set _Z17sort_pairs_kernelI22helper_blocked_stripediLj320ELj3ELj10EEvPKT0_PS1_.has_recursion, 0
	.set _Z17sort_pairs_kernelI22helper_blocked_stripediLj320ELj3ELj10EEvPKT0_PS1_.has_indirect_call, 0
	.section	.AMDGPU.csdata,"",@progbits
; Kernel info:
; codeLenInByte = 2464
; TotalNumSgprs: 44
; NumVgprs: 34
; ScratchSize: 0
; MemoryBound: 0
; FloatMode: 240
; IeeeMode: 1
; LDSByteSize: 5152 bytes/workgroup (compile time only)
; SGPRBlocks: 5
; VGPRBlocks: 8
; NumSGPRsForWavesPerEU: 44
; NumVGPRsForWavesPerEU: 34
; Occupancy: 7
; WaveLimiterHint : 1
; COMPUTE_PGM_RSRC2:SCRATCH_EN: 0
; COMPUTE_PGM_RSRC2:USER_SGPR: 6
; COMPUTE_PGM_RSRC2:TRAP_HANDLER: 0
; COMPUTE_PGM_RSRC2:TGID_X_EN: 1
; COMPUTE_PGM_RSRC2:TGID_Y_EN: 0
; COMPUTE_PGM_RSRC2:TGID_Z_EN: 0
; COMPUTE_PGM_RSRC2:TIDIG_COMP_CNT: 2
	.section	.text._Z16sort_keys_kernelI22helper_blocked_stripediLj320ELj4ELj10EEvPKT0_PS1_,"axG",@progbits,_Z16sort_keys_kernelI22helper_blocked_stripediLj320ELj4ELj10EEvPKT0_PS1_,comdat
	.protected	_Z16sort_keys_kernelI22helper_blocked_stripediLj320ELj4ELj10EEvPKT0_PS1_ ; -- Begin function _Z16sort_keys_kernelI22helper_blocked_stripediLj320ELj4ELj10EEvPKT0_PS1_
	.globl	_Z16sort_keys_kernelI22helper_blocked_stripediLj320ELj4ELj10EEvPKT0_PS1_
	.p2align	8
	.type	_Z16sort_keys_kernelI22helper_blocked_stripediLj320ELj4ELj10EEvPKT0_PS1_,@function
_Z16sort_keys_kernelI22helper_blocked_stripediLj320ELj4ELj10EEvPKT0_PS1_: ; @_Z16sort_keys_kernelI22helper_blocked_stripediLj320ELj4ELj10EEvPKT0_PS1_
; %bb.0:
	s_load_dwordx4 s[40:43], s[4:5], 0x0
	s_load_dword s8, s[4:5], 0x1c
	s_mul_i32 s44, s6, 0x500
	s_mov_b32 s45, 0
	s_lshl_b64 s[46:47], s[44:45], 2
	s_waitcnt lgkmcnt(0)
	s_add_u32 s0, s40, s46
	s_addc_u32 s1, s41, s47
	v_lshlrev_b32_e32 v8, 4, v0
	global_load_dwordx4 v[3:6], v8, s[0:1]
	s_lshr_b32 s9, s8, 16
	v_mbcnt_lo_u32_b32 v9, -1, 0
	s_and_b32 s8, s8, 0xffff
	v_mad_u32_u24 v1, v2, s9, v1
	v_mbcnt_hi_u32_b32 v16, -1, v9
	v_mad_u64_u32 v[1:2], s[8:9], v1, s8, v[0:1]
	v_and_b32_e32 v2, 15, v16
	v_cmp_eq_u32_e64 s[8:9], 0, v2
	v_cmp_lt_u32_e64 s[10:11], 1, v2
	v_cmp_lt_u32_e64 s[12:13], 3, v2
	;; [unrolled: 1-line block ×3, first 2 shown]
	v_and_b32_e32 v2, 16, v16
	v_cmp_eq_u32_e64 s[16:17], 0, v2
	v_and_b32_e32 v2, 0x1c0, v0
	v_min_u32_e32 v2, 0x100, v2
	v_or_b32_e32 v2, 63, v2
	v_and_b32_e32 v13, 64, v16
	v_cmp_eq_u32_e64 s[20:21], v0, v2
	v_subrev_co_u32_e64 v2, s[26:27], 1, v16
	v_lshrrev_b32_e32 v12, 2, v16
	v_and_b32_e32 v9, 3, v16
	v_cmp_lt_i32_e32 vcc, v2, v13
	v_cmp_eq_u32_e64 s[0:1], 3, v9
	v_cmp_eq_u32_e64 s[2:3], 2, v9
	;; [unrolled: 1-line block ×4, first 2 shown]
	v_or_b32_e32 v9, v12, v13
	v_add_u32_e32 v12, 48, v12
	v_cndmask_b32_e32 v2, v2, v16, vcc
	v_lshlrev_b32_e32 v7, 2, v0
	v_and_or_b32 v12, v12, 63, v13
	v_cmp_gt_u32_e64 s[22:23], 5, v0
	v_cmp_lt_u32_e64 s[24:25], 63, v0
	v_lshlrev_b32_e32 v13, 2, v2
	v_cmp_eq_u32_e64 s[28:29], 0, v0
	v_lshrrev_b32_e32 v2, 4, v0
	v_mul_i32_i24_e32 v15, -12, v0
	v_and_b32_e32 v0, 7, v16
	s_movk_i32 s33, 0x700
	v_cmp_eq_u32_e64 s[30:31], 0, v0
	v_cmp_lt_u32_e64 s[34:35], 1, v0
	v_cmp_lt_u32_e64 s[36:37], 3, v0
	v_and_or_b32 v0, v7, s33, v16
	v_and_b32_e32 v14, 28, v2
	v_lshrrev_b32_e32 v2, 3, v0
	v_and_b32_e32 v2, 0xec, v2
	v_lshlrev_b32_e32 v19, 2, v0
	v_cmp_lt_u32_e64 s[18:19], 31, v16
	v_add_u32_e32 v16, v2, v19
	v_add_u32_e32 v2, 64, v0
	v_lshrrev_b32_e32 v2, 3, v2
	v_and_b32_e32 v2, 0xfc, v2
	v_add_u32_e32 v17, v2, v19
	v_or_b32_e32 v2, 0x80, v0
	v_add_u32_e32 v0, 0xc0, v0
	v_lshrrev_b32_e32 v2, 3, v2
	v_lshrrev_b32_e32 v0, 3, v0
	v_and_b32_e32 v2, 0xfc, v2
	v_and_b32_e32 v0, 0x1fc, v0
	v_lshlrev_b32_e32 v9, 2, v9
	v_add_u32_e32 v18, v2, v19
	v_add_u32_e32 v19, v0, v19
	v_lshrrev_b32_e32 v0, 4, v1
	v_add_u32_e32 v10, 64, v9
	v_or_b32_e32 v11, 0x80, v9
	v_lshlrev_b32_e32 v12, 2, v12
	v_and_b32_e32 v20, 0xffffffc, v0
	v_mov_b32_e32 v21, 20
	v_mov_b32_e32 v0, 0
	s_branch .LBB228_2
.LBB228_1:                              ;   in Loop: Header=BB228_2 Depth=1
	v_lshlrev_b32_e32 v2, 2, v25
	s_barrier
	ds_write_b32 v2, v24
	v_lshlrev_b32_e32 v2, 2, v4
	ds_write_b32 v2, v23
	v_lshlrev_b32_e32 v2, 2, v3
	v_lshlrev_b32_e32 v1, 2, v1
	v_add_u32_e32 v3, v8, v15
	ds_write_b32 v2, v6
	ds_write_b32 v1, v5
	s_waitcnt lgkmcnt(0)
	s_barrier
	ds_read2st64_b32 v[1:2], v3 offset1:5
	ds_read2st64_b32 v[5:6], v3 offset0:10 offset1:15
	s_add_i32 s45, s45, 1
	s_cmp_eq_u32 s45, 10
	s_waitcnt lgkmcnt(1)
	v_xor_b32_e32 v3, 0x80000000, v1
	v_xor_b32_e32 v4, 0x80000000, v2
	s_waitcnt lgkmcnt(0)
	v_xor_b32_e32 v5, 0x80000000, v5
	v_xor_b32_e32 v6, 0x80000000, v6
	s_cbranch_scc1 .LBB228_20
.LBB228_2:                              ; =>This Loop Header: Depth=1
                                        ;     Child Loop BB228_4 Depth 2
	s_waitcnt vmcnt(0)
	v_xor_b32_e32 v1, 0x80000000, v3
	ds_bpermute_b32 v2, v9, v1
	v_xor_b32_e32 v3, 0x80000000, v4
	v_xor_b32_e32 v4, 0x80000000, v5
	;; [unrolled: 1-line block ×3, first 2 shown]
	ds_bpermute_b32 v6, v9, v3
	ds_bpermute_b32 v22, v9, v4
	;; [unrolled: 1-line block ×4, first 2 shown]
	s_waitcnt lgkmcnt(4)
	v_cndmask_b32_e64 v2, 0, v2, s[6:7]
	ds_bpermute_b32 v25, v10, v3
	s_waitcnt lgkmcnt(4)
	v_cndmask_b32_e64 v2, v2, v6, s[4:5]
	s_waitcnt lgkmcnt(3)
	v_cndmask_b32_e64 v2, v2, v22, s[2:3]
	ds_bpermute_b32 v22, v10, v4
	s_waitcnt lgkmcnt(3)
	v_cndmask_b32_e64 v2, v2, v23, s[0:1]
	s_waitcnt lgkmcnt(2)
	v_cndmask_b32_e64 v6, 0, v24, s[6:7]
	ds_bpermute_b32 v23, v10, v5
	ds_bpermute_b32 v24, v11, v1
	;; [unrolled: 1-line block ×3, first 2 shown]
	s_waitcnt lgkmcnt(4)
	v_cndmask_b32_e64 v6, v6, v25, s[4:5]
	ds_bpermute_b32 v25, v11, v3
	ds_bpermute_b32 v3, v12, v3
	;; [unrolled: 1-line block ×4, first 2 shown]
	s_waitcnt lgkmcnt(7)
	v_cndmask_b32_e64 v6, v6, v22, s[2:3]
	ds_bpermute_b32 v22, v11, v5
	ds_bpermute_b32 v5, v12, v5
	s_waitcnt lgkmcnt(8)
	v_cndmask_b32_e64 v26, v6, v23, s[0:1]
	s_waitcnt lgkmcnt(7)
	v_cndmask_b32_e64 v6, 0, v24, s[6:7]
	;; [unrolled: 2-line block ×9, first 2 shown]
	v_mov_b32_e32 v22, v0
	s_barrier
	s_branch .LBB228_4
.LBB228_3:                              ;   in Loop: Header=BB228_4 Depth=2
	s_andn2_b64 vcc, exec, s[38:39]
	s_cbranch_vccz .LBB228_1
.LBB228_4:                              ;   Parent Loop BB228_2 Depth=1
                                        ; =>  This Inner Loop Header: Depth=2
	v_mov_b32_e32 v24, v2
	v_lshrrev_b32_e32 v2, v22, v24
	v_and_b32_e32 v1, 1, v2
	v_add_co_u32_e32 v4, vcc, -1, v1
	v_addc_co_u32_e64 v25, s[38:39], 0, -1, vcc
	v_cmp_ne_u32_e32 vcc, 0, v1
	v_xor_b32_e32 v1, vcc_hi, v25
	v_and_b32_e32 v25, exec_hi, v1
	v_lshlrev_b32_e32 v1, 30, v2
	v_xor_b32_e32 v4, vcc_lo, v4
	v_cmp_gt_i64_e32 vcc, 0, v[0:1]
	v_not_b32_e32 v1, v1
	v_ashrrev_i32_e32 v1, 31, v1
	v_mov_b32_e32 v23, v26
	v_and_b32_e32 v4, exec_lo, v4
	v_xor_b32_e32 v26, vcc_hi, v1
	v_xor_b32_e32 v1, vcc_lo, v1
	v_and_b32_e32 v4, v4, v1
	v_lshlrev_b32_e32 v1, 29, v2
	v_cmp_gt_i64_e32 vcc, 0, v[0:1]
	v_not_b32_e32 v1, v1
	v_ashrrev_i32_e32 v1, 31, v1
	v_and_b32_e32 v25, v25, v26
	v_xor_b32_e32 v26, vcc_hi, v1
	v_xor_b32_e32 v1, vcc_lo, v1
	v_and_b32_e32 v4, v4, v1
	v_lshlrev_b32_e32 v1, 28, v2
	v_cmp_gt_i64_e32 vcc, 0, v[0:1]
	v_not_b32_e32 v1, v1
	v_ashrrev_i32_e32 v1, 31, v1
	v_and_b32_e32 v25, v25, v26
	;; [unrolled: 8-line block ×5, first 2 shown]
	v_xor_b32_e32 v26, vcc_hi, v1
	v_xor_b32_e32 v1, vcc_lo, v1
	v_and_b32_e32 v4, v4, v1
	v_lshlrev_b32_e32 v1, 24, v2
	v_cmp_gt_i64_e32 vcc, 0, v[0:1]
	v_not_b32_e32 v1, v1
	v_ashrrev_i32_e32 v1, 31, v1
	v_mul_u32_u24_sdwa v3, v2, v21 dst_sel:DWORD dst_unused:UNUSED_PAD src0_sel:BYTE_0 src1_sel:DWORD
	v_xor_b32_e32 v2, vcc_hi, v1
	v_xor_b32_e32 v1, vcc_lo, v1
	v_and_b32_e32 v25, v25, v26
	v_and_b32_e32 v1, v4, v1
	;; [unrolled: 1-line block ×3, first 2 shown]
	v_mbcnt_lo_u32_b32 v4, v1, 0
	v_mbcnt_hi_u32_b32 v25, v2, v4
	v_cmp_ne_u64_e32 vcc, 0, v[1:2]
	v_cmp_eq_u32_e64 s[38:39], 0, v25
	v_mov_b32_e32 v5, v28
	v_mov_b32_e32 v6, v27
	s_and_b64 s[40:41], vcc, s[38:39]
	v_add_u32_e32 v26, v20, v3
	ds_write2_b32 v8, v0, v0 offset0:5 offset1:6
	ds_write2_b32 v8, v0, v0 offset0:7 offset1:8
	s_waitcnt lgkmcnt(0)
	s_barrier
	; wave barrier
	s_and_saveexec_b64 s[38:39], s[40:41]
; %bb.5:                                ;   in Loop: Header=BB228_4 Depth=2
	v_bcnt_u32_b32 v1, v1, 0
	v_bcnt_u32_b32 v1, v2, v1
	ds_write_b32 v26, v1 offset:20
; %bb.6:                                ;   in Loop: Header=BB228_4 Depth=2
	s_or_b64 exec, exec, s[38:39]
	v_lshrrev_b32_e32 v2, v22, v23
	v_and_b32_e32 v1, 0xff, v2
	v_mul_u32_u24_e32 v3, 20, v1
	v_mad_u32_u24 v1, v1, 20, v20
	; wave barrier
	ds_read_b32 v27, v1 offset:20
	v_and_b32_e32 v1, 1, v2
	v_add_co_u32_e32 v4, vcc, -1, v1
	v_addc_co_u32_e64 v28, s[38:39], 0, -1, vcc
	v_cmp_ne_u32_e32 vcc, 0, v1
	v_xor_b32_e32 v1, vcc_hi, v28
	v_and_b32_e32 v28, exec_hi, v1
	v_lshlrev_b32_e32 v1, 30, v2
	v_xor_b32_e32 v4, vcc_lo, v4
	v_cmp_gt_i64_e32 vcc, 0, v[0:1]
	v_not_b32_e32 v1, v1
	v_ashrrev_i32_e32 v1, 31, v1
	v_and_b32_e32 v4, exec_lo, v4
	v_xor_b32_e32 v29, vcc_hi, v1
	v_xor_b32_e32 v1, vcc_lo, v1
	v_and_b32_e32 v4, v4, v1
	v_lshlrev_b32_e32 v1, 29, v2
	v_cmp_gt_i64_e32 vcc, 0, v[0:1]
	v_not_b32_e32 v1, v1
	v_ashrrev_i32_e32 v1, 31, v1
	v_and_b32_e32 v28, v28, v29
	v_xor_b32_e32 v29, vcc_hi, v1
	v_xor_b32_e32 v1, vcc_lo, v1
	v_and_b32_e32 v4, v4, v1
	v_lshlrev_b32_e32 v1, 28, v2
	v_cmp_gt_i64_e32 vcc, 0, v[0:1]
	v_not_b32_e32 v1, v1
	v_ashrrev_i32_e32 v1, 31, v1
	v_and_b32_e32 v28, v28, v29
	;; [unrolled: 8-line block ×5, first 2 shown]
	v_xor_b32_e32 v29, vcc_hi, v1
	v_xor_b32_e32 v1, vcc_lo, v1
	v_and_b32_e32 v4, v4, v1
	v_lshlrev_b32_e32 v1, 24, v2
	v_cmp_gt_i64_e32 vcc, 0, v[0:1]
	v_not_b32_e32 v1, v1
	v_ashrrev_i32_e32 v1, 31, v1
	v_xor_b32_e32 v2, vcc_hi, v1
	v_xor_b32_e32 v1, vcc_lo, v1
	v_and_b32_e32 v28, v28, v29
	v_and_b32_e32 v1, v4, v1
	;; [unrolled: 1-line block ×3, first 2 shown]
	v_mbcnt_lo_u32_b32 v4, v1, 0
	v_mbcnt_hi_u32_b32 v28, v2, v4
	v_cmp_ne_u64_e32 vcc, 0, v[1:2]
	v_cmp_eq_u32_e64 s[38:39], 0, v28
	s_and_b64 s[40:41], vcc, s[38:39]
	v_add_u32_e32 v29, v20, v3
	; wave barrier
	s_and_saveexec_b64 s[38:39], s[40:41]
	s_cbranch_execz .LBB228_8
; %bb.7:                                ;   in Loop: Header=BB228_4 Depth=2
	v_bcnt_u32_b32 v1, v1, 0
	v_bcnt_u32_b32 v1, v2, v1
	s_waitcnt lgkmcnt(0)
	v_add_u32_e32 v1, v27, v1
	ds_write_b32 v29, v1 offset:20
.LBB228_8:                              ;   in Loop: Header=BB228_4 Depth=2
	s_or_b64 exec, exec, s[38:39]
	v_lshrrev_b32_e32 v2, v22, v6
	v_and_b32_e32 v1, 0xff, v2
	v_mul_u32_u24_e32 v3, 20, v1
	v_mad_u32_u24 v1, v1, 20, v20
	; wave barrier
	ds_read_b32 v30, v1 offset:20
	v_and_b32_e32 v1, 1, v2
	v_add_co_u32_e32 v4, vcc, -1, v1
	v_addc_co_u32_e64 v31, s[38:39], 0, -1, vcc
	v_cmp_ne_u32_e32 vcc, 0, v1
	v_xor_b32_e32 v1, vcc_hi, v31
	v_and_b32_e32 v31, exec_hi, v1
	v_lshlrev_b32_e32 v1, 30, v2
	v_xor_b32_e32 v4, vcc_lo, v4
	v_cmp_gt_i64_e32 vcc, 0, v[0:1]
	v_not_b32_e32 v1, v1
	v_ashrrev_i32_e32 v1, 31, v1
	v_and_b32_e32 v4, exec_lo, v4
	v_xor_b32_e32 v32, vcc_hi, v1
	v_xor_b32_e32 v1, vcc_lo, v1
	v_and_b32_e32 v4, v4, v1
	v_lshlrev_b32_e32 v1, 29, v2
	v_cmp_gt_i64_e32 vcc, 0, v[0:1]
	v_not_b32_e32 v1, v1
	v_ashrrev_i32_e32 v1, 31, v1
	v_and_b32_e32 v31, v31, v32
	v_xor_b32_e32 v32, vcc_hi, v1
	v_xor_b32_e32 v1, vcc_lo, v1
	v_and_b32_e32 v4, v4, v1
	v_lshlrev_b32_e32 v1, 28, v2
	v_cmp_gt_i64_e32 vcc, 0, v[0:1]
	v_not_b32_e32 v1, v1
	v_ashrrev_i32_e32 v1, 31, v1
	v_and_b32_e32 v31, v31, v32
	;; [unrolled: 8-line block ×5, first 2 shown]
	v_xor_b32_e32 v32, vcc_hi, v1
	v_xor_b32_e32 v1, vcc_lo, v1
	v_and_b32_e32 v4, v4, v1
	v_lshlrev_b32_e32 v1, 24, v2
	v_cmp_gt_i64_e32 vcc, 0, v[0:1]
	v_not_b32_e32 v1, v1
	v_ashrrev_i32_e32 v1, 31, v1
	v_xor_b32_e32 v2, vcc_hi, v1
	v_xor_b32_e32 v1, vcc_lo, v1
	v_and_b32_e32 v31, v31, v32
	v_and_b32_e32 v1, v4, v1
	;; [unrolled: 1-line block ×3, first 2 shown]
	v_mbcnt_lo_u32_b32 v4, v1, 0
	v_mbcnt_hi_u32_b32 v31, v2, v4
	v_cmp_ne_u64_e32 vcc, 0, v[1:2]
	v_cmp_eq_u32_e64 s[38:39], 0, v31
	s_and_b64 s[40:41], vcc, s[38:39]
	v_add_u32_e32 v32, v20, v3
	; wave barrier
	s_and_saveexec_b64 s[38:39], s[40:41]
	s_cbranch_execz .LBB228_10
; %bb.9:                                ;   in Loop: Header=BB228_4 Depth=2
	v_bcnt_u32_b32 v1, v1, 0
	v_bcnt_u32_b32 v1, v2, v1
	s_waitcnt lgkmcnt(0)
	v_add_u32_e32 v1, v30, v1
	ds_write_b32 v32, v1 offset:20
.LBB228_10:                             ;   in Loop: Header=BB228_4 Depth=2
	s_or_b64 exec, exec, s[38:39]
	v_lshrrev_b32_e32 v2, v22, v5
	v_and_b32_e32 v1, 0xff, v2
	v_mul_u32_u24_e32 v3, 20, v1
	v_mad_u32_u24 v1, v1, 20, v20
	; wave barrier
	ds_read_b32 v33, v1 offset:20
	v_and_b32_e32 v1, 1, v2
	v_add_co_u32_e32 v4, vcc, -1, v1
	v_addc_co_u32_e64 v34, s[38:39], 0, -1, vcc
	v_cmp_ne_u32_e32 vcc, 0, v1
	v_xor_b32_e32 v1, vcc_hi, v34
	v_and_b32_e32 v34, exec_hi, v1
	v_lshlrev_b32_e32 v1, 30, v2
	v_xor_b32_e32 v4, vcc_lo, v4
	v_cmp_gt_i64_e32 vcc, 0, v[0:1]
	v_not_b32_e32 v1, v1
	v_ashrrev_i32_e32 v1, 31, v1
	v_and_b32_e32 v4, exec_lo, v4
	v_xor_b32_e32 v35, vcc_hi, v1
	v_xor_b32_e32 v1, vcc_lo, v1
	v_and_b32_e32 v4, v4, v1
	v_lshlrev_b32_e32 v1, 29, v2
	v_cmp_gt_i64_e32 vcc, 0, v[0:1]
	v_not_b32_e32 v1, v1
	v_ashrrev_i32_e32 v1, 31, v1
	v_and_b32_e32 v34, v34, v35
	v_xor_b32_e32 v35, vcc_hi, v1
	v_xor_b32_e32 v1, vcc_lo, v1
	v_and_b32_e32 v4, v4, v1
	v_lshlrev_b32_e32 v1, 28, v2
	v_cmp_gt_i64_e32 vcc, 0, v[0:1]
	v_not_b32_e32 v1, v1
	v_ashrrev_i32_e32 v1, 31, v1
	v_and_b32_e32 v34, v34, v35
	;; [unrolled: 8-line block ×5, first 2 shown]
	v_xor_b32_e32 v35, vcc_hi, v1
	v_xor_b32_e32 v1, vcc_lo, v1
	v_and_b32_e32 v4, v4, v1
	v_lshlrev_b32_e32 v1, 24, v2
	v_cmp_gt_i64_e32 vcc, 0, v[0:1]
	v_not_b32_e32 v1, v1
	v_ashrrev_i32_e32 v1, 31, v1
	v_xor_b32_e32 v2, vcc_hi, v1
	v_xor_b32_e32 v1, vcc_lo, v1
	v_and_b32_e32 v34, v34, v35
	v_and_b32_e32 v1, v4, v1
	;; [unrolled: 1-line block ×3, first 2 shown]
	v_mbcnt_lo_u32_b32 v4, v1, 0
	v_mbcnt_hi_u32_b32 v34, v2, v4
	v_cmp_ne_u64_e32 vcc, 0, v[1:2]
	v_cmp_eq_u32_e64 s[38:39], 0, v34
	s_and_b64 s[40:41], vcc, s[38:39]
	v_add_u32_e32 v35, v20, v3
	; wave barrier
	s_and_saveexec_b64 s[38:39], s[40:41]
	s_cbranch_execz .LBB228_12
; %bb.11:                               ;   in Loop: Header=BB228_4 Depth=2
	v_bcnt_u32_b32 v1, v1, 0
	v_bcnt_u32_b32 v1, v2, v1
	s_waitcnt lgkmcnt(0)
	v_add_u32_e32 v1, v33, v1
	ds_write_b32 v35, v1 offset:20
.LBB228_12:                             ;   in Loop: Header=BB228_4 Depth=2
	s_or_b64 exec, exec, s[38:39]
	; wave barrier
	s_waitcnt lgkmcnt(0)
	s_barrier
	ds_read2_b32 v[3:4], v8 offset0:5 offset1:6
	ds_read2_b32 v[1:2], v8 offset0:7 offset1:8
	s_waitcnt lgkmcnt(1)
	v_add_u32_e32 v36, v4, v3
	s_waitcnt lgkmcnt(0)
	v_add3_u32 v2, v36, v1, v2
	s_nop 1
	v_mov_b32_dpp v36, v2 row_shr:1 row_mask:0xf bank_mask:0xf
	v_cndmask_b32_e64 v36, v36, 0, s[8:9]
	v_add_u32_e32 v2, v36, v2
	s_nop 1
	v_mov_b32_dpp v36, v2 row_shr:2 row_mask:0xf bank_mask:0xf
	v_cndmask_b32_e64 v36, 0, v36, s[10:11]
	v_add_u32_e32 v2, v2, v36
	;; [unrolled: 4-line block ×4, first 2 shown]
	s_nop 1
	v_mov_b32_dpp v36, v2 row_bcast:15 row_mask:0xf bank_mask:0xf
	v_cndmask_b32_e64 v36, v36, 0, s[16:17]
	v_add_u32_e32 v2, v2, v36
	s_nop 1
	v_mov_b32_dpp v36, v2 row_bcast:31 row_mask:0xf bank_mask:0xf
	v_cndmask_b32_e64 v36, 0, v36, s[18:19]
	v_add_u32_e32 v2, v2, v36
	s_and_saveexec_b64 s[38:39], s[20:21]
; %bb.13:                               ;   in Loop: Header=BB228_4 Depth=2
	ds_write_b32 v14, v2
; %bb.14:                               ;   in Loop: Header=BB228_4 Depth=2
	s_or_b64 exec, exec, s[38:39]
	s_waitcnt lgkmcnt(0)
	s_barrier
	s_and_saveexec_b64 s[38:39], s[22:23]
	s_cbranch_execz .LBB228_16
; %bb.15:                               ;   in Loop: Header=BB228_4 Depth=2
	v_add_u32_e32 v36, v8, v15
	ds_read_b32 v37, v36
	s_waitcnt lgkmcnt(0)
	s_nop 0
	v_mov_b32_dpp v38, v37 row_shr:1 row_mask:0xf bank_mask:0xf
	v_cndmask_b32_e64 v38, v38, 0, s[30:31]
	v_add_u32_e32 v37, v38, v37
	s_nop 1
	v_mov_b32_dpp v38, v37 row_shr:2 row_mask:0xf bank_mask:0xf
	v_cndmask_b32_e64 v38, 0, v38, s[34:35]
	v_add_u32_e32 v37, v37, v38
	;; [unrolled: 4-line block ×3, first 2 shown]
	ds_write_b32 v36, v37
.LBB228_16:                             ;   in Loop: Header=BB228_4 Depth=2
	s_or_b64 exec, exec, s[38:39]
	v_mov_b32_e32 v36, 0
	s_waitcnt lgkmcnt(0)
	s_barrier
	s_and_saveexec_b64 s[38:39], s[24:25]
; %bb.17:                               ;   in Loop: Header=BB228_4 Depth=2
	v_add_u32_e32 v36, -4, v14
	ds_read_b32 v36, v36
; %bb.18:                               ;   in Loop: Header=BB228_4 Depth=2
	s_or_b64 exec, exec, s[38:39]
	s_waitcnt lgkmcnt(0)
	v_add_u32_e32 v2, v36, v2
	ds_bpermute_b32 v2, v13, v2
	v_cmp_lt_u32_e32 vcc, 23, v22
	s_and_b64 vcc, exec, vcc
	s_mov_b64 s[38:39], -1
	s_waitcnt lgkmcnt(0)
	v_cndmask_b32_e64 v2, v2, v36, s[26:27]
	v_cndmask_b32_e64 v2, v2, 0, s[28:29]
	v_add_u32_e32 v3, v2, v3
	v_add_u32_e32 v4, v3, v4
	;; [unrolled: 1-line block ×3, first 2 shown]
	ds_write2_b32 v8, v2, v3 offset0:5 offset1:6
	ds_write2_b32 v8, v4, v1 offset0:7 offset1:8
	s_waitcnt lgkmcnt(0)
	s_barrier
	ds_read_b32 v1, v26 offset:20
	ds_read_b32 v2, v29 offset:20
	ds_read_b32 v3, v32 offset:20
	ds_read_b32 v26, v35 offset:20
	s_waitcnt lgkmcnt(3)
	v_add_u32_e32 v25, v1, v25
	s_waitcnt lgkmcnt(2)
	v_add3_u32 v4, v28, v27, v2
	s_waitcnt lgkmcnt(1)
	v_add3_u32 v3, v31, v30, v3
	;; [unrolled: 2-line block ×3, first 2 shown]
                                        ; implicit-def: $vgpr28
                                        ; implicit-def: $vgpr27
                                        ; implicit-def: $vgpr26
                                        ; implicit-def: $vgpr2
	s_cbranch_vccnz .LBB228_3
; %bb.19:                               ;   in Loop: Header=BB228_4 Depth=2
	v_lshrrev_b32_e32 v2, 3, v25
	v_and_b32_e32 v2, 0x1ffffffc, v2
	v_lshl_add_u32 v2, v25, 2, v2
	s_barrier
	ds_write_b32 v2, v24
	v_lshrrev_b32_e32 v2, 3, v4
	v_and_b32_e32 v2, 0x1ffffffc, v2
	v_lshl_add_u32 v2, v4, 2, v2
	ds_write_b32 v2, v23
	v_lshrrev_b32_e32 v2, 3, v3
	v_and_b32_e32 v2, 0x1ffffffc, v2
	v_lshl_add_u32 v2, v3, 2, v2
	ds_write_b32 v2, v6
	v_lshrrev_b32_e32 v2, 3, v1
	v_and_b32_e32 v2, 0x1ffffffc, v2
	v_lshl_add_u32 v2, v1, 2, v2
	ds_write_b32 v2, v5
	s_waitcnt lgkmcnt(0)
	s_barrier
	ds_read_b32 v2, v16
	ds_read_b32 v26, v17 offset:256
	ds_read_b32 v27, v18 offset:512
	;; [unrolled: 1-line block ×3, first 2 shown]
	v_add_u32_e32 v22, 8, v22
	s_mov_b64 s[38:39], 0
	s_waitcnt lgkmcnt(0)
	s_barrier
	s_branch .LBB228_3
.LBB228_20:
	s_add_u32 s0, s42, s46
	s_addc_u32 s1, s43, s47
	global_store_dword v7, v3, s[0:1]
	global_store_dword v7, v4, s[0:1] offset:1280
	global_store_dword v7, v5, s[0:1] offset:2560
	;; [unrolled: 1-line block ×3, first 2 shown]
	s_endpgm
	.section	.rodata,"a",@progbits
	.p2align	6, 0x0
	.amdhsa_kernel _Z16sort_keys_kernelI22helper_blocked_stripediLj320ELj4ELj10EEvPKT0_PS1_
		.amdhsa_group_segment_fixed_size 5280
		.amdhsa_private_segment_fixed_size 0
		.amdhsa_kernarg_size 272
		.amdhsa_user_sgpr_count 6
		.amdhsa_user_sgpr_private_segment_buffer 1
		.amdhsa_user_sgpr_dispatch_ptr 0
		.amdhsa_user_sgpr_queue_ptr 0
		.amdhsa_user_sgpr_kernarg_segment_ptr 1
		.amdhsa_user_sgpr_dispatch_id 0
		.amdhsa_user_sgpr_flat_scratch_init 0
		.amdhsa_user_sgpr_private_segment_size 0
		.amdhsa_uses_dynamic_stack 0
		.amdhsa_system_sgpr_private_segment_wavefront_offset 0
		.amdhsa_system_sgpr_workgroup_id_x 1
		.amdhsa_system_sgpr_workgroup_id_y 0
		.amdhsa_system_sgpr_workgroup_id_z 0
		.amdhsa_system_sgpr_workgroup_info 0
		.amdhsa_system_vgpr_workitem_id 2
		.amdhsa_next_free_vgpr 39
		.amdhsa_next_free_sgpr 48
		.amdhsa_reserve_vcc 1
		.amdhsa_reserve_flat_scratch 0
		.amdhsa_float_round_mode_32 0
		.amdhsa_float_round_mode_16_64 0
		.amdhsa_float_denorm_mode_32 3
		.amdhsa_float_denorm_mode_16_64 3
		.amdhsa_dx10_clamp 1
		.amdhsa_ieee_mode 1
		.amdhsa_fp16_overflow 0
		.amdhsa_exception_fp_ieee_invalid_op 0
		.amdhsa_exception_fp_denorm_src 0
		.amdhsa_exception_fp_ieee_div_zero 0
		.amdhsa_exception_fp_ieee_overflow 0
		.amdhsa_exception_fp_ieee_underflow 0
		.amdhsa_exception_fp_ieee_inexact 0
		.amdhsa_exception_int_div_zero 0
	.end_amdhsa_kernel
	.section	.text._Z16sort_keys_kernelI22helper_blocked_stripediLj320ELj4ELj10EEvPKT0_PS1_,"axG",@progbits,_Z16sort_keys_kernelI22helper_blocked_stripediLj320ELj4ELj10EEvPKT0_PS1_,comdat
.Lfunc_end228:
	.size	_Z16sort_keys_kernelI22helper_blocked_stripediLj320ELj4ELj10EEvPKT0_PS1_, .Lfunc_end228-_Z16sort_keys_kernelI22helper_blocked_stripediLj320ELj4ELj10EEvPKT0_PS1_
                                        ; -- End function
	.set _Z16sort_keys_kernelI22helper_blocked_stripediLj320ELj4ELj10EEvPKT0_PS1_.num_vgpr, 39
	.set _Z16sort_keys_kernelI22helper_blocked_stripediLj320ELj4ELj10EEvPKT0_PS1_.num_agpr, 0
	.set _Z16sort_keys_kernelI22helper_blocked_stripediLj320ELj4ELj10EEvPKT0_PS1_.numbered_sgpr, 48
	.set _Z16sort_keys_kernelI22helper_blocked_stripediLj320ELj4ELj10EEvPKT0_PS1_.num_named_barrier, 0
	.set _Z16sort_keys_kernelI22helper_blocked_stripediLj320ELj4ELj10EEvPKT0_PS1_.private_seg_size, 0
	.set _Z16sort_keys_kernelI22helper_blocked_stripediLj320ELj4ELj10EEvPKT0_PS1_.uses_vcc, 1
	.set _Z16sort_keys_kernelI22helper_blocked_stripediLj320ELj4ELj10EEvPKT0_PS1_.uses_flat_scratch, 0
	.set _Z16sort_keys_kernelI22helper_blocked_stripediLj320ELj4ELj10EEvPKT0_PS1_.has_dyn_sized_stack, 0
	.set _Z16sort_keys_kernelI22helper_blocked_stripediLj320ELj4ELj10EEvPKT0_PS1_.has_recursion, 0
	.set _Z16sort_keys_kernelI22helper_blocked_stripediLj320ELj4ELj10EEvPKT0_PS1_.has_indirect_call, 0
	.section	.AMDGPU.csdata,"",@progbits
; Kernel info:
; codeLenInByte = 3216
; TotalNumSgprs: 52
; NumVgprs: 39
; ScratchSize: 0
; MemoryBound: 0
; FloatMode: 240
; IeeeMode: 1
; LDSByteSize: 5280 bytes/workgroup (compile time only)
; SGPRBlocks: 6
; VGPRBlocks: 9
; NumSGPRsForWavesPerEU: 52
; NumVGPRsForWavesPerEU: 39
; Occupancy: 6
; WaveLimiterHint : 1
; COMPUTE_PGM_RSRC2:SCRATCH_EN: 0
; COMPUTE_PGM_RSRC2:USER_SGPR: 6
; COMPUTE_PGM_RSRC2:TRAP_HANDLER: 0
; COMPUTE_PGM_RSRC2:TGID_X_EN: 1
; COMPUTE_PGM_RSRC2:TGID_Y_EN: 0
; COMPUTE_PGM_RSRC2:TGID_Z_EN: 0
; COMPUTE_PGM_RSRC2:TIDIG_COMP_CNT: 2
	.section	.text._Z17sort_pairs_kernelI22helper_blocked_stripediLj320ELj4ELj10EEvPKT0_PS1_,"axG",@progbits,_Z17sort_pairs_kernelI22helper_blocked_stripediLj320ELj4ELj10EEvPKT0_PS1_,comdat
	.protected	_Z17sort_pairs_kernelI22helper_blocked_stripediLj320ELj4ELj10EEvPKT0_PS1_ ; -- Begin function _Z17sort_pairs_kernelI22helper_blocked_stripediLj320ELj4ELj10EEvPKT0_PS1_
	.globl	_Z17sort_pairs_kernelI22helper_blocked_stripediLj320ELj4ELj10EEvPKT0_PS1_
	.p2align	8
	.type	_Z17sort_pairs_kernelI22helper_blocked_stripediLj320ELj4ELj10EEvPKT0_PS1_,@function
_Z17sort_pairs_kernelI22helper_blocked_stripediLj320ELj4ELj10EEvPKT0_PS1_: ; @_Z17sort_pairs_kernelI22helper_blocked_stripediLj320ELj4ELj10EEvPKT0_PS1_
; %bb.0:
	s_load_dwordx4 s[40:43], s[4:5], 0x0
	s_load_dword s33, s[4:5], 0x1c
	s_mul_i32 s46, s6, 0x500
	s_mov_b32 s47, 0
	s_lshl_b64 s[44:45], s[46:47], 2
	s_waitcnt lgkmcnt(0)
	s_add_u32 s0, s40, s44
	s_addc_u32 s1, s41, s45
	v_lshlrev_b32_e32 v9, 4, v0
	global_load_dwordx4 v[3:6], v9, s[0:1]
	v_and_b32_e32 v8, 0x1c0, v0
	v_mbcnt_lo_u32_b32 v7, -1, 0
	v_min_u32_e32 v8, 0x100, v8
	s_lshr_b32 s38, s33, 16
	v_mbcnt_hi_u32_b32 v7, -1, v7
	v_or_b32_e32 v8, 63, v8
	s_and_b32 s33, s33, 0xffff
	v_mad_u32_u24 v1, v2, s38, v1
	s_movk_i32 s10, 0x700
	v_lshlrev_b32_e32 v10, 2, v0
	v_cmp_gt_u32_e64 s[0:1], 5, v0
	v_cmp_lt_u32_e64 s[2:3], 63, v0
	v_cmp_eq_u32_e64 s[4:5], 0, v0
	v_lshrrev_b32_e32 v13, 4, v0
	v_mul_i32_i24_e32 v12, -12, v0
	v_and_b32_e32 v16, 64, v7
	v_subrev_co_u32_e64 v19, s[8:9], 1, v7
	v_cmp_eq_u32_e64 s[36:37], v0, v8
	v_mad_u64_u32 v[0:1], s[38:39], v1, s33, v[0:1]
	v_lshrrev_b32_e32 v14, 2, v7
	v_and_b32_e32 v17, 15, v7
	v_and_b32_e32 v18, 16, v7
	;; [unrolled: 1-line block ×3, first 2 shown]
	v_and_or_b32 v21, v10, s10, v7
	v_cmp_lt_i32_e32 vcc, v19, v16
	v_and_b32_e32 v15, 3, v7
	v_cmp_lt_u32_e64 s[6:7], 31, v7
	v_cmp_eq_u32_e64 s[18:19], 0, v17
	v_cmp_lt_u32_e64 s[20:21], 1, v17
	v_cmp_lt_u32_e64 s[22:23], 3, v17
	;; [unrolled: 1-line block ×3, first 2 shown]
	v_cmp_eq_u32_e64 s[26:27], 0, v18
	v_add_u32_e32 v17, 48, v14
	v_cndmask_b32_e32 v7, v19, v7, vcc
	v_cmp_eq_u32_e64 s[28:29], 0, v20
	v_cmp_lt_u32_e64 s[30:31], 1, v20
	v_cmp_lt_u32_e64 s[34:35], 3, v20
	v_lshrrev_b32_e32 v18, 3, v21
	v_lshlrev_b32_e32 v23, 2, v21
	v_add_u32_e32 v19, 64, v21
	v_or_b32_e32 v20, 0x80, v21
	v_add_u32_e32 v21, 0xc0, v21
	v_cmp_eq_u32_e64 s[10:11], 3, v15
	v_cmp_eq_u32_e64 s[12:13], 2, v15
	;; [unrolled: 1-line block ×4, first 2 shown]
	v_or_b32_e32 v15, v14, v16
	v_and_or_b32 v17, v17, 63, v16
	v_lshlrev_b32_e32 v16, 2, v7
	v_and_b32_e32 v7, 0xec, v18
	v_lshrrev_b32_e32 v8, 3, v19
	v_lshrrev_b32_e32 v19, 3, v20
	;; [unrolled: 1-line block ×3, first 2 shown]
	v_and_b32_e32 v13, 28, v13
	v_lshlrev_b32_e32 v15, 2, v15
	v_add_u32_e32 v18, v7, v23
	v_and_b32_e32 v7, 0xfc, v8
	v_and_b32_e32 v8, 0xfc, v19
	v_and_b32_e32 v24, 0x1fc, v20
	v_lshrrev_b32_e32 v0, 4, v0
	v_mov_b32_e32 v11, 20
	v_add_u32_e32 v14, -4, v13
	v_lshlrev_b32_e32 v17, 2, v17
	v_add_u32_e32 v19, 64, v15
	v_or_b32_e32 v20, 0x80, v15
	v_add_u32_e32 v21, v7, v23
	v_add_u32_e32 v22, v8, v23
	;; [unrolled: 1-line block ×3, first 2 shown]
	v_and_b32_e32 v24, 0xffffffc, v0
	v_mov_b32_e32 v0, 0
	s_waitcnt vmcnt(0)
	v_add_u32_e32 v7, 1, v3
	v_add_u32_e32 v8, 1, v4
	;; [unrolled: 1-line block ×4, first 2 shown]
	s_branch .LBB229_2
.LBB229_1:                              ;   in Loop: Header=BB229_2 Depth=1
	v_lshlrev_b32_e32 v30, 2, v34
	s_barrier
	ds_write_b32 v30, v29
	v_lshlrev_b32_e32 v29, 2, v32
	v_lshlrev_b32_e32 v2, 2, v2
	ds_write_b32 v29, v28
	ds_write_b32 v2, v27
	v_lshlrev_b32_e32 v1, 2, v1
	v_add_u32_e32 v27, v9, v12
	ds_write_b32 v1, v25
	s_waitcnt lgkmcnt(0)
	s_barrier
	ds_read2st64_b32 v[3:4], v27 offset1:5
	ds_read2st64_b32 v[25:26], v27 offset0:10 offset1:15
	s_waitcnt lgkmcnt(0)
	s_barrier
	ds_write_b32 v30, v8
	ds_write_b32 v29, v7
	;; [unrolled: 1-line block ×4, first 2 shown]
	s_waitcnt lgkmcnt(0)
	s_barrier
	ds_read2st64_b32 v[7:8], v27 offset1:5
	ds_read2st64_b32 v[1:2], v27 offset0:10 offset1:15
	s_add_i32 s47, s47, 1
	v_xor_b32_e32 v3, 0x80000000, v3
	v_xor_b32_e32 v4, 0x80000000, v4
	;; [unrolled: 1-line block ×3, first 2 shown]
	s_cmp_eq_u32 s47, 10
	v_xor_b32_e32 v6, 0x80000000, v26
	s_cbranch_scc1 .LBB229_20
.LBB229_2:                              ; =>This Loop Header: Depth=1
                                        ;     Child Loop BB229_4 Depth 2
	v_xor_b32_e32 v25, 0x80000000, v3
	v_xor_b32_e32 v26, 0x80000000, v4
	ds_bpermute_b32 v3, v15, v25
	ds_bpermute_b32 v4, v15, v26
	v_xor_b32_e32 v5, 0x80000000, v5
	v_xor_b32_e32 v6, 0x80000000, v6
	ds_bpermute_b32 v27, v15, v6
	s_waitcnt lgkmcnt(2)
	v_cndmask_b32_e64 v3, 0, v3, s[16:17]
	s_waitcnt lgkmcnt(1)
	v_cndmask_b32_e64 v3, v3, v4, s[14:15]
	ds_bpermute_b32 v4, v15, v5
	ds_bpermute_b32 v28, v19, v25
	;; [unrolled: 1-line block ×5, first 2 shown]
	s_waitcnt lgkmcnt(4)
	v_cndmask_b32_e64 v3, v3, v4, s[12:13]
	v_cndmask_b32_e64 v3, v3, v27, s[10:11]
	s_waitcnt lgkmcnt(3)
	v_cndmask_b32_e64 v4, 0, v28, s[16:17]
	ds_bpermute_b32 v27, v19, v6
	ds_bpermute_b32 v28, v20, v25
	s_waitcnt lgkmcnt(4)
	v_cndmask_b32_e64 v4, v4, v29, s[14:15]
	ds_bpermute_b32 v29, v20, v26
	s_waitcnt lgkmcnt(4)
	v_cndmask_b32_e64 v4, v4, v30, s[12:13]
	ds_bpermute_b32 v30, v20, v5
	ds_bpermute_b32 v25, v17, v25
	;; [unrolled: 1-line block ×4, first 2 shown]
	s_waitcnt lgkmcnt(6)
	v_cndmask_b32_e64 v4, v4, v27, s[10:11]
	s_waitcnt lgkmcnt(5)
	v_cndmask_b32_e64 v27, 0, v28, s[16:17]
	ds_bpermute_b32 v6, v17, v6
	s_waitcnt lgkmcnt(5)
	v_cndmask_b32_e64 v27, v27, v29, s[14:15]
	s_waitcnt lgkmcnt(4)
	v_cndmask_b32_e64 v27, v27, v30, s[12:13]
	;; [unrolled: 2-line block ×3, first 2 shown]
	v_cndmask_b32_e64 v30, v27, v31, s[10:11]
	ds_bpermute_b32 v27, v15, v7
	s_waitcnt lgkmcnt(3)
	v_cndmask_b32_e64 v25, v25, v26, s[14:15]
	s_waitcnt lgkmcnt(2)
	v_cndmask_b32_e64 v5, v25, v5, s[12:13]
	;; [unrolled: 2-line block ×3, first 2 shown]
	ds_bpermute_b32 v6, v15, v8
	ds_bpermute_b32 v25, v15, v1
	;; [unrolled: 1-line block ×3, first 2 shown]
	s_waitcnt lgkmcnt(3)
	v_cndmask_b32_e64 v5, 0, v27, s[16:17]
	ds_bpermute_b32 v27, v19, v7
	ds_bpermute_b32 v28, v19, v8
	s_waitcnt lgkmcnt(4)
	v_cndmask_b32_e64 v5, v5, v6, s[14:15]
	ds_bpermute_b32 v6, v19, v1
	s_waitcnt lgkmcnt(4)
	v_cndmask_b32_e64 v5, v5, v25, s[12:13]
	s_waitcnt lgkmcnt(3)
	v_cndmask_b32_e64 v33, v5, v26, s[10:11]
	ds_bpermute_b32 v25, v19, v2
	ds_bpermute_b32 v26, v20, v7
	s_waitcnt lgkmcnt(4)
	v_cndmask_b32_e64 v5, 0, v27, s[16:17]
	ds_bpermute_b32 v27, v20, v8
	s_waitcnt lgkmcnt(4)
	v_cndmask_b32_e64 v5, v5, v28, s[14:15]
	ds_bpermute_b32 v28, v20, v1
	s_waitcnt lgkmcnt(4)
	v_cndmask_b32_e64 v5, v5, v6, s[12:13]
	ds_bpermute_b32 v6, v20, v2
	ds_bpermute_b32 v7, v17, v7
	ds_bpermute_b32 v8, v17, v8
	s_waitcnt lgkmcnt(6)
	v_cndmask_b32_e64 v35, v5, v25, s[10:11]
	s_waitcnt lgkmcnt(5)
	v_cndmask_b32_e64 v5, 0, v26, s[16:17]
	ds_bpermute_b32 v1, v17, v1
	s_waitcnt lgkmcnt(5)
	v_cndmask_b32_e64 v5, v5, v27, s[14:15]
	ds_bpermute_b32 v2, v17, v2
	s_waitcnt lgkmcnt(5)
	v_cndmask_b32_e64 v5, v5, v28, s[12:13]
	s_waitcnt lgkmcnt(4)
	v_cndmask_b32_e64 v36, v5, v6, s[10:11]
	;; [unrolled: 2-line block ×6, first 2 shown]
	v_mov_b32_e32 v26, v0
	s_barrier
	s_branch .LBB229_4
.LBB229_3:                              ;   in Loop: Header=BB229_4 Depth=2
	s_andn2_b64 vcc, exec, s[38:39]
	s_cbranch_vccz .LBB229_1
.LBB229_4:                              ;   Parent Loop BB229_2 Depth=1
                                        ; =>  This Inner Loop Header: Depth=2
	v_mov_b32_e32 v29, v3
	v_lshrrev_b32_e32 v2, v26, v29
	v_and_b32_e32 v1, 1, v2
	v_mov_b32_e32 v28, v4
	v_add_co_u32_e32 v4, vcc, -1, v1
	v_mov_b32_e32 v27, v30
	v_addc_co_u32_e64 v30, s[38:39], 0, -1, vcc
	v_cmp_ne_u32_e32 vcc, 0, v1
	v_xor_b32_e32 v1, vcc_hi, v30
	v_and_b32_e32 v30, exec_hi, v1
	v_lshlrev_b32_e32 v1, 30, v2
	v_xor_b32_e32 v4, vcc_lo, v4
	v_cmp_gt_i64_e32 vcc, 0, v[0:1]
	v_not_b32_e32 v1, v1
	v_ashrrev_i32_e32 v1, 31, v1
	v_mov_b32_e32 v25, v31
	v_and_b32_e32 v4, exec_lo, v4
	v_xor_b32_e32 v31, vcc_hi, v1
	v_xor_b32_e32 v1, vcc_lo, v1
	v_and_b32_e32 v4, v4, v1
	v_lshlrev_b32_e32 v1, 29, v2
	v_cmp_gt_i64_e32 vcc, 0, v[0:1]
	v_not_b32_e32 v1, v1
	v_ashrrev_i32_e32 v1, 31, v1
	v_and_b32_e32 v30, v30, v31
	v_xor_b32_e32 v31, vcc_hi, v1
	v_xor_b32_e32 v1, vcc_lo, v1
	v_and_b32_e32 v4, v4, v1
	v_lshlrev_b32_e32 v1, 28, v2
	v_cmp_gt_i64_e32 vcc, 0, v[0:1]
	v_not_b32_e32 v1, v1
	v_ashrrev_i32_e32 v1, 31, v1
	v_and_b32_e32 v30, v30, v31
	;; [unrolled: 8-line block ×5, first 2 shown]
	v_xor_b32_e32 v31, vcc_hi, v1
	v_xor_b32_e32 v1, vcc_lo, v1
	v_and_b32_e32 v4, v4, v1
	v_lshlrev_b32_e32 v1, 24, v2
	v_cmp_gt_i64_e32 vcc, 0, v[0:1]
	v_not_b32_e32 v1, v1
	v_ashrrev_i32_e32 v1, 31, v1
	v_mul_u32_u24_sdwa v3, v2, v11 dst_sel:DWORD dst_unused:UNUSED_PAD src0_sel:BYTE_0 src1_sel:DWORD
	v_xor_b32_e32 v2, vcc_hi, v1
	v_xor_b32_e32 v1, vcc_lo, v1
	v_and_b32_e32 v30, v30, v31
	v_and_b32_e32 v1, v4, v1
	;; [unrolled: 1-line block ×3, first 2 shown]
	v_mbcnt_lo_u32_b32 v4, v1, 0
	v_mbcnt_hi_u32_b32 v30, v2, v4
	v_cmp_ne_u64_e32 vcc, 0, v[1:2]
	v_cmp_eq_u32_e64 s[38:39], 0, v30
	v_mov_b32_e32 v5, v37
	v_mov_b32_e32 v6, v36
	;; [unrolled: 1-line block ×4, first 2 shown]
	s_and_b64 s[40:41], vcc, s[38:39]
	v_add_u32_e32 v31, v24, v3
	ds_write2_b32 v9, v0, v0 offset0:5 offset1:6
	ds_write2_b32 v9, v0, v0 offset0:7 offset1:8
	s_waitcnt lgkmcnt(0)
	s_barrier
	; wave barrier
	s_and_saveexec_b64 s[38:39], s[40:41]
; %bb.5:                                ;   in Loop: Header=BB229_4 Depth=2
	v_bcnt_u32_b32 v1, v1, 0
	v_bcnt_u32_b32 v1, v2, v1
	ds_write_b32 v31, v1 offset:20
; %bb.6:                                ;   in Loop: Header=BB229_4 Depth=2
	s_or_b64 exec, exec, s[38:39]
	v_lshrrev_b32_e32 v2, v26, v28
	v_and_b32_e32 v1, 0xff, v2
	v_mul_u32_u24_e32 v3, 20, v1
	v_mad_u32_u24 v1, v1, 20, v24
	; wave barrier
	ds_read_b32 v32, v1 offset:20
	v_and_b32_e32 v1, 1, v2
	v_add_co_u32_e32 v4, vcc, -1, v1
	v_addc_co_u32_e64 v33, s[38:39], 0, -1, vcc
	v_cmp_ne_u32_e32 vcc, 0, v1
	v_xor_b32_e32 v1, vcc_hi, v33
	v_and_b32_e32 v33, exec_hi, v1
	v_lshlrev_b32_e32 v1, 30, v2
	v_xor_b32_e32 v4, vcc_lo, v4
	v_cmp_gt_i64_e32 vcc, 0, v[0:1]
	v_not_b32_e32 v1, v1
	v_ashrrev_i32_e32 v1, 31, v1
	v_and_b32_e32 v4, exec_lo, v4
	v_xor_b32_e32 v34, vcc_hi, v1
	v_xor_b32_e32 v1, vcc_lo, v1
	v_and_b32_e32 v4, v4, v1
	v_lshlrev_b32_e32 v1, 29, v2
	v_cmp_gt_i64_e32 vcc, 0, v[0:1]
	v_not_b32_e32 v1, v1
	v_ashrrev_i32_e32 v1, 31, v1
	v_and_b32_e32 v33, v33, v34
	v_xor_b32_e32 v34, vcc_hi, v1
	v_xor_b32_e32 v1, vcc_lo, v1
	v_and_b32_e32 v4, v4, v1
	v_lshlrev_b32_e32 v1, 28, v2
	v_cmp_gt_i64_e32 vcc, 0, v[0:1]
	v_not_b32_e32 v1, v1
	v_ashrrev_i32_e32 v1, 31, v1
	v_and_b32_e32 v33, v33, v34
	v_xor_b32_e32 v34, vcc_hi, v1
	v_xor_b32_e32 v1, vcc_lo, v1
	v_and_b32_e32 v4, v4, v1
	v_lshlrev_b32_e32 v1, 27, v2
	v_cmp_gt_i64_e32 vcc, 0, v[0:1]
	v_not_b32_e32 v1, v1
	v_ashrrev_i32_e32 v1, 31, v1
	v_and_b32_e32 v33, v33, v34
	v_xor_b32_e32 v34, vcc_hi, v1
	v_xor_b32_e32 v1, vcc_lo, v1
	v_and_b32_e32 v4, v4, v1
	v_lshlrev_b32_e32 v1, 26, v2
	v_cmp_gt_i64_e32 vcc, 0, v[0:1]
	v_not_b32_e32 v1, v1
	v_ashrrev_i32_e32 v1, 31, v1
	v_and_b32_e32 v33, v33, v34
	v_xor_b32_e32 v34, vcc_hi, v1
	v_xor_b32_e32 v1, vcc_lo, v1
	v_and_b32_e32 v4, v4, v1
	v_lshlrev_b32_e32 v1, 25, v2
	v_cmp_gt_i64_e32 vcc, 0, v[0:1]
	v_not_b32_e32 v1, v1
	v_ashrrev_i32_e32 v1, 31, v1
	v_and_b32_e32 v33, v33, v34
	v_xor_b32_e32 v34, vcc_hi, v1
	v_xor_b32_e32 v1, vcc_lo, v1
	v_and_b32_e32 v4, v4, v1
	v_lshlrev_b32_e32 v1, 24, v2
	v_cmp_gt_i64_e32 vcc, 0, v[0:1]
	v_not_b32_e32 v1, v1
	v_ashrrev_i32_e32 v1, 31, v1
	v_xor_b32_e32 v2, vcc_hi, v1
	v_xor_b32_e32 v1, vcc_lo, v1
	v_and_b32_e32 v33, v33, v34
	v_and_b32_e32 v1, v4, v1
	;; [unrolled: 1-line block ×3, first 2 shown]
	v_mbcnt_lo_u32_b32 v4, v1, 0
	v_mbcnt_hi_u32_b32 v33, v2, v4
	v_cmp_ne_u64_e32 vcc, 0, v[1:2]
	v_cmp_eq_u32_e64 s[38:39], 0, v33
	s_and_b64 s[40:41], vcc, s[38:39]
	v_add_u32_e32 v34, v24, v3
	; wave barrier
	s_and_saveexec_b64 s[38:39], s[40:41]
	s_cbranch_execz .LBB229_8
; %bb.7:                                ;   in Loop: Header=BB229_4 Depth=2
	v_bcnt_u32_b32 v1, v1, 0
	v_bcnt_u32_b32 v1, v2, v1
	s_waitcnt lgkmcnt(0)
	v_add_u32_e32 v1, v32, v1
	ds_write_b32 v34, v1 offset:20
.LBB229_8:                              ;   in Loop: Header=BB229_4 Depth=2
	s_or_b64 exec, exec, s[38:39]
	v_lshrrev_b32_e32 v2, v26, v27
	v_and_b32_e32 v1, 0xff, v2
	v_mul_u32_u24_e32 v3, 20, v1
	v_mad_u32_u24 v1, v1, 20, v24
	; wave barrier
	ds_read_b32 v35, v1 offset:20
	v_and_b32_e32 v1, 1, v2
	v_add_co_u32_e32 v4, vcc, -1, v1
	v_addc_co_u32_e64 v36, s[38:39], 0, -1, vcc
	v_cmp_ne_u32_e32 vcc, 0, v1
	v_xor_b32_e32 v1, vcc_hi, v36
	v_and_b32_e32 v36, exec_hi, v1
	v_lshlrev_b32_e32 v1, 30, v2
	v_xor_b32_e32 v4, vcc_lo, v4
	v_cmp_gt_i64_e32 vcc, 0, v[0:1]
	v_not_b32_e32 v1, v1
	v_ashrrev_i32_e32 v1, 31, v1
	v_and_b32_e32 v4, exec_lo, v4
	v_xor_b32_e32 v37, vcc_hi, v1
	v_xor_b32_e32 v1, vcc_lo, v1
	v_and_b32_e32 v4, v4, v1
	v_lshlrev_b32_e32 v1, 29, v2
	v_cmp_gt_i64_e32 vcc, 0, v[0:1]
	v_not_b32_e32 v1, v1
	v_ashrrev_i32_e32 v1, 31, v1
	v_and_b32_e32 v36, v36, v37
	v_xor_b32_e32 v37, vcc_hi, v1
	v_xor_b32_e32 v1, vcc_lo, v1
	v_and_b32_e32 v4, v4, v1
	v_lshlrev_b32_e32 v1, 28, v2
	v_cmp_gt_i64_e32 vcc, 0, v[0:1]
	v_not_b32_e32 v1, v1
	v_ashrrev_i32_e32 v1, 31, v1
	v_and_b32_e32 v36, v36, v37
	;; [unrolled: 8-line block ×5, first 2 shown]
	v_xor_b32_e32 v37, vcc_hi, v1
	v_xor_b32_e32 v1, vcc_lo, v1
	v_and_b32_e32 v4, v4, v1
	v_lshlrev_b32_e32 v1, 24, v2
	v_cmp_gt_i64_e32 vcc, 0, v[0:1]
	v_not_b32_e32 v1, v1
	v_ashrrev_i32_e32 v1, 31, v1
	v_xor_b32_e32 v2, vcc_hi, v1
	v_xor_b32_e32 v1, vcc_lo, v1
	v_and_b32_e32 v36, v36, v37
	v_and_b32_e32 v1, v4, v1
	;; [unrolled: 1-line block ×3, first 2 shown]
	v_mbcnt_lo_u32_b32 v4, v1, 0
	v_mbcnt_hi_u32_b32 v36, v2, v4
	v_cmp_ne_u64_e32 vcc, 0, v[1:2]
	v_cmp_eq_u32_e64 s[38:39], 0, v36
	s_and_b64 s[40:41], vcc, s[38:39]
	v_add_u32_e32 v37, v24, v3
	; wave barrier
	s_and_saveexec_b64 s[38:39], s[40:41]
	s_cbranch_execz .LBB229_10
; %bb.9:                                ;   in Loop: Header=BB229_4 Depth=2
	v_bcnt_u32_b32 v1, v1, 0
	v_bcnt_u32_b32 v1, v2, v1
	s_waitcnt lgkmcnt(0)
	v_add_u32_e32 v1, v35, v1
	ds_write_b32 v37, v1 offset:20
.LBB229_10:                             ;   in Loop: Header=BB229_4 Depth=2
	s_or_b64 exec, exec, s[38:39]
	v_lshrrev_b32_e32 v2, v26, v25
	v_and_b32_e32 v1, 0xff, v2
	v_mul_u32_u24_e32 v3, 20, v1
	v_mad_u32_u24 v1, v1, 20, v24
	; wave barrier
	ds_read_b32 v38, v1 offset:20
	v_and_b32_e32 v1, 1, v2
	v_add_co_u32_e32 v4, vcc, -1, v1
	v_addc_co_u32_e64 v39, s[38:39], 0, -1, vcc
	v_cmp_ne_u32_e32 vcc, 0, v1
	v_xor_b32_e32 v1, vcc_hi, v39
	v_and_b32_e32 v39, exec_hi, v1
	v_lshlrev_b32_e32 v1, 30, v2
	v_xor_b32_e32 v4, vcc_lo, v4
	v_cmp_gt_i64_e32 vcc, 0, v[0:1]
	v_not_b32_e32 v1, v1
	v_ashrrev_i32_e32 v1, 31, v1
	v_and_b32_e32 v4, exec_lo, v4
	v_xor_b32_e32 v40, vcc_hi, v1
	v_xor_b32_e32 v1, vcc_lo, v1
	v_and_b32_e32 v4, v4, v1
	v_lshlrev_b32_e32 v1, 29, v2
	v_cmp_gt_i64_e32 vcc, 0, v[0:1]
	v_not_b32_e32 v1, v1
	v_ashrrev_i32_e32 v1, 31, v1
	v_and_b32_e32 v39, v39, v40
	v_xor_b32_e32 v40, vcc_hi, v1
	v_xor_b32_e32 v1, vcc_lo, v1
	v_and_b32_e32 v4, v4, v1
	v_lshlrev_b32_e32 v1, 28, v2
	v_cmp_gt_i64_e32 vcc, 0, v[0:1]
	v_not_b32_e32 v1, v1
	v_ashrrev_i32_e32 v1, 31, v1
	v_and_b32_e32 v39, v39, v40
	;; [unrolled: 8-line block ×5, first 2 shown]
	v_xor_b32_e32 v40, vcc_hi, v1
	v_xor_b32_e32 v1, vcc_lo, v1
	v_and_b32_e32 v4, v4, v1
	v_lshlrev_b32_e32 v1, 24, v2
	v_cmp_gt_i64_e32 vcc, 0, v[0:1]
	v_not_b32_e32 v1, v1
	v_ashrrev_i32_e32 v1, 31, v1
	v_xor_b32_e32 v2, vcc_hi, v1
	v_xor_b32_e32 v1, vcc_lo, v1
	v_and_b32_e32 v39, v39, v40
	v_and_b32_e32 v1, v4, v1
	;; [unrolled: 1-line block ×3, first 2 shown]
	v_mbcnt_lo_u32_b32 v4, v1, 0
	v_mbcnt_hi_u32_b32 v39, v2, v4
	v_cmp_ne_u64_e32 vcc, 0, v[1:2]
	v_cmp_eq_u32_e64 s[38:39], 0, v39
	s_and_b64 s[40:41], vcc, s[38:39]
	v_add_u32_e32 v40, v24, v3
	; wave barrier
	s_and_saveexec_b64 s[38:39], s[40:41]
	s_cbranch_execz .LBB229_12
; %bb.11:                               ;   in Loop: Header=BB229_4 Depth=2
	v_bcnt_u32_b32 v1, v1, 0
	v_bcnt_u32_b32 v1, v2, v1
	s_waitcnt lgkmcnt(0)
	v_add_u32_e32 v1, v38, v1
	ds_write_b32 v40, v1 offset:20
.LBB229_12:                             ;   in Loop: Header=BB229_4 Depth=2
	s_or_b64 exec, exec, s[38:39]
	; wave barrier
	s_waitcnt lgkmcnt(0)
	s_barrier
	ds_read2_b32 v[3:4], v9 offset0:5 offset1:6
	ds_read2_b32 v[1:2], v9 offset0:7 offset1:8
	s_waitcnt lgkmcnt(1)
	v_add_u32_e32 v41, v4, v3
	s_waitcnt lgkmcnt(0)
	v_add3_u32 v2, v41, v1, v2
	s_nop 1
	v_mov_b32_dpp v41, v2 row_shr:1 row_mask:0xf bank_mask:0xf
	v_cndmask_b32_e64 v41, v41, 0, s[18:19]
	v_add_u32_e32 v2, v41, v2
	s_nop 1
	v_mov_b32_dpp v41, v2 row_shr:2 row_mask:0xf bank_mask:0xf
	v_cndmask_b32_e64 v41, 0, v41, s[20:21]
	v_add_u32_e32 v2, v2, v41
	;; [unrolled: 4-line block ×4, first 2 shown]
	s_nop 1
	v_mov_b32_dpp v41, v2 row_bcast:15 row_mask:0xf bank_mask:0xf
	v_cndmask_b32_e64 v41, v41, 0, s[26:27]
	v_add_u32_e32 v2, v2, v41
	s_nop 1
	v_mov_b32_dpp v41, v2 row_bcast:31 row_mask:0xf bank_mask:0xf
	v_cndmask_b32_e64 v41, 0, v41, s[6:7]
	v_add_u32_e32 v2, v2, v41
	s_and_saveexec_b64 s[38:39], s[36:37]
; %bb.13:                               ;   in Loop: Header=BB229_4 Depth=2
	ds_write_b32 v13, v2
; %bb.14:                               ;   in Loop: Header=BB229_4 Depth=2
	s_or_b64 exec, exec, s[38:39]
	s_waitcnt lgkmcnt(0)
	s_barrier
	s_and_saveexec_b64 s[38:39], s[0:1]
	s_cbranch_execz .LBB229_16
; %bb.15:                               ;   in Loop: Header=BB229_4 Depth=2
	v_add_u32_e32 v41, v9, v12
	ds_read_b32 v42, v41
	s_waitcnt lgkmcnt(0)
	s_nop 0
	v_mov_b32_dpp v43, v42 row_shr:1 row_mask:0xf bank_mask:0xf
	v_cndmask_b32_e64 v43, v43, 0, s[28:29]
	v_add_u32_e32 v42, v43, v42
	s_nop 1
	v_mov_b32_dpp v43, v42 row_shr:2 row_mask:0xf bank_mask:0xf
	v_cndmask_b32_e64 v43, 0, v43, s[30:31]
	v_add_u32_e32 v42, v42, v43
	;; [unrolled: 4-line block ×3, first 2 shown]
	ds_write_b32 v41, v42
.LBB229_16:                             ;   in Loop: Header=BB229_4 Depth=2
	s_or_b64 exec, exec, s[38:39]
	v_mov_b32_e32 v41, 0
	s_waitcnt lgkmcnt(0)
	s_barrier
	s_and_saveexec_b64 s[38:39], s[2:3]
; %bb.17:                               ;   in Loop: Header=BB229_4 Depth=2
	ds_read_b32 v41, v14
; %bb.18:                               ;   in Loop: Header=BB229_4 Depth=2
	s_or_b64 exec, exec, s[38:39]
	s_waitcnt lgkmcnt(0)
	v_add_u32_e32 v2, v41, v2
	ds_bpermute_b32 v2, v16, v2
	v_cmp_lt_u32_e32 vcc, 23, v26
	s_and_b64 vcc, exec, vcc
	s_mov_b64 s[38:39], -1
	s_waitcnt lgkmcnt(0)
	v_cndmask_b32_e64 v2, v2, v41, s[8:9]
	v_cndmask_b32_e64 v2, v2, 0, s[4:5]
	v_add_u32_e32 v3, v2, v3
	v_add_u32_e32 v4, v3, v4
	;; [unrolled: 1-line block ×3, first 2 shown]
	ds_write2_b32 v9, v2, v3 offset0:5 offset1:6
	ds_write2_b32 v9, v4, v1 offset0:7 offset1:8
	s_waitcnt lgkmcnt(0)
	s_barrier
	ds_read_b32 v1, v31 offset:20
	ds_read_b32 v2, v34 offset:20
	;; [unrolled: 1-line block ×4, first 2 shown]
                                        ; implicit-def: $vgpr31
                                        ; implicit-def: $vgpr37
	s_waitcnt lgkmcnt(3)
	v_add_u32_e32 v34, v1, v30
	s_waitcnt lgkmcnt(2)
	v_add3_u32 v32, v33, v32, v2
	s_waitcnt lgkmcnt(1)
	v_add3_u32 v2, v36, v35, v3
	;; [unrolled: 2-line block ×3, first 2 shown]
                                        ; implicit-def: $vgpr30
                                        ; implicit-def: $vgpr4
                                        ; implicit-def: $vgpr3
                                        ; implicit-def: $vgpr36
                                        ; implicit-def: $vgpr35
                                        ; implicit-def: $vgpr33
	s_cbranch_vccnz .LBB229_3
; %bb.19:                               ;   in Loop: Header=BB229_4 Depth=2
	v_lshrrev_b32_e32 v3, 3, v34
	v_and_b32_e32 v3, 0x1ffffffc, v3
	v_lshl_add_u32 v33, v34, 2, v3
	v_lshrrev_b32_e32 v3, 3, v32
	v_and_b32_e32 v3, 0x1ffffffc, v3
	v_lshl_add_u32 v35, v32, 2, v3
	v_lshrrev_b32_e32 v3, 3, v2
	v_and_b32_e32 v3, 0x1ffffffc, v3
	v_lshl_add_u32 v36, v2, 2, v3
	v_lshrrev_b32_e32 v3, 3, v1
	v_and_b32_e32 v3, 0x1ffffffc, v3
	v_lshl_add_u32 v37, v1, 2, v3
	s_barrier
	ds_write_b32 v33, v29
	ds_write_b32 v35, v28
	;; [unrolled: 1-line block ×4, first 2 shown]
	s_waitcnt lgkmcnt(0)
	s_barrier
	ds_read_b32 v3, v18
	ds_read_b32 v4, v21 offset:256
	ds_read_b32 v30, v22 offset:512
	;; [unrolled: 1-line block ×3, first 2 shown]
	s_waitcnt lgkmcnt(0)
	s_barrier
	ds_write_b32 v33, v8
	ds_write_b32 v35, v7
	;; [unrolled: 1-line block ×4, first 2 shown]
	s_waitcnt lgkmcnt(0)
	s_barrier
	ds_read_b32 v33, v18
	ds_read_b32 v35, v21 offset:256
	ds_read_b32 v36, v22 offset:512
	;; [unrolled: 1-line block ×3, first 2 shown]
	v_add_u32_e32 v26, 8, v26
	s_mov_b64 s[38:39], 0
	s_waitcnt lgkmcnt(0)
	s_barrier
	s_branch .LBB229_3
.LBB229_20:
	s_add_u32 s0, s42, s44
	s_waitcnt lgkmcnt(1)
	v_add_u32_e32 v0, v3, v7
	s_addc_u32 s1, s43, s45
	v_add_u32_e32 v3, v4, v8
	s_waitcnt lgkmcnt(0)
	v_add_u32_e32 v1, v5, v1
	v_add_u32_e32 v2, v6, v2
	global_store_dword v10, v0, s[0:1]
	global_store_dword v10, v3, s[0:1] offset:1280
	global_store_dword v10, v1, s[0:1] offset:2560
	;; [unrolled: 1-line block ×3, first 2 shown]
	s_endpgm
	.section	.rodata,"a",@progbits
	.p2align	6, 0x0
	.amdhsa_kernel _Z17sort_pairs_kernelI22helper_blocked_stripediLj320ELj4ELj10EEvPKT0_PS1_
		.amdhsa_group_segment_fixed_size 5280
		.amdhsa_private_segment_fixed_size 0
		.amdhsa_kernarg_size 272
		.amdhsa_user_sgpr_count 6
		.amdhsa_user_sgpr_private_segment_buffer 1
		.amdhsa_user_sgpr_dispatch_ptr 0
		.amdhsa_user_sgpr_queue_ptr 0
		.amdhsa_user_sgpr_kernarg_segment_ptr 1
		.amdhsa_user_sgpr_dispatch_id 0
		.amdhsa_user_sgpr_flat_scratch_init 0
		.amdhsa_user_sgpr_private_segment_size 0
		.amdhsa_uses_dynamic_stack 0
		.amdhsa_system_sgpr_private_segment_wavefront_offset 0
		.amdhsa_system_sgpr_workgroup_id_x 1
		.amdhsa_system_sgpr_workgroup_id_y 0
		.amdhsa_system_sgpr_workgroup_id_z 0
		.amdhsa_system_sgpr_workgroup_info 0
		.amdhsa_system_vgpr_workitem_id 2
		.amdhsa_next_free_vgpr 44
		.amdhsa_next_free_sgpr 48
		.amdhsa_reserve_vcc 1
		.amdhsa_reserve_flat_scratch 0
		.amdhsa_float_round_mode_32 0
		.amdhsa_float_round_mode_16_64 0
		.amdhsa_float_denorm_mode_32 3
		.amdhsa_float_denorm_mode_16_64 3
		.amdhsa_dx10_clamp 1
		.amdhsa_ieee_mode 1
		.amdhsa_fp16_overflow 0
		.amdhsa_exception_fp_ieee_invalid_op 0
		.amdhsa_exception_fp_denorm_src 0
		.amdhsa_exception_fp_ieee_div_zero 0
		.amdhsa_exception_fp_ieee_overflow 0
		.amdhsa_exception_fp_ieee_underflow 0
		.amdhsa_exception_fp_ieee_inexact 0
		.amdhsa_exception_int_div_zero 0
	.end_amdhsa_kernel
	.section	.text._Z17sort_pairs_kernelI22helper_blocked_stripediLj320ELj4ELj10EEvPKT0_PS1_,"axG",@progbits,_Z17sort_pairs_kernelI22helper_blocked_stripediLj320ELj4ELj10EEvPKT0_PS1_,comdat
.Lfunc_end229:
	.size	_Z17sort_pairs_kernelI22helper_blocked_stripediLj320ELj4ELj10EEvPKT0_PS1_, .Lfunc_end229-_Z17sort_pairs_kernelI22helper_blocked_stripediLj320ELj4ELj10EEvPKT0_PS1_
                                        ; -- End function
	.set _Z17sort_pairs_kernelI22helper_blocked_stripediLj320ELj4ELj10EEvPKT0_PS1_.num_vgpr, 44
	.set _Z17sort_pairs_kernelI22helper_blocked_stripediLj320ELj4ELj10EEvPKT0_PS1_.num_agpr, 0
	.set _Z17sort_pairs_kernelI22helper_blocked_stripediLj320ELj4ELj10EEvPKT0_PS1_.numbered_sgpr, 48
	.set _Z17sort_pairs_kernelI22helper_blocked_stripediLj320ELj4ELj10EEvPKT0_PS1_.num_named_barrier, 0
	.set _Z17sort_pairs_kernelI22helper_blocked_stripediLj320ELj4ELj10EEvPKT0_PS1_.private_seg_size, 0
	.set _Z17sort_pairs_kernelI22helper_blocked_stripediLj320ELj4ELj10EEvPKT0_PS1_.uses_vcc, 1
	.set _Z17sort_pairs_kernelI22helper_blocked_stripediLj320ELj4ELj10EEvPKT0_PS1_.uses_flat_scratch, 0
	.set _Z17sort_pairs_kernelI22helper_blocked_stripediLj320ELj4ELj10EEvPKT0_PS1_.has_dyn_sized_stack, 0
	.set _Z17sort_pairs_kernelI22helper_blocked_stripediLj320ELj4ELj10EEvPKT0_PS1_.has_recursion, 0
	.set _Z17sort_pairs_kernelI22helper_blocked_stripediLj320ELj4ELj10EEvPKT0_PS1_.has_indirect_call, 0
	.section	.AMDGPU.csdata,"",@progbits
; Kernel info:
; codeLenInByte = 3720
; TotalNumSgprs: 52
; NumVgprs: 44
; ScratchSize: 0
; MemoryBound: 0
; FloatMode: 240
; IeeeMode: 1
; LDSByteSize: 5280 bytes/workgroup (compile time only)
; SGPRBlocks: 6
; VGPRBlocks: 10
; NumSGPRsForWavesPerEU: 52
; NumVGPRsForWavesPerEU: 44
; Occupancy: 5
; WaveLimiterHint : 1
; COMPUTE_PGM_RSRC2:SCRATCH_EN: 0
; COMPUTE_PGM_RSRC2:USER_SGPR: 6
; COMPUTE_PGM_RSRC2:TRAP_HANDLER: 0
; COMPUTE_PGM_RSRC2:TGID_X_EN: 1
; COMPUTE_PGM_RSRC2:TGID_Y_EN: 0
; COMPUTE_PGM_RSRC2:TGID_Z_EN: 0
; COMPUTE_PGM_RSRC2:TIDIG_COMP_CNT: 2
	.section	.text._Z16sort_keys_kernelI22helper_blocked_stripediLj320ELj8ELj10EEvPKT0_PS1_,"axG",@progbits,_Z16sort_keys_kernelI22helper_blocked_stripediLj320ELj8ELj10EEvPKT0_PS1_,comdat
	.protected	_Z16sort_keys_kernelI22helper_blocked_stripediLj320ELj8ELj10EEvPKT0_PS1_ ; -- Begin function _Z16sort_keys_kernelI22helper_blocked_stripediLj320ELj8ELj10EEvPKT0_PS1_
	.globl	_Z16sort_keys_kernelI22helper_blocked_stripediLj320ELj8ELj10EEvPKT0_PS1_
	.p2align	8
	.type	_Z16sort_keys_kernelI22helper_blocked_stripediLj320ELj8ELj10EEvPKT0_PS1_,@function
_Z16sort_keys_kernelI22helper_blocked_stripediLj320ELj8ELj10EEvPKT0_PS1_: ; @_Z16sort_keys_kernelI22helper_blocked_stripediLj320ELj8ELj10EEvPKT0_PS1_
; %bb.0:
	s_load_dwordx4 s[28:31], s[4:5], 0x0
	s_load_dword s2, s[4:5], 0x1c
	s_mul_i32 s34, s6, 0xa00
	s_mov_b32 s35, 0
	s_lshl_b64 s[36:37], s[34:35], 2
	s_waitcnt lgkmcnt(0)
	s_add_u32 s0, s28, s36
	s_addc_u32 s1, s29, s37
	v_lshlrev_b32_e32 v11, 5, v0
	global_load_dwordx4 v[7:10], v11, s[0:1]
	global_load_dwordx4 v[3:6], v11, s[0:1] offset:16
	v_mbcnt_lo_u32_b32 v11, -1, 0
	v_lshlrev_b32_e32 v12, 3, v0
	v_mbcnt_hi_u32_b32 v24, -1, v11
	s_movk_i32 s0, 0xe00
	v_and_or_b32 v19, v12, s0, v24
	s_lshr_b32 s0, s2, 16
	s_and_b32 s1, s2, 0xffff
	v_mad_u32_u24 v1, v2, s0, v1
	v_mad_u64_u32 v[1:2], s[0:1], v1, s1, v[0:1]
	v_and_b32_e32 v2, 15, v24
	v_and_b32_e32 v21, 0x1c0, v0
	v_cmp_eq_u32_e64 s[0:1], 0, v2
	v_cmp_lt_u32_e64 s[2:3], 1, v2
	v_cmp_lt_u32_e64 s[4:5], 3, v2
	;; [unrolled: 1-line block ×3, first 2 shown]
	v_and_b32_e32 v2, 16, v24
	v_cmp_eq_u32_e64 s[8:9], 0, v2
	v_min_u32_e32 v2, 0x100, v21
	v_or_b32_e32 v2, 63, v2
	v_add_u32_e32 v11, v24, v21
	v_cmp_eq_u32_e64 s[12:13], v0, v2
	v_subrev_co_u32_e64 v2, s[18:19], 1, v24
	v_and_b32_e32 v21, 64, v24
	v_and_b32_e32 v13, 0x3fc, v11
	v_cmp_lt_i32_e32 vcc, v2, v21
	v_lshl_add_u32 v11, v11, 5, v13
	v_lshrrev_b32_e32 v12, 3, v19
	v_lshlrev_b32_e32 v20, 2, v19
	v_add_u32_e32 v13, 64, v19
	v_or_b32_e32 v14, 0x80, v19
	v_add_u32_e32 v15, 0xc0, v19
	v_or_b32_e32 v16, 0x100, v19
	;; [unrolled: 2-line block ×3, first 2 shown]
	v_add_u32_e32 v19, 0x1c0, v19
	v_cndmask_b32_e32 v2, v2, v24, vcc
	v_lshrrev_b32_e32 v13, 3, v13
	v_lshrrev_b32_e32 v14, 3, v14
	;; [unrolled: 1-line block ×7, first 2 shown]
	v_lshlrev_b32_e32 v21, 2, v2
	v_lshrrev_b32_e32 v2, 4, v0
	v_and_b32_e32 v12, 0x1cc, v12
	v_and_b32_e32 v13, 0x1dc, v13
	;; [unrolled: 1-line block ×10, first 2 shown]
	v_lshrrev_b32_e32 v1, 4, v1
	v_add_u32_e32 v12, v12, v20
	v_add_u32_e32 v13, v13, v20
	;; [unrolled: 1-line block ×8, first 2 shown]
	v_lshlrev_b32_e32 v20, 4, v0
	v_cmp_lt_u32_e64 s[10:11], 31, v24
	v_cmp_gt_u32_e64 s[14:15], 5, v0
	v_cmp_lt_u32_e64 s[16:17], 63, v0
	v_cmp_eq_u32_e64 s[20:21], 0, v0
	v_mul_i32_i24_e32 v23, -12, v0
	v_cmp_eq_u32_e64 s[22:23], 0, v2
	v_cmp_lt_u32_e64 s[24:25], 1, v2
	v_cmp_lt_u32_e64 s[26:27], 3, v2
	v_add_u32_e32 v24, -4, v22
	v_and_b32_e32 v25, 0xffffffc, v1
	v_mov_b32_e32 v1, 0
	v_mov_b32_e32 v26, 20
	s_branch .LBB230_2
.LBB230_1:                              ;   in Loop: Header=BB230_2 Depth=1
	v_lshlrev_b32_e32 v3, 2, v3
	v_lshlrev_b32_e32 v2, 2, v2
	s_barrier
	ds_write_b32 v3, v30
	ds_write_b32 v2, v29
	v_lshlrev_b32_e32 v2, 2, v4
	ds_write_b32 v2, v28
	v_lshlrev_b32_e32 v2, 2, v34
	;; [unrolled: 2-line block ×6, first 2 shown]
	ds_write_b32 v2, v6
	v_add_u32_e32 v6, v20, v23
	s_waitcnt lgkmcnt(0)
	s_barrier
	ds_read2st64_b32 v[2:3], v6 offset1:5
	ds_read2st64_b32 v[4:5], v6 offset0:10 offset1:15
	ds_read2st64_b32 v[27:28], v6 offset0:20 offset1:25
	ds_read2st64_b32 v[29:30], v6 offset0:30 offset1:35
	s_add_i32 s35, s35, 1
	s_waitcnt lgkmcnt(3)
	v_xor_b32_e32 v7, 0x80000000, v2
	v_xor_b32_e32 v8, 0x80000000, v3
	s_waitcnt lgkmcnt(2)
	v_xor_b32_e32 v9, 0x80000000, v4
	v_xor_b32_e32 v10, 0x80000000, v5
	s_waitcnt lgkmcnt(1)
	v_xor_b32_e32 v3, 0x80000000, v27
	v_xor_b32_e32 v4, 0x80000000, v28
	s_waitcnt lgkmcnt(0)
	v_xor_b32_e32 v5, 0x80000000, v29
	s_cmp_eq_u32 s35, 10
	v_xor_b32_e32 v6, 0x80000000, v30
	s_cbranch_scc1 .LBB230_28
.LBB230_2:                              ; =>This Loop Header: Depth=1
                                        ;     Child Loop BB230_4 Depth 2
	s_waitcnt vmcnt(1)
	v_xor_b32_e32 v2, 0x80000000, v7
	v_xor_b32_e32 v7, 0x80000000, v8
	;; [unrolled: 1-line block ×4, first 2 shown]
	s_waitcnt vmcnt(0)
	v_xor_b32_e32 v3, 0x80000000, v3
	v_xor_b32_e32 v4, 0x80000000, v4
	;; [unrolled: 1-line block ×4, first 2 shown]
	ds_write2_b32 v11, v2, v7 offset1:1
	ds_write2_b32 v11, v8, v9 offset0:2 offset1:3
	ds_write2_b32 v11, v3, v4 offset0:4 offset1:5
	;; [unrolled: 1-line block ×3, first 2 shown]
	; wave barrier
	ds_read_b32 v35, v12
	ds_read_b32 v36, v13 offset:256
	ds_read_b32 v37, v14 offset:512
	;; [unrolled: 1-line block ×7, first 2 shown]
	v_mov_b32_e32 v10, v1
	s_waitcnt lgkmcnt(0)
	s_barrier
	; wave barrier
	s_barrier
	s_branch .LBB230_4
.LBB230_3:                              ;   in Loop: Header=BB230_4 Depth=2
	s_andn2_b64 vcc, exec, s[28:29]
	s_cbranch_vccz .LBB230_1
.LBB230_4:                              ;   Parent Loop BB230_2 Depth=1
                                        ; =>  This Inner Loop Header: Depth=2
	v_mov_b32_e32 v30, v35
	v_lshrrev_b32_e32 v3, v10, v30
	v_and_b32_e32 v2, 1, v3
	v_add_co_u32_e32 v5, vcc, -1, v2
	v_addc_co_u32_e64 v31, s[28:29], 0, -1, vcc
	v_cmp_ne_u32_e32 vcc, 0, v2
	v_xor_b32_e32 v2, vcc_hi, v31
	v_and_b32_e32 v31, exec_hi, v2
	v_lshlrev_b32_e32 v2, 30, v3
	v_xor_b32_e32 v5, vcc_lo, v5
	v_cmp_gt_i64_e32 vcc, 0, v[1:2]
	v_not_b32_e32 v2, v2
	v_ashrrev_i32_e32 v2, 31, v2
	v_and_b32_e32 v5, exec_lo, v5
	v_xor_b32_e32 v32, vcc_hi, v2
	v_xor_b32_e32 v2, vcc_lo, v2
	v_and_b32_e32 v5, v5, v2
	v_lshlrev_b32_e32 v2, 29, v3
	v_cmp_gt_i64_e32 vcc, 0, v[1:2]
	v_not_b32_e32 v2, v2
	v_ashrrev_i32_e32 v2, 31, v2
	v_and_b32_e32 v31, v31, v32
	v_xor_b32_e32 v32, vcc_hi, v2
	v_xor_b32_e32 v2, vcc_lo, v2
	v_and_b32_e32 v5, v5, v2
	v_lshlrev_b32_e32 v2, 28, v3
	v_cmp_gt_i64_e32 vcc, 0, v[1:2]
	v_not_b32_e32 v2, v2
	v_ashrrev_i32_e32 v2, 31, v2
	v_and_b32_e32 v31, v31, v32
	;; [unrolled: 8-line block ×5, first 2 shown]
	v_xor_b32_e32 v32, vcc_hi, v2
	v_xor_b32_e32 v2, vcc_lo, v2
	v_and_b32_e32 v5, v5, v2
	v_lshlrev_b32_e32 v2, 24, v3
	v_cmp_gt_i64_e32 vcc, 0, v[1:2]
	v_not_b32_e32 v2, v2
	v_ashrrev_i32_e32 v2, 31, v2
	v_mul_u32_u24_sdwa v4, v3, v26 dst_sel:DWORD dst_unused:UNUSED_PAD src0_sel:BYTE_0 src1_sel:DWORD
	v_xor_b32_e32 v3, vcc_hi, v2
	v_xor_b32_e32 v2, vcc_lo, v2
	v_and_b32_e32 v31, v31, v32
	v_and_b32_e32 v2, v5, v2
	v_and_b32_e32 v3, v31, v3
	v_mbcnt_lo_u32_b32 v5, v2, 0
	v_mbcnt_hi_u32_b32 v31, v3, v5
	v_cmp_ne_u64_e32 vcc, 0, v[2:3]
	v_cmp_eq_u32_e64 s[28:29], 0, v31
	v_mov_b32_e32 v6, v42
	v_mov_b32_e32 v7, v41
	;; [unrolled: 1-line block ×7, first 2 shown]
	s_and_b64 s[38:39], vcc, s[28:29]
	v_add_u32_e32 v32, v25, v4
	ds_write2_b32 v20, v1, v1 offset0:5 offset1:6
	ds_write2_b32 v20, v1, v1 offset0:7 offset1:8
	s_waitcnt lgkmcnt(0)
	s_barrier
	; wave barrier
	s_and_saveexec_b64 s[28:29], s[38:39]
; %bb.5:                                ;   in Loop: Header=BB230_4 Depth=2
	v_bcnt_u32_b32 v2, v2, 0
	v_bcnt_u32_b32 v2, v3, v2
	ds_write_b32 v32, v2 offset:20
; %bb.6:                                ;   in Loop: Header=BB230_4 Depth=2
	s_or_b64 exec, exec, s[28:29]
	v_lshrrev_b32_e32 v3, v10, v29
	v_and_b32_e32 v2, 0xff, v3
	v_mul_u32_u24_e32 v4, 20, v2
	v_mad_u32_u24 v2, v2, 20, v25
	; wave barrier
	ds_read_b32 v33, v2 offset:20
	v_and_b32_e32 v2, 1, v3
	v_add_co_u32_e32 v5, vcc, -1, v2
	v_addc_co_u32_e64 v34, s[28:29], 0, -1, vcc
	v_cmp_ne_u32_e32 vcc, 0, v2
	v_xor_b32_e32 v2, vcc_hi, v34
	v_and_b32_e32 v34, exec_hi, v2
	v_lshlrev_b32_e32 v2, 30, v3
	v_xor_b32_e32 v5, vcc_lo, v5
	v_cmp_gt_i64_e32 vcc, 0, v[1:2]
	v_not_b32_e32 v2, v2
	v_ashrrev_i32_e32 v2, 31, v2
	v_and_b32_e32 v5, exec_lo, v5
	v_xor_b32_e32 v35, vcc_hi, v2
	v_xor_b32_e32 v2, vcc_lo, v2
	v_and_b32_e32 v5, v5, v2
	v_lshlrev_b32_e32 v2, 29, v3
	v_cmp_gt_i64_e32 vcc, 0, v[1:2]
	v_not_b32_e32 v2, v2
	v_ashrrev_i32_e32 v2, 31, v2
	v_and_b32_e32 v34, v34, v35
	v_xor_b32_e32 v35, vcc_hi, v2
	v_xor_b32_e32 v2, vcc_lo, v2
	v_and_b32_e32 v5, v5, v2
	v_lshlrev_b32_e32 v2, 28, v3
	v_cmp_gt_i64_e32 vcc, 0, v[1:2]
	v_not_b32_e32 v2, v2
	v_ashrrev_i32_e32 v2, 31, v2
	v_and_b32_e32 v34, v34, v35
	;; [unrolled: 8-line block ×5, first 2 shown]
	v_xor_b32_e32 v35, vcc_hi, v2
	v_xor_b32_e32 v2, vcc_lo, v2
	v_and_b32_e32 v5, v5, v2
	v_lshlrev_b32_e32 v2, 24, v3
	v_cmp_gt_i64_e32 vcc, 0, v[1:2]
	v_not_b32_e32 v2, v2
	v_ashrrev_i32_e32 v2, 31, v2
	v_xor_b32_e32 v3, vcc_hi, v2
	v_xor_b32_e32 v2, vcc_lo, v2
	v_and_b32_e32 v34, v34, v35
	v_and_b32_e32 v2, v5, v2
	;; [unrolled: 1-line block ×3, first 2 shown]
	v_mbcnt_lo_u32_b32 v5, v2, 0
	v_mbcnt_hi_u32_b32 v34, v3, v5
	v_cmp_ne_u64_e32 vcc, 0, v[2:3]
	v_cmp_eq_u32_e64 s[28:29], 0, v34
	s_and_b64 s[38:39], vcc, s[28:29]
	v_add_u32_e32 v35, v25, v4
	; wave barrier
	s_and_saveexec_b64 s[28:29], s[38:39]
	s_cbranch_execz .LBB230_8
; %bb.7:                                ;   in Loop: Header=BB230_4 Depth=2
	v_bcnt_u32_b32 v2, v2, 0
	v_bcnt_u32_b32 v2, v3, v2
	s_waitcnt lgkmcnt(0)
	v_add_u32_e32 v2, v33, v2
	ds_write_b32 v35, v2 offset:20
.LBB230_8:                              ;   in Loop: Header=BB230_4 Depth=2
	s_or_b64 exec, exec, s[28:29]
	v_lshrrev_b32_e32 v3, v10, v28
	v_and_b32_e32 v2, 0xff, v3
	v_mul_u32_u24_e32 v4, 20, v2
	v_mad_u32_u24 v2, v2, 20, v25
	; wave barrier
	ds_read_b32 v36, v2 offset:20
	v_and_b32_e32 v2, 1, v3
	v_add_co_u32_e32 v5, vcc, -1, v2
	v_addc_co_u32_e64 v37, s[28:29], 0, -1, vcc
	v_cmp_ne_u32_e32 vcc, 0, v2
	v_xor_b32_e32 v2, vcc_hi, v37
	v_and_b32_e32 v37, exec_hi, v2
	v_lshlrev_b32_e32 v2, 30, v3
	v_xor_b32_e32 v5, vcc_lo, v5
	v_cmp_gt_i64_e32 vcc, 0, v[1:2]
	v_not_b32_e32 v2, v2
	v_ashrrev_i32_e32 v2, 31, v2
	v_and_b32_e32 v5, exec_lo, v5
	v_xor_b32_e32 v38, vcc_hi, v2
	v_xor_b32_e32 v2, vcc_lo, v2
	v_and_b32_e32 v5, v5, v2
	v_lshlrev_b32_e32 v2, 29, v3
	v_cmp_gt_i64_e32 vcc, 0, v[1:2]
	v_not_b32_e32 v2, v2
	v_ashrrev_i32_e32 v2, 31, v2
	v_and_b32_e32 v37, v37, v38
	v_xor_b32_e32 v38, vcc_hi, v2
	v_xor_b32_e32 v2, vcc_lo, v2
	v_and_b32_e32 v5, v5, v2
	v_lshlrev_b32_e32 v2, 28, v3
	v_cmp_gt_i64_e32 vcc, 0, v[1:2]
	v_not_b32_e32 v2, v2
	v_ashrrev_i32_e32 v2, 31, v2
	v_and_b32_e32 v37, v37, v38
	;; [unrolled: 8-line block ×5, first 2 shown]
	v_xor_b32_e32 v38, vcc_hi, v2
	v_xor_b32_e32 v2, vcc_lo, v2
	v_and_b32_e32 v5, v5, v2
	v_lshlrev_b32_e32 v2, 24, v3
	v_cmp_gt_i64_e32 vcc, 0, v[1:2]
	v_not_b32_e32 v2, v2
	v_ashrrev_i32_e32 v2, 31, v2
	v_xor_b32_e32 v3, vcc_hi, v2
	v_xor_b32_e32 v2, vcc_lo, v2
	v_and_b32_e32 v37, v37, v38
	v_and_b32_e32 v2, v5, v2
	;; [unrolled: 1-line block ×3, first 2 shown]
	v_mbcnt_lo_u32_b32 v5, v2, 0
	v_mbcnt_hi_u32_b32 v37, v3, v5
	v_cmp_ne_u64_e32 vcc, 0, v[2:3]
	v_cmp_eq_u32_e64 s[28:29], 0, v37
	s_and_b64 s[38:39], vcc, s[28:29]
	v_add_u32_e32 v38, v25, v4
	; wave barrier
	s_and_saveexec_b64 s[28:29], s[38:39]
	s_cbranch_execz .LBB230_10
; %bb.9:                                ;   in Loop: Header=BB230_4 Depth=2
	v_bcnt_u32_b32 v2, v2, 0
	v_bcnt_u32_b32 v2, v3, v2
	s_waitcnt lgkmcnt(0)
	v_add_u32_e32 v2, v36, v2
	ds_write_b32 v38, v2 offset:20
.LBB230_10:                             ;   in Loop: Header=BB230_4 Depth=2
	s_or_b64 exec, exec, s[28:29]
	v_lshrrev_b32_e32 v3, v10, v27
	v_and_b32_e32 v2, 0xff, v3
	v_mul_u32_u24_e32 v4, 20, v2
	v_mad_u32_u24 v2, v2, 20, v25
	; wave barrier
	ds_read_b32 v39, v2 offset:20
	v_and_b32_e32 v2, 1, v3
	v_add_co_u32_e32 v5, vcc, -1, v2
	v_addc_co_u32_e64 v40, s[28:29], 0, -1, vcc
	v_cmp_ne_u32_e32 vcc, 0, v2
	v_xor_b32_e32 v2, vcc_hi, v40
	v_and_b32_e32 v40, exec_hi, v2
	v_lshlrev_b32_e32 v2, 30, v3
	v_xor_b32_e32 v5, vcc_lo, v5
	v_cmp_gt_i64_e32 vcc, 0, v[1:2]
	v_not_b32_e32 v2, v2
	v_ashrrev_i32_e32 v2, 31, v2
	v_and_b32_e32 v5, exec_lo, v5
	v_xor_b32_e32 v41, vcc_hi, v2
	v_xor_b32_e32 v2, vcc_lo, v2
	v_and_b32_e32 v5, v5, v2
	v_lshlrev_b32_e32 v2, 29, v3
	v_cmp_gt_i64_e32 vcc, 0, v[1:2]
	v_not_b32_e32 v2, v2
	v_ashrrev_i32_e32 v2, 31, v2
	v_and_b32_e32 v40, v40, v41
	v_xor_b32_e32 v41, vcc_hi, v2
	v_xor_b32_e32 v2, vcc_lo, v2
	v_and_b32_e32 v5, v5, v2
	v_lshlrev_b32_e32 v2, 28, v3
	v_cmp_gt_i64_e32 vcc, 0, v[1:2]
	v_not_b32_e32 v2, v2
	v_ashrrev_i32_e32 v2, 31, v2
	v_and_b32_e32 v40, v40, v41
	;; [unrolled: 8-line block ×5, first 2 shown]
	v_xor_b32_e32 v41, vcc_hi, v2
	v_xor_b32_e32 v2, vcc_lo, v2
	v_and_b32_e32 v5, v5, v2
	v_lshlrev_b32_e32 v2, 24, v3
	v_cmp_gt_i64_e32 vcc, 0, v[1:2]
	v_not_b32_e32 v2, v2
	v_ashrrev_i32_e32 v2, 31, v2
	v_xor_b32_e32 v3, vcc_hi, v2
	v_xor_b32_e32 v2, vcc_lo, v2
	v_and_b32_e32 v40, v40, v41
	v_and_b32_e32 v2, v5, v2
	;; [unrolled: 1-line block ×3, first 2 shown]
	v_mbcnt_lo_u32_b32 v5, v2, 0
	v_mbcnt_hi_u32_b32 v40, v3, v5
	v_cmp_ne_u64_e32 vcc, 0, v[2:3]
	v_cmp_eq_u32_e64 s[28:29], 0, v40
	s_and_b64 s[38:39], vcc, s[28:29]
	v_add_u32_e32 v41, v25, v4
	; wave barrier
	s_and_saveexec_b64 s[28:29], s[38:39]
	s_cbranch_execz .LBB230_12
; %bb.11:                               ;   in Loop: Header=BB230_4 Depth=2
	v_bcnt_u32_b32 v2, v2, 0
	v_bcnt_u32_b32 v2, v3, v2
	s_waitcnt lgkmcnt(0)
	v_add_u32_e32 v2, v39, v2
	ds_write_b32 v41, v2 offset:20
.LBB230_12:                             ;   in Loop: Header=BB230_4 Depth=2
	s_or_b64 exec, exec, s[28:29]
	v_lshrrev_b32_e32 v3, v10, v9
	v_and_b32_e32 v2, 0xff, v3
	v_mul_u32_u24_e32 v4, 20, v2
	v_mad_u32_u24 v2, v2, 20, v25
	; wave barrier
	ds_read_b32 v42, v2 offset:20
	v_and_b32_e32 v2, 1, v3
	v_add_co_u32_e32 v5, vcc, -1, v2
	v_addc_co_u32_e64 v43, s[28:29], 0, -1, vcc
	v_cmp_ne_u32_e32 vcc, 0, v2
	v_xor_b32_e32 v2, vcc_hi, v43
	v_and_b32_e32 v43, exec_hi, v2
	v_lshlrev_b32_e32 v2, 30, v3
	v_xor_b32_e32 v5, vcc_lo, v5
	v_cmp_gt_i64_e32 vcc, 0, v[1:2]
	v_not_b32_e32 v2, v2
	v_ashrrev_i32_e32 v2, 31, v2
	v_and_b32_e32 v5, exec_lo, v5
	v_xor_b32_e32 v44, vcc_hi, v2
	v_xor_b32_e32 v2, vcc_lo, v2
	v_and_b32_e32 v5, v5, v2
	v_lshlrev_b32_e32 v2, 29, v3
	v_cmp_gt_i64_e32 vcc, 0, v[1:2]
	v_not_b32_e32 v2, v2
	v_ashrrev_i32_e32 v2, 31, v2
	v_and_b32_e32 v43, v43, v44
	v_xor_b32_e32 v44, vcc_hi, v2
	v_xor_b32_e32 v2, vcc_lo, v2
	v_and_b32_e32 v5, v5, v2
	v_lshlrev_b32_e32 v2, 28, v3
	v_cmp_gt_i64_e32 vcc, 0, v[1:2]
	v_not_b32_e32 v2, v2
	v_ashrrev_i32_e32 v2, 31, v2
	v_and_b32_e32 v43, v43, v44
	;; [unrolled: 8-line block ×5, first 2 shown]
	v_xor_b32_e32 v44, vcc_hi, v2
	v_xor_b32_e32 v2, vcc_lo, v2
	v_and_b32_e32 v5, v5, v2
	v_lshlrev_b32_e32 v2, 24, v3
	v_cmp_gt_i64_e32 vcc, 0, v[1:2]
	v_not_b32_e32 v2, v2
	v_ashrrev_i32_e32 v2, 31, v2
	v_xor_b32_e32 v3, vcc_hi, v2
	v_xor_b32_e32 v2, vcc_lo, v2
	v_and_b32_e32 v43, v43, v44
	v_and_b32_e32 v2, v5, v2
	;; [unrolled: 1-line block ×3, first 2 shown]
	v_mbcnt_lo_u32_b32 v5, v2, 0
	v_mbcnt_hi_u32_b32 v43, v3, v5
	v_cmp_ne_u64_e32 vcc, 0, v[2:3]
	v_cmp_eq_u32_e64 s[28:29], 0, v43
	s_and_b64 s[38:39], vcc, s[28:29]
	v_add_u32_e32 v44, v25, v4
	; wave barrier
	s_and_saveexec_b64 s[28:29], s[38:39]
	s_cbranch_execz .LBB230_14
; %bb.13:                               ;   in Loop: Header=BB230_4 Depth=2
	v_bcnt_u32_b32 v2, v2, 0
	v_bcnt_u32_b32 v2, v3, v2
	s_waitcnt lgkmcnt(0)
	v_add_u32_e32 v2, v42, v2
	ds_write_b32 v44, v2 offset:20
.LBB230_14:                             ;   in Loop: Header=BB230_4 Depth=2
	s_or_b64 exec, exec, s[28:29]
	v_lshrrev_b32_e32 v3, v10, v8
	v_and_b32_e32 v2, 0xff, v3
	v_mul_u32_u24_e32 v4, 20, v2
	v_mad_u32_u24 v2, v2, 20, v25
	; wave barrier
	ds_read_b32 v45, v2 offset:20
	v_and_b32_e32 v2, 1, v3
	v_add_co_u32_e32 v5, vcc, -1, v2
	v_addc_co_u32_e64 v46, s[28:29], 0, -1, vcc
	v_cmp_ne_u32_e32 vcc, 0, v2
	v_xor_b32_e32 v2, vcc_hi, v46
	v_and_b32_e32 v46, exec_hi, v2
	v_lshlrev_b32_e32 v2, 30, v3
	v_xor_b32_e32 v5, vcc_lo, v5
	v_cmp_gt_i64_e32 vcc, 0, v[1:2]
	v_not_b32_e32 v2, v2
	v_ashrrev_i32_e32 v2, 31, v2
	v_and_b32_e32 v5, exec_lo, v5
	v_xor_b32_e32 v47, vcc_hi, v2
	v_xor_b32_e32 v2, vcc_lo, v2
	v_and_b32_e32 v5, v5, v2
	v_lshlrev_b32_e32 v2, 29, v3
	v_cmp_gt_i64_e32 vcc, 0, v[1:2]
	v_not_b32_e32 v2, v2
	v_ashrrev_i32_e32 v2, 31, v2
	v_and_b32_e32 v46, v46, v47
	v_xor_b32_e32 v47, vcc_hi, v2
	v_xor_b32_e32 v2, vcc_lo, v2
	v_and_b32_e32 v5, v5, v2
	v_lshlrev_b32_e32 v2, 28, v3
	v_cmp_gt_i64_e32 vcc, 0, v[1:2]
	v_not_b32_e32 v2, v2
	v_ashrrev_i32_e32 v2, 31, v2
	v_and_b32_e32 v46, v46, v47
	;; [unrolled: 8-line block ×5, first 2 shown]
	v_xor_b32_e32 v47, vcc_hi, v2
	v_xor_b32_e32 v2, vcc_lo, v2
	v_and_b32_e32 v5, v5, v2
	v_lshlrev_b32_e32 v2, 24, v3
	v_cmp_gt_i64_e32 vcc, 0, v[1:2]
	v_not_b32_e32 v2, v2
	v_ashrrev_i32_e32 v2, 31, v2
	v_xor_b32_e32 v3, vcc_hi, v2
	v_xor_b32_e32 v2, vcc_lo, v2
	v_and_b32_e32 v46, v46, v47
	v_and_b32_e32 v2, v5, v2
	;; [unrolled: 1-line block ×3, first 2 shown]
	v_mbcnt_lo_u32_b32 v5, v2, 0
	v_mbcnt_hi_u32_b32 v46, v3, v5
	v_cmp_ne_u64_e32 vcc, 0, v[2:3]
	v_cmp_eq_u32_e64 s[28:29], 0, v46
	s_and_b64 s[38:39], vcc, s[28:29]
	v_add_u32_e32 v47, v25, v4
	; wave barrier
	s_and_saveexec_b64 s[28:29], s[38:39]
	s_cbranch_execz .LBB230_16
; %bb.15:                               ;   in Loop: Header=BB230_4 Depth=2
	v_bcnt_u32_b32 v2, v2, 0
	v_bcnt_u32_b32 v2, v3, v2
	s_waitcnt lgkmcnt(0)
	v_add_u32_e32 v2, v45, v2
	ds_write_b32 v47, v2 offset:20
.LBB230_16:                             ;   in Loop: Header=BB230_4 Depth=2
	s_or_b64 exec, exec, s[28:29]
	v_lshrrev_b32_e32 v3, v10, v7
	v_and_b32_e32 v2, 0xff, v3
	v_mul_u32_u24_e32 v4, 20, v2
	v_mad_u32_u24 v2, v2, 20, v25
	; wave barrier
	ds_read_b32 v48, v2 offset:20
	v_and_b32_e32 v2, 1, v3
	v_add_co_u32_e32 v5, vcc, -1, v2
	v_addc_co_u32_e64 v49, s[28:29], 0, -1, vcc
	v_cmp_ne_u32_e32 vcc, 0, v2
	v_xor_b32_e32 v2, vcc_hi, v49
	v_and_b32_e32 v49, exec_hi, v2
	v_lshlrev_b32_e32 v2, 30, v3
	v_xor_b32_e32 v5, vcc_lo, v5
	v_cmp_gt_i64_e32 vcc, 0, v[1:2]
	v_not_b32_e32 v2, v2
	v_ashrrev_i32_e32 v2, 31, v2
	v_and_b32_e32 v5, exec_lo, v5
	v_xor_b32_e32 v50, vcc_hi, v2
	v_xor_b32_e32 v2, vcc_lo, v2
	v_and_b32_e32 v5, v5, v2
	v_lshlrev_b32_e32 v2, 29, v3
	v_cmp_gt_i64_e32 vcc, 0, v[1:2]
	v_not_b32_e32 v2, v2
	v_ashrrev_i32_e32 v2, 31, v2
	v_and_b32_e32 v49, v49, v50
	v_xor_b32_e32 v50, vcc_hi, v2
	v_xor_b32_e32 v2, vcc_lo, v2
	v_and_b32_e32 v5, v5, v2
	v_lshlrev_b32_e32 v2, 28, v3
	v_cmp_gt_i64_e32 vcc, 0, v[1:2]
	v_not_b32_e32 v2, v2
	v_ashrrev_i32_e32 v2, 31, v2
	v_and_b32_e32 v49, v49, v50
	;; [unrolled: 8-line block ×5, first 2 shown]
	v_xor_b32_e32 v50, vcc_hi, v2
	v_xor_b32_e32 v2, vcc_lo, v2
	v_and_b32_e32 v5, v5, v2
	v_lshlrev_b32_e32 v2, 24, v3
	v_cmp_gt_i64_e32 vcc, 0, v[1:2]
	v_not_b32_e32 v2, v2
	v_ashrrev_i32_e32 v2, 31, v2
	v_xor_b32_e32 v3, vcc_hi, v2
	v_xor_b32_e32 v2, vcc_lo, v2
	v_and_b32_e32 v49, v49, v50
	v_and_b32_e32 v2, v5, v2
	;; [unrolled: 1-line block ×3, first 2 shown]
	v_mbcnt_lo_u32_b32 v5, v2, 0
	v_mbcnt_hi_u32_b32 v49, v3, v5
	v_cmp_ne_u64_e32 vcc, 0, v[2:3]
	v_cmp_eq_u32_e64 s[28:29], 0, v49
	s_and_b64 s[38:39], vcc, s[28:29]
	v_add_u32_e32 v50, v25, v4
	; wave barrier
	s_and_saveexec_b64 s[28:29], s[38:39]
	s_cbranch_execz .LBB230_18
; %bb.17:                               ;   in Loop: Header=BB230_4 Depth=2
	v_bcnt_u32_b32 v2, v2, 0
	v_bcnt_u32_b32 v2, v3, v2
	s_waitcnt lgkmcnt(0)
	v_add_u32_e32 v2, v48, v2
	ds_write_b32 v50, v2 offset:20
.LBB230_18:                             ;   in Loop: Header=BB230_4 Depth=2
	s_or_b64 exec, exec, s[28:29]
	v_lshrrev_b32_e32 v3, v10, v6
	v_and_b32_e32 v2, 0xff, v3
	v_mul_u32_u24_e32 v4, 20, v2
	v_mad_u32_u24 v2, v2, 20, v25
	; wave barrier
	ds_read_b32 v51, v2 offset:20
	v_and_b32_e32 v2, 1, v3
	v_add_co_u32_e32 v5, vcc, -1, v2
	v_addc_co_u32_e64 v52, s[28:29], 0, -1, vcc
	v_cmp_ne_u32_e32 vcc, 0, v2
	v_xor_b32_e32 v2, vcc_hi, v52
	v_and_b32_e32 v52, exec_hi, v2
	v_lshlrev_b32_e32 v2, 30, v3
	v_xor_b32_e32 v5, vcc_lo, v5
	v_cmp_gt_i64_e32 vcc, 0, v[1:2]
	v_not_b32_e32 v2, v2
	v_ashrrev_i32_e32 v2, 31, v2
	v_and_b32_e32 v5, exec_lo, v5
	v_xor_b32_e32 v53, vcc_hi, v2
	v_xor_b32_e32 v2, vcc_lo, v2
	v_and_b32_e32 v5, v5, v2
	v_lshlrev_b32_e32 v2, 29, v3
	v_cmp_gt_i64_e32 vcc, 0, v[1:2]
	v_not_b32_e32 v2, v2
	v_ashrrev_i32_e32 v2, 31, v2
	v_and_b32_e32 v52, v52, v53
	v_xor_b32_e32 v53, vcc_hi, v2
	v_xor_b32_e32 v2, vcc_lo, v2
	v_and_b32_e32 v5, v5, v2
	v_lshlrev_b32_e32 v2, 28, v3
	v_cmp_gt_i64_e32 vcc, 0, v[1:2]
	v_not_b32_e32 v2, v2
	v_ashrrev_i32_e32 v2, 31, v2
	v_and_b32_e32 v52, v52, v53
	;; [unrolled: 8-line block ×5, first 2 shown]
	v_xor_b32_e32 v53, vcc_hi, v2
	v_xor_b32_e32 v2, vcc_lo, v2
	v_and_b32_e32 v5, v5, v2
	v_lshlrev_b32_e32 v2, 24, v3
	v_cmp_gt_i64_e32 vcc, 0, v[1:2]
	v_not_b32_e32 v2, v2
	v_ashrrev_i32_e32 v2, 31, v2
	v_xor_b32_e32 v3, vcc_hi, v2
	v_xor_b32_e32 v2, vcc_lo, v2
	v_and_b32_e32 v52, v52, v53
	v_and_b32_e32 v2, v5, v2
	;; [unrolled: 1-line block ×3, first 2 shown]
	v_mbcnt_lo_u32_b32 v5, v2, 0
	v_mbcnt_hi_u32_b32 v52, v3, v5
	v_cmp_ne_u64_e32 vcc, 0, v[2:3]
	v_cmp_eq_u32_e64 s[28:29], 0, v52
	s_and_b64 s[38:39], vcc, s[28:29]
	v_add_u32_e32 v53, v25, v4
	; wave barrier
	s_and_saveexec_b64 s[28:29], s[38:39]
	s_cbranch_execz .LBB230_20
; %bb.19:                               ;   in Loop: Header=BB230_4 Depth=2
	v_bcnt_u32_b32 v2, v2, 0
	v_bcnt_u32_b32 v2, v3, v2
	s_waitcnt lgkmcnt(0)
	v_add_u32_e32 v2, v51, v2
	ds_write_b32 v53, v2 offset:20
.LBB230_20:                             ;   in Loop: Header=BB230_4 Depth=2
	s_or_b64 exec, exec, s[28:29]
	; wave barrier
	s_waitcnt lgkmcnt(0)
	s_barrier
	ds_read2_b32 v[4:5], v20 offset0:5 offset1:6
	ds_read2_b32 v[2:3], v20 offset0:7 offset1:8
	s_waitcnt lgkmcnt(1)
	v_add_u32_e32 v54, v5, v4
	s_waitcnt lgkmcnt(0)
	v_add3_u32 v3, v54, v2, v3
	s_nop 1
	v_mov_b32_dpp v54, v3 row_shr:1 row_mask:0xf bank_mask:0xf
	v_cndmask_b32_e64 v54, v54, 0, s[0:1]
	v_add_u32_e32 v3, v54, v3
	s_nop 1
	v_mov_b32_dpp v54, v3 row_shr:2 row_mask:0xf bank_mask:0xf
	v_cndmask_b32_e64 v54, 0, v54, s[2:3]
	v_add_u32_e32 v3, v3, v54
	s_nop 1
	v_mov_b32_dpp v54, v3 row_shr:4 row_mask:0xf bank_mask:0xf
	v_cndmask_b32_e64 v54, 0, v54, s[4:5]
	v_add_u32_e32 v3, v3, v54
	s_nop 1
	v_mov_b32_dpp v54, v3 row_shr:8 row_mask:0xf bank_mask:0xf
	v_cndmask_b32_e64 v54, 0, v54, s[6:7]
	v_add_u32_e32 v3, v3, v54
	s_nop 1
	v_mov_b32_dpp v54, v3 row_bcast:15 row_mask:0xf bank_mask:0xf
	v_cndmask_b32_e64 v54, v54, 0, s[8:9]
	v_add_u32_e32 v3, v3, v54
	s_nop 1
	v_mov_b32_dpp v54, v3 row_bcast:31 row_mask:0xf bank_mask:0xf
	v_cndmask_b32_e64 v54, 0, v54, s[10:11]
	v_add_u32_e32 v3, v3, v54
	s_and_saveexec_b64 s[28:29], s[12:13]
; %bb.21:                               ;   in Loop: Header=BB230_4 Depth=2
	ds_write_b32 v22, v3
; %bb.22:                               ;   in Loop: Header=BB230_4 Depth=2
	s_or_b64 exec, exec, s[28:29]
	s_waitcnt lgkmcnt(0)
	s_barrier
	s_and_saveexec_b64 s[28:29], s[14:15]
	s_cbranch_execz .LBB230_24
; %bb.23:                               ;   in Loop: Header=BB230_4 Depth=2
	v_add_u32_e32 v54, v20, v23
	ds_read_b32 v55, v54
	s_waitcnt lgkmcnt(0)
	s_nop 0
	v_mov_b32_dpp v56, v55 row_shr:1 row_mask:0xf bank_mask:0xf
	v_cndmask_b32_e64 v56, v56, 0, s[22:23]
	v_add_u32_e32 v55, v56, v55
	s_nop 1
	v_mov_b32_dpp v56, v55 row_shr:2 row_mask:0xf bank_mask:0xf
	v_cndmask_b32_e64 v56, 0, v56, s[24:25]
	v_add_u32_e32 v55, v55, v56
	;; [unrolled: 4-line block ×3, first 2 shown]
	ds_write_b32 v54, v55
.LBB230_24:                             ;   in Loop: Header=BB230_4 Depth=2
	s_or_b64 exec, exec, s[28:29]
	v_mov_b32_e32 v54, 0
	s_waitcnt lgkmcnt(0)
	s_barrier
	s_and_saveexec_b64 s[28:29], s[16:17]
; %bb.25:                               ;   in Loop: Header=BB230_4 Depth=2
	ds_read_b32 v54, v24
; %bb.26:                               ;   in Loop: Header=BB230_4 Depth=2
	s_or_b64 exec, exec, s[28:29]
	s_waitcnt lgkmcnt(0)
	v_add_u32_e32 v3, v54, v3
	ds_bpermute_b32 v3, v21, v3
	v_cmp_lt_u32_e32 vcc, 23, v10
	s_and_b64 vcc, exec, vcc
	s_mov_b64 s[28:29], -1
	s_waitcnt lgkmcnt(0)
	v_cndmask_b32_e64 v3, v3, v54, s[18:19]
	v_cndmask_b32_e64 v3, v3, 0, s[20:21]
	v_add_u32_e32 v4, v3, v4
	v_add_u32_e32 v5, v4, v5
	;; [unrolled: 1-line block ×3, first 2 shown]
	ds_write2_b32 v20, v3, v4 offset0:5 offset1:6
	ds_write2_b32 v20, v5, v2 offset0:7 offset1:8
	s_waitcnt lgkmcnt(0)
	s_barrier
	ds_read_b32 v2, v32 offset:20
	ds_read_b32 v4, v35 offset:20
	ds_read_b32 v5, v38 offset:20
                                        ; implicit-def: $vgpr38
	s_waitcnt lgkmcnt(2)
	v_add_u32_e32 v3, v2, v31
	s_waitcnt lgkmcnt(1)
	v_add3_u32 v2, v34, v33, v4
	ds_read_b32 v31, v41 offset:20
	s_waitcnt lgkmcnt(1)
	v_add3_u32 v4, v37, v36, v5
	ds_read_b32 v5, v44 offset:20
	ds_read_b32 v32, v47 offset:20
	ds_read_b32 v35, v50 offset:20
	ds_read_b32 v36, v53 offset:20
                                        ; implicit-def: $vgpr41
                                        ; implicit-def: $vgpr37
	s_waitcnt lgkmcnt(3)
	v_add3_u32 v33, v43, v42, v5
	v_add3_u32 v34, v40, v39, v31
	s_waitcnt lgkmcnt(2)
	v_add3_u32 v32, v46, v45, v32
	s_waitcnt lgkmcnt(1)
	;; [unrolled: 2-line block ×3, first 2 shown]
	v_add3_u32 v5, v52, v51, v36
                                        ; implicit-def: $vgpr42
                                        ; implicit-def: $vgpr40
                                        ; implicit-def: $vgpr39
                                        ; implicit-def: $vgpr36
                                        ; implicit-def: $vgpr35
	s_cbranch_vccnz .LBB230_3
; %bb.27:                               ;   in Loop: Header=BB230_4 Depth=2
	v_lshrrev_b32_e32 v35, 3, v3
	v_and_b32_e32 v35, 0x1ffffffc, v35
	v_lshl_add_u32 v35, v3, 2, v35
	s_barrier
	ds_write_b32 v35, v30
	v_lshrrev_b32_e32 v35, 3, v2
	v_and_b32_e32 v35, 0x1ffffffc, v35
	v_lshl_add_u32 v35, v2, 2, v35
	ds_write_b32 v35, v29
	v_lshrrev_b32_e32 v35, 3, v4
	v_and_b32_e32 v35, 0x1ffffffc, v35
	v_lshl_add_u32 v35, v4, 2, v35
	;; [unrolled: 4-line block ×7, first 2 shown]
	ds_write_b32 v35, v6
	s_waitcnt lgkmcnt(0)
	s_barrier
	ds_read_b32 v35, v12
	ds_read_b32 v36, v13 offset:256
	ds_read_b32 v37, v14 offset:512
	;; [unrolled: 1-line block ×7, first 2 shown]
	v_add_u32_e32 v10, 8, v10
	s_mov_b64 s[28:29], 0
	s_waitcnt lgkmcnt(0)
	s_barrier
	s_branch .LBB230_3
.LBB230_28:
	s_add_u32 s0, s30, s36
	s_addc_u32 s1, s31, s37
	v_lshlrev_b32_e32 v0, 2, v0
	v_mov_b32_e32 v1, s1
	v_add_co_u32_e32 v2, vcc, s0, v0
	v_addc_co_u32_e32 v11, vcc, 0, v1, vcc
	global_store_dword v0, v7, s[0:1]
	global_store_dword v0, v8, s[0:1] offset:1280
	global_store_dword v0, v9, s[0:1] offset:2560
	;; [unrolled: 1-line block ×3, first 2 shown]
	v_add_co_u32_e32 v0, vcc, 0x1000, v2
	v_addc_co_u32_e32 v1, vcc, 0, v11, vcc
	global_store_dword v[0:1], v3, off offset:1024
	global_store_dword v[0:1], v4, off offset:2304
	;; [unrolled: 1-line block ×3, first 2 shown]
	v_add_co_u32_e32 v0, vcc, 0x2000, v2
	v_addc_co_u32_e32 v1, vcc, 0, v11, vcc
	global_store_dword v[0:1], v6, off offset:768
	s_endpgm
	.section	.rodata,"a",@progbits
	.p2align	6, 0x0
	.amdhsa_kernel _Z16sort_keys_kernelI22helper_blocked_stripediLj320ELj8ELj10EEvPKT0_PS1_
		.amdhsa_group_segment_fixed_size 10560
		.amdhsa_private_segment_fixed_size 0
		.amdhsa_kernarg_size 272
		.amdhsa_user_sgpr_count 6
		.amdhsa_user_sgpr_private_segment_buffer 1
		.amdhsa_user_sgpr_dispatch_ptr 0
		.amdhsa_user_sgpr_queue_ptr 0
		.amdhsa_user_sgpr_kernarg_segment_ptr 1
		.amdhsa_user_sgpr_dispatch_id 0
		.amdhsa_user_sgpr_flat_scratch_init 0
		.amdhsa_user_sgpr_private_segment_size 0
		.amdhsa_uses_dynamic_stack 0
		.amdhsa_system_sgpr_private_segment_wavefront_offset 0
		.amdhsa_system_sgpr_workgroup_id_x 1
		.amdhsa_system_sgpr_workgroup_id_y 0
		.amdhsa_system_sgpr_workgroup_id_z 0
		.amdhsa_system_sgpr_workgroup_info 0
		.amdhsa_system_vgpr_workitem_id 2
		.amdhsa_next_free_vgpr 57
		.amdhsa_next_free_sgpr 61
		.amdhsa_reserve_vcc 1
		.amdhsa_reserve_flat_scratch 0
		.amdhsa_float_round_mode_32 0
		.amdhsa_float_round_mode_16_64 0
		.amdhsa_float_denorm_mode_32 3
		.amdhsa_float_denorm_mode_16_64 3
		.amdhsa_dx10_clamp 1
		.amdhsa_ieee_mode 1
		.amdhsa_fp16_overflow 0
		.amdhsa_exception_fp_ieee_invalid_op 0
		.amdhsa_exception_fp_denorm_src 0
		.amdhsa_exception_fp_ieee_div_zero 0
		.amdhsa_exception_fp_ieee_overflow 0
		.amdhsa_exception_fp_ieee_underflow 0
		.amdhsa_exception_fp_ieee_inexact 0
		.amdhsa_exception_int_div_zero 0
	.end_amdhsa_kernel
	.section	.text._Z16sort_keys_kernelI22helper_blocked_stripediLj320ELj8ELj10EEvPKT0_PS1_,"axG",@progbits,_Z16sort_keys_kernelI22helper_blocked_stripediLj320ELj8ELj10EEvPKT0_PS1_,comdat
.Lfunc_end230:
	.size	_Z16sort_keys_kernelI22helper_blocked_stripediLj320ELj8ELj10EEvPKT0_PS1_, .Lfunc_end230-_Z16sort_keys_kernelI22helper_blocked_stripediLj320ELj8ELj10EEvPKT0_PS1_
                                        ; -- End function
	.set _Z16sort_keys_kernelI22helper_blocked_stripediLj320ELj8ELj10EEvPKT0_PS1_.num_vgpr, 57
	.set _Z16sort_keys_kernelI22helper_blocked_stripediLj320ELj8ELj10EEvPKT0_PS1_.num_agpr, 0
	.set _Z16sort_keys_kernelI22helper_blocked_stripediLj320ELj8ELj10EEvPKT0_PS1_.numbered_sgpr, 40
	.set _Z16sort_keys_kernelI22helper_blocked_stripediLj320ELj8ELj10EEvPKT0_PS1_.num_named_barrier, 0
	.set _Z16sort_keys_kernelI22helper_blocked_stripediLj320ELj8ELj10EEvPKT0_PS1_.private_seg_size, 0
	.set _Z16sort_keys_kernelI22helper_blocked_stripediLj320ELj8ELj10EEvPKT0_PS1_.uses_vcc, 1
	.set _Z16sort_keys_kernelI22helper_blocked_stripediLj320ELj8ELj10EEvPKT0_PS1_.uses_flat_scratch, 0
	.set _Z16sort_keys_kernelI22helper_blocked_stripediLj320ELj8ELj10EEvPKT0_PS1_.has_dyn_sized_stack, 0
	.set _Z16sort_keys_kernelI22helper_blocked_stripediLj320ELj8ELj10EEvPKT0_PS1_.has_recursion, 0
	.set _Z16sort_keys_kernelI22helper_blocked_stripediLj320ELj8ELj10EEvPKT0_PS1_.has_indirect_call, 0
	.section	.AMDGPU.csdata,"",@progbits
; Kernel info:
; codeLenInByte = 4988
; TotalNumSgprs: 44
; NumVgprs: 57
; ScratchSize: 0
; MemoryBound: 0
; FloatMode: 240
; IeeeMode: 1
; LDSByteSize: 10560 bytes/workgroup (compile time only)
; SGPRBlocks: 8
; VGPRBlocks: 14
; NumSGPRsForWavesPerEU: 65
; NumVGPRsForWavesPerEU: 57
; Occupancy: 4
; WaveLimiterHint : 1
; COMPUTE_PGM_RSRC2:SCRATCH_EN: 0
; COMPUTE_PGM_RSRC2:USER_SGPR: 6
; COMPUTE_PGM_RSRC2:TRAP_HANDLER: 0
; COMPUTE_PGM_RSRC2:TGID_X_EN: 1
; COMPUTE_PGM_RSRC2:TGID_Y_EN: 0
; COMPUTE_PGM_RSRC2:TGID_Z_EN: 0
; COMPUTE_PGM_RSRC2:TIDIG_COMP_CNT: 2
	.section	.text._Z17sort_pairs_kernelI22helper_blocked_stripediLj320ELj8ELj10EEvPKT0_PS1_,"axG",@progbits,_Z17sort_pairs_kernelI22helper_blocked_stripediLj320ELj8ELj10EEvPKT0_PS1_,comdat
	.protected	_Z17sort_pairs_kernelI22helper_blocked_stripediLj320ELj8ELj10EEvPKT0_PS1_ ; -- Begin function _Z17sort_pairs_kernelI22helper_blocked_stripediLj320ELj8ELj10EEvPKT0_PS1_
	.globl	_Z17sort_pairs_kernelI22helper_blocked_stripediLj320ELj8ELj10EEvPKT0_PS1_
	.p2align	8
	.type	_Z17sort_pairs_kernelI22helper_blocked_stripediLj320ELj8ELj10EEvPKT0_PS1_,@function
_Z17sort_pairs_kernelI22helper_blocked_stripediLj320ELj8ELj10EEvPKT0_PS1_: ; @_Z17sort_pairs_kernelI22helper_blocked_stripediLj320ELj8ELj10EEvPKT0_PS1_
; %bb.0:
	s_load_dwordx4 s[28:31], s[4:5], 0x0
	s_load_dword s22, s[4:5], 0x1c
	s_mul_i32 s36, s6, 0xa00
	s_mov_b32 s37, 0
	s_lshl_b64 s[34:35], s[36:37], 2
	s_waitcnt lgkmcnt(0)
	s_add_u32 s0, s28, s34
	s_addc_u32 s1, s29, s35
	v_lshlrev_b32_e32 v11, 5, v0
	global_load_dwordx4 v[7:10], v11, s[0:1]
	global_load_dwordx4 v[3:6], v11, s[0:1] offset:16
	s_lshr_b32 s23, s22, 16
	v_mbcnt_lo_u32_b32 v11, -1, 0
	s_and_b32 s22, s22, 0xffff
	v_mad_u32_u24 v1, v2, s23, v1
	s_movk_i32 s0, 0xe00
	v_lshlrev_b32_e32 v12, 3, v0
	v_mbcnt_hi_u32_b32 v11, -1, v11
	v_and_b32_e32 v13, 0x1c0, v0
	v_mad_u64_u32 v[1:2], s[22:23], v1, s22, v[0:1]
	v_add_u32_e32 v14, v11, v13
	v_and_or_b32 v12, v12, s0, v11
	v_and_b32_e32 v15, 15, v11
	v_and_b32_e32 v16, 16, v11
	v_subrev_co_u32_e64 v17, s[2:3], 1, v11
	v_and_b32_e32 v18, 64, v11
	v_min_u32_e32 v13, 0x100, v13
	v_and_b32_e32 v19, 7, v11
	v_and_b32_e32 v20, 0x3fc, v14
	v_lshrrev_b32_e32 v21, 3, v12
	v_lshlrev_b32_e32 v27, 2, v12
	v_add_u32_e32 v22, 64, v12
	v_or_b32_e32 v23, 0x80, v12
	v_add_u32_e32 v24, 0xc0, v12
	v_or_b32_e32 v25, 0x100, v12
	v_cmp_eq_u32_e64 s[4:5], 0, v15
	v_cmp_lt_u32_e64 s[6:7], 1, v15
	v_cmp_lt_u32_e64 s[8:9], 3, v15
	;; [unrolled: 1-line block ×3, first 2 shown]
	v_add_u32_e32 v15, 0x140, v12
	v_cmp_eq_u32_e64 s[12:13], 0, v16
	v_or_b32_e32 v16, 0x180, v12
	v_add_u32_e32 v12, 0x1c0, v12
	v_cmp_lt_i32_e32 vcc, v17, v18
	v_cmp_lt_u32_e64 s[0:1], 31, v11
	v_or_b32_e32 v13, 63, v13
	v_cndmask_b32_e32 v28, v17, v11, vcc
	v_cmp_eq_u32_e64 s[14:15], 0, v19
	v_cmp_lt_u32_e64 s[16:17], 1, v19
	v_cmp_lt_u32_e64 s[18:19], 3, v19
	v_lshl_add_u32 v19, v14, 5, v20
	v_and_b32_e32 v11, 0x1cc, v21
	v_lshrrev_b32_e32 v14, 3, v22
	v_lshrrev_b32_e32 v17, 3, v23
	;; [unrolled: 1-line block ×7, first 2 shown]
	v_cmp_eq_u32_e64 s[20:21], v0, v13
	v_add_u32_e32 v20, v11, v27
	v_and_b32_e32 v11, 0x1dc, v14
	v_and_b32_e32 v13, 0x1dc, v17
	;; [unrolled: 1-line block ×7, first 2 shown]
	v_lshrrev_b32_e32 v1, 4, v1
	v_lshrrev_b32_e32 v2, 4, v0
	v_add_u32_e32 v21, v11, v27
	v_add_u32_e32 v22, v13, v27
	;; [unrolled: 1-line block ×7, first 2 shown]
	v_cmp_gt_u32_e64 s[22:23], 5, v0
	v_cmp_lt_u32_e64 s[24:25], 63, v0
	v_lshlrev_b32_e32 v28, 2, v28
	v_cmp_eq_u32_e64 s[26:27], 0, v0
	v_and_b32_e32 v29, 28, v2
	v_and_b32_e32 v30, 0xffffffc, v1
	v_lshlrev_b32_e32 v31, 4, v0
	v_mul_i32_i24_e32 v32, -12, v0
	v_mov_b32_e32 v1, 0
	s_waitcnt vmcnt(1)
	v_add_u32_e32 v11, 1, v7
	v_add_u32_e32 v12, 1, v8
	;; [unrolled: 1-line block ×4, first 2 shown]
	s_waitcnt vmcnt(0)
	v_add_u32_e32 v15, 1, v3
	v_add_u32_e32 v16, 1, v4
	;; [unrolled: 1-line block ×4, first 2 shown]
	s_branch .LBB231_2
.LBB231_1:                              ;   in Loop: Header=BB231_2 Depth=1
	v_lshlrev_b32_e32 v14, 2, v3
	v_lshlrev_b32_e32 v41, 2, v2
	;; [unrolled: 1-line block ×5, first 2 shown]
	s_barrier
	ds_write_b32 v14, v36
	ds_write_b32 v41, v35
	;; [unrolled: 1-line block ×5, first 2 shown]
	v_lshlrev_b32_e32 v18, 2, v38
	ds_write_b32 v18, v17
	v_lshlrev_b32_e32 v17, 2, v37
	ds_write_b32 v17, v16
	v_lshlrev_b32_e32 v16, 2, v5
	v_add_u32_e32 v37, v31, v32
	ds_write_b32 v16, v12
	s_waitcnt lgkmcnt(0)
	s_barrier
	ds_read2st64_b32 v[2:3], v37 offset1:5
	ds_read2st64_b32 v[4:5], v37 offset0:10 offset1:15
	ds_read2st64_b32 v[33:34], v37 offset0:20 offset1:25
	;; [unrolled: 1-line block ×3, first 2 shown]
	s_waitcnt lgkmcnt(0)
	s_barrier
	ds_write_b32 v14, v15
	ds_write_b32 v41, v13
	;; [unrolled: 1-line block ×8, first 2 shown]
	s_waitcnt lgkmcnt(0)
	s_barrier
	ds_read2st64_b32 v[11:12], v37 offset1:5
	ds_read2st64_b32 v[13:14], v37 offset0:10 offset1:15
	ds_read2st64_b32 v[15:16], v37 offset0:20 offset1:25
	ds_read2st64_b32 v[17:18], v37 offset0:30 offset1:35
	s_add_i32 s37, s37, 1
	v_xor_b32_e32 v7, 0x80000000, v2
	v_xor_b32_e32 v8, 0x80000000, v3
	;; [unrolled: 1-line block ×7, first 2 shown]
	s_cmp_eq_u32 s37, 10
	v_xor_b32_e32 v6, 0x80000000, v36
	s_cbranch_scc1 .LBB231_28
.LBB231_2:                              ; =>This Loop Header: Depth=1
                                        ;     Child Loop BB231_4 Depth 2
	v_xor_b32_e32 v2, 0x80000000, v7
	v_xor_b32_e32 v7, 0x80000000, v8
	;; [unrolled: 1-line block ×8, first 2 shown]
	ds_write2_b32 v19, v2, v7 offset1:1
	ds_write2_b32 v19, v8, v9 offset0:2 offset1:3
	ds_write2_b32 v19, v3, v4 offset0:4 offset1:5
	;; [unrolled: 1-line block ×3, first 2 shown]
	; wave barrier
	ds_read_b32 v41, v20
	ds_read_b32 v42, v21 offset:256
	ds_read_b32 v43, v22 offset:512
	;; [unrolled: 1-line block ×7, first 2 shown]
	; wave barrier
	s_waitcnt lgkmcnt(14)
	ds_write2_b32 v19, v11, v12 offset1:1
	ds_write2_b32 v19, v13, v14 offset0:2 offset1:3
	s_waitcnt lgkmcnt(14)
	ds_write2_b32 v19, v15, v16 offset0:4 offset1:5
	ds_write2_b32 v19, v17, v18 offset0:6 offset1:7
	; wave barrier
	ds_read_b32 v49, v20
	ds_read_b32 v50, v21 offset:256
	ds_read_b32 v51, v22 offset:512
	;; [unrolled: 1-line block ×7, first 2 shown]
	v_mov_b32_e32 v14, v1
	s_waitcnt lgkmcnt(0)
	s_barrier
	s_branch .LBB231_4
.LBB231_3:                              ;   in Loop: Header=BB231_4 Depth=2
	s_andn2_b64 vcc, exec, s[28:29]
	s_cbranch_vccz .LBB231_1
.LBB231_4:                              ;   Parent Loop BB231_2 Depth=1
                                        ; =>  This Inner Loop Header: Depth=2
	v_mov_b32_e32 v36, v41
	v_lshrrev_b32_e32 v3, v14, v36
	v_mov_b32_e32 v2, 20
	v_mul_u32_u24_sdwa v4, v3, v2 dst_sel:DWORD dst_unused:UNUSED_PAD src0_sel:BYTE_0 src1_sel:DWORD
	v_and_b32_e32 v2, 1, v3
	v_add_co_u32_e32 v5, vcc, -1, v2
	v_addc_co_u32_e64 v37, s[28:29], 0, -1, vcc
	v_cmp_ne_u32_e32 vcc, 0, v2
	v_xor_b32_e32 v2, vcc_hi, v37
	v_and_b32_e32 v37, exec_hi, v2
	v_lshlrev_b32_e32 v2, 30, v3
	v_xor_b32_e32 v5, vcc_lo, v5
	v_cmp_gt_i64_e32 vcc, 0, v[1:2]
	v_not_b32_e32 v2, v2
	v_ashrrev_i32_e32 v2, 31, v2
	v_and_b32_e32 v5, exec_lo, v5
	v_xor_b32_e32 v38, vcc_hi, v2
	v_xor_b32_e32 v2, vcc_lo, v2
	v_and_b32_e32 v5, v5, v2
	v_lshlrev_b32_e32 v2, 29, v3
	v_cmp_gt_i64_e32 vcc, 0, v[1:2]
	v_not_b32_e32 v2, v2
	v_ashrrev_i32_e32 v2, 31, v2
	v_and_b32_e32 v37, v37, v38
	v_xor_b32_e32 v38, vcc_hi, v2
	v_xor_b32_e32 v2, vcc_lo, v2
	v_and_b32_e32 v5, v5, v2
	v_lshlrev_b32_e32 v2, 28, v3
	v_cmp_gt_i64_e32 vcc, 0, v[1:2]
	v_not_b32_e32 v2, v2
	v_ashrrev_i32_e32 v2, 31, v2
	v_and_b32_e32 v37, v37, v38
	;; [unrolled: 8-line block ×5, first 2 shown]
	v_xor_b32_e32 v38, vcc_hi, v2
	v_xor_b32_e32 v2, vcc_lo, v2
	v_and_b32_e32 v5, v5, v2
	v_lshlrev_b32_e32 v2, 24, v3
	v_cmp_gt_i64_e32 vcc, 0, v[1:2]
	v_not_b32_e32 v2, v2
	v_ashrrev_i32_e32 v2, 31, v2
	v_xor_b32_e32 v3, vcc_hi, v2
	v_xor_b32_e32 v2, vcc_lo, v2
	v_and_b32_e32 v37, v37, v38
	v_and_b32_e32 v2, v5, v2
	;; [unrolled: 1-line block ×3, first 2 shown]
	v_mbcnt_lo_u32_b32 v5, v2, 0
	v_mbcnt_hi_u32_b32 v37, v3, v5
	v_cmp_ne_u64_e32 vcc, 0, v[2:3]
	v_cmp_eq_u32_e64 s[28:29], 0, v37
	v_mov_b32_e32 v12, v48
	v_mov_b32_e32 v16, v47
	;; [unrolled: 1-line block ×15, first 2 shown]
	s_and_b64 s[38:39], vcc, s[28:29]
	v_add_u32_e32 v38, v30, v4
	ds_write2_b32 v31, v1, v1 offset0:5 offset1:6
	ds_write2_b32 v31, v1, v1 offset0:7 offset1:8
	s_waitcnt lgkmcnt(0)
	s_barrier
	; wave barrier
	s_and_saveexec_b64 s[28:29], s[38:39]
; %bb.5:                                ;   in Loop: Header=BB231_4 Depth=2
	v_bcnt_u32_b32 v2, v2, 0
	v_bcnt_u32_b32 v2, v3, v2
	ds_write_b32 v38, v2 offset:20
; %bb.6:                                ;   in Loop: Header=BB231_4 Depth=2
	s_or_b64 exec, exec, s[28:29]
	v_lshrrev_b32_e32 v3, v14, v35
	v_and_b32_e32 v2, 0xff, v3
	v_mul_u32_u24_e32 v4, 20, v2
	v_mad_u32_u24 v2, v2, 20, v30
	; wave barrier
	ds_read_b32 v39, v2 offset:20
	v_and_b32_e32 v2, 1, v3
	v_add_co_u32_e32 v5, vcc, -1, v2
	v_addc_co_u32_e64 v40, s[28:29], 0, -1, vcc
	v_cmp_ne_u32_e32 vcc, 0, v2
	v_xor_b32_e32 v2, vcc_hi, v40
	v_and_b32_e32 v40, exec_hi, v2
	v_lshlrev_b32_e32 v2, 30, v3
	v_xor_b32_e32 v5, vcc_lo, v5
	v_cmp_gt_i64_e32 vcc, 0, v[1:2]
	v_not_b32_e32 v2, v2
	v_ashrrev_i32_e32 v2, 31, v2
	v_and_b32_e32 v5, exec_lo, v5
	v_xor_b32_e32 v41, vcc_hi, v2
	v_xor_b32_e32 v2, vcc_lo, v2
	v_and_b32_e32 v5, v5, v2
	v_lshlrev_b32_e32 v2, 29, v3
	v_cmp_gt_i64_e32 vcc, 0, v[1:2]
	v_not_b32_e32 v2, v2
	v_ashrrev_i32_e32 v2, 31, v2
	v_and_b32_e32 v40, v40, v41
	v_xor_b32_e32 v41, vcc_hi, v2
	v_xor_b32_e32 v2, vcc_lo, v2
	v_and_b32_e32 v5, v5, v2
	v_lshlrev_b32_e32 v2, 28, v3
	v_cmp_gt_i64_e32 vcc, 0, v[1:2]
	v_not_b32_e32 v2, v2
	v_ashrrev_i32_e32 v2, 31, v2
	v_and_b32_e32 v40, v40, v41
	v_xor_b32_e32 v41, vcc_hi, v2
	v_xor_b32_e32 v2, vcc_lo, v2
	v_and_b32_e32 v5, v5, v2
	v_lshlrev_b32_e32 v2, 27, v3
	v_cmp_gt_i64_e32 vcc, 0, v[1:2]
	v_not_b32_e32 v2, v2
	v_ashrrev_i32_e32 v2, 31, v2
	v_and_b32_e32 v40, v40, v41
	v_xor_b32_e32 v41, vcc_hi, v2
	v_xor_b32_e32 v2, vcc_lo, v2
	v_and_b32_e32 v5, v5, v2
	v_lshlrev_b32_e32 v2, 26, v3
	v_cmp_gt_i64_e32 vcc, 0, v[1:2]
	v_not_b32_e32 v2, v2
	v_ashrrev_i32_e32 v2, 31, v2
	v_and_b32_e32 v40, v40, v41
	v_xor_b32_e32 v41, vcc_hi, v2
	v_xor_b32_e32 v2, vcc_lo, v2
	v_and_b32_e32 v5, v5, v2
	v_lshlrev_b32_e32 v2, 25, v3
	v_cmp_gt_i64_e32 vcc, 0, v[1:2]
	v_not_b32_e32 v2, v2
	v_ashrrev_i32_e32 v2, 31, v2
	v_and_b32_e32 v40, v40, v41
	v_xor_b32_e32 v41, vcc_hi, v2
	v_xor_b32_e32 v2, vcc_lo, v2
	v_and_b32_e32 v5, v5, v2
	v_lshlrev_b32_e32 v2, 24, v3
	v_cmp_gt_i64_e32 vcc, 0, v[1:2]
	v_not_b32_e32 v2, v2
	v_ashrrev_i32_e32 v2, 31, v2
	v_xor_b32_e32 v3, vcc_hi, v2
	v_xor_b32_e32 v2, vcc_lo, v2
	v_and_b32_e32 v40, v40, v41
	v_and_b32_e32 v2, v5, v2
	;; [unrolled: 1-line block ×3, first 2 shown]
	v_mbcnt_lo_u32_b32 v5, v2, 0
	v_mbcnt_hi_u32_b32 v40, v3, v5
	v_cmp_ne_u64_e32 vcc, 0, v[2:3]
	v_cmp_eq_u32_e64 s[28:29], 0, v40
	s_and_b64 s[38:39], vcc, s[28:29]
	v_add_u32_e32 v41, v30, v4
	; wave barrier
	s_and_saveexec_b64 s[28:29], s[38:39]
	s_cbranch_execz .LBB231_8
; %bb.7:                                ;   in Loop: Header=BB231_4 Depth=2
	v_bcnt_u32_b32 v2, v2, 0
	v_bcnt_u32_b32 v2, v3, v2
	s_waitcnt lgkmcnt(0)
	v_add_u32_e32 v2, v39, v2
	ds_write_b32 v41, v2 offset:20
.LBB231_8:                              ;   in Loop: Header=BB231_4 Depth=2
	s_or_b64 exec, exec, s[28:29]
	v_lshrrev_b32_e32 v3, v14, v34
	v_and_b32_e32 v2, 0xff, v3
	v_mul_u32_u24_e32 v4, 20, v2
	v_mad_u32_u24 v2, v2, 20, v30
	; wave barrier
	ds_read_b32 v42, v2 offset:20
	v_and_b32_e32 v2, 1, v3
	v_add_co_u32_e32 v5, vcc, -1, v2
	v_addc_co_u32_e64 v43, s[28:29], 0, -1, vcc
	v_cmp_ne_u32_e32 vcc, 0, v2
	v_xor_b32_e32 v2, vcc_hi, v43
	v_and_b32_e32 v43, exec_hi, v2
	v_lshlrev_b32_e32 v2, 30, v3
	v_xor_b32_e32 v5, vcc_lo, v5
	v_cmp_gt_i64_e32 vcc, 0, v[1:2]
	v_not_b32_e32 v2, v2
	v_ashrrev_i32_e32 v2, 31, v2
	v_and_b32_e32 v5, exec_lo, v5
	v_xor_b32_e32 v44, vcc_hi, v2
	v_xor_b32_e32 v2, vcc_lo, v2
	v_and_b32_e32 v5, v5, v2
	v_lshlrev_b32_e32 v2, 29, v3
	v_cmp_gt_i64_e32 vcc, 0, v[1:2]
	v_not_b32_e32 v2, v2
	v_ashrrev_i32_e32 v2, 31, v2
	v_and_b32_e32 v43, v43, v44
	v_xor_b32_e32 v44, vcc_hi, v2
	v_xor_b32_e32 v2, vcc_lo, v2
	v_and_b32_e32 v5, v5, v2
	v_lshlrev_b32_e32 v2, 28, v3
	v_cmp_gt_i64_e32 vcc, 0, v[1:2]
	v_not_b32_e32 v2, v2
	v_ashrrev_i32_e32 v2, 31, v2
	v_and_b32_e32 v43, v43, v44
	;; [unrolled: 8-line block ×5, first 2 shown]
	v_xor_b32_e32 v44, vcc_hi, v2
	v_xor_b32_e32 v2, vcc_lo, v2
	v_and_b32_e32 v5, v5, v2
	v_lshlrev_b32_e32 v2, 24, v3
	v_cmp_gt_i64_e32 vcc, 0, v[1:2]
	v_not_b32_e32 v2, v2
	v_ashrrev_i32_e32 v2, 31, v2
	v_xor_b32_e32 v3, vcc_hi, v2
	v_xor_b32_e32 v2, vcc_lo, v2
	v_and_b32_e32 v43, v43, v44
	v_and_b32_e32 v2, v5, v2
	;; [unrolled: 1-line block ×3, first 2 shown]
	v_mbcnt_lo_u32_b32 v5, v2, 0
	v_mbcnt_hi_u32_b32 v43, v3, v5
	v_cmp_ne_u64_e32 vcc, 0, v[2:3]
	v_cmp_eq_u32_e64 s[28:29], 0, v43
	s_and_b64 s[38:39], vcc, s[28:29]
	v_add_u32_e32 v44, v30, v4
	; wave barrier
	s_and_saveexec_b64 s[28:29], s[38:39]
	s_cbranch_execz .LBB231_10
; %bb.9:                                ;   in Loop: Header=BB231_4 Depth=2
	v_bcnt_u32_b32 v2, v2, 0
	v_bcnt_u32_b32 v2, v3, v2
	s_waitcnt lgkmcnt(0)
	v_add_u32_e32 v2, v42, v2
	ds_write_b32 v44, v2 offset:20
.LBB231_10:                             ;   in Loop: Header=BB231_4 Depth=2
	s_or_b64 exec, exec, s[28:29]
	v_lshrrev_b32_e32 v3, v14, v33
	v_and_b32_e32 v2, 0xff, v3
	v_mul_u32_u24_e32 v4, 20, v2
	v_mad_u32_u24 v2, v2, 20, v30
	; wave barrier
	ds_read_b32 v45, v2 offset:20
	v_and_b32_e32 v2, 1, v3
	v_add_co_u32_e32 v5, vcc, -1, v2
	v_addc_co_u32_e64 v46, s[28:29], 0, -1, vcc
	v_cmp_ne_u32_e32 vcc, 0, v2
	v_xor_b32_e32 v2, vcc_hi, v46
	v_and_b32_e32 v46, exec_hi, v2
	v_lshlrev_b32_e32 v2, 30, v3
	v_xor_b32_e32 v5, vcc_lo, v5
	v_cmp_gt_i64_e32 vcc, 0, v[1:2]
	v_not_b32_e32 v2, v2
	v_ashrrev_i32_e32 v2, 31, v2
	v_and_b32_e32 v5, exec_lo, v5
	v_xor_b32_e32 v47, vcc_hi, v2
	v_xor_b32_e32 v2, vcc_lo, v2
	v_and_b32_e32 v5, v5, v2
	v_lshlrev_b32_e32 v2, 29, v3
	v_cmp_gt_i64_e32 vcc, 0, v[1:2]
	v_not_b32_e32 v2, v2
	v_ashrrev_i32_e32 v2, 31, v2
	v_and_b32_e32 v46, v46, v47
	v_xor_b32_e32 v47, vcc_hi, v2
	v_xor_b32_e32 v2, vcc_lo, v2
	v_and_b32_e32 v5, v5, v2
	v_lshlrev_b32_e32 v2, 28, v3
	v_cmp_gt_i64_e32 vcc, 0, v[1:2]
	v_not_b32_e32 v2, v2
	v_ashrrev_i32_e32 v2, 31, v2
	v_and_b32_e32 v46, v46, v47
	;; [unrolled: 8-line block ×5, first 2 shown]
	v_xor_b32_e32 v47, vcc_hi, v2
	v_xor_b32_e32 v2, vcc_lo, v2
	v_and_b32_e32 v5, v5, v2
	v_lshlrev_b32_e32 v2, 24, v3
	v_cmp_gt_i64_e32 vcc, 0, v[1:2]
	v_not_b32_e32 v2, v2
	v_ashrrev_i32_e32 v2, 31, v2
	v_xor_b32_e32 v3, vcc_hi, v2
	v_xor_b32_e32 v2, vcc_lo, v2
	v_and_b32_e32 v46, v46, v47
	v_and_b32_e32 v2, v5, v2
	;; [unrolled: 1-line block ×3, first 2 shown]
	v_mbcnt_lo_u32_b32 v5, v2, 0
	v_mbcnt_hi_u32_b32 v46, v3, v5
	v_cmp_ne_u64_e32 vcc, 0, v[2:3]
	v_cmp_eq_u32_e64 s[28:29], 0, v46
	s_and_b64 s[38:39], vcc, s[28:29]
	v_add_u32_e32 v47, v30, v4
	; wave barrier
	s_and_saveexec_b64 s[28:29], s[38:39]
	s_cbranch_execz .LBB231_12
; %bb.11:                               ;   in Loop: Header=BB231_4 Depth=2
	v_bcnt_u32_b32 v2, v2, 0
	v_bcnt_u32_b32 v2, v3, v2
	s_waitcnt lgkmcnt(0)
	v_add_u32_e32 v2, v45, v2
	ds_write_b32 v47, v2 offset:20
.LBB231_12:                             ;   in Loop: Header=BB231_4 Depth=2
	s_or_b64 exec, exec, s[28:29]
	v_lshrrev_b32_e32 v3, v14, v18
	v_and_b32_e32 v2, 0xff, v3
	v_mul_u32_u24_e32 v4, 20, v2
	v_mad_u32_u24 v2, v2, 20, v30
	; wave barrier
	ds_read_b32 v48, v2 offset:20
	v_and_b32_e32 v2, 1, v3
	v_add_co_u32_e32 v5, vcc, -1, v2
	v_addc_co_u32_e64 v49, s[28:29], 0, -1, vcc
	v_cmp_ne_u32_e32 vcc, 0, v2
	v_xor_b32_e32 v2, vcc_hi, v49
	v_and_b32_e32 v49, exec_hi, v2
	v_lshlrev_b32_e32 v2, 30, v3
	v_xor_b32_e32 v5, vcc_lo, v5
	v_cmp_gt_i64_e32 vcc, 0, v[1:2]
	v_not_b32_e32 v2, v2
	v_ashrrev_i32_e32 v2, 31, v2
	v_and_b32_e32 v5, exec_lo, v5
	v_xor_b32_e32 v50, vcc_hi, v2
	v_xor_b32_e32 v2, vcc_lo, v2
	v_and_b32_e32 v5, v5, v2
	v_lshlrev_b32_e32 v2, 29, v3
	v_cmp_gt_i64_e32 vcc, 0, v[1:2]
	v_not_b32_e32 v2, v2
	v_ashrrev_i32_e32 v2, 31, v2
	v_and_b32_e32 v49, v49, v50
	v_xor_b32_e32 v50, vcc_hi, v2
	v_xor_b32_e32 v2, vcc_lo, v2
	v_and_b32_e32 v5, v5, v2
	v_lshlrev_b32_e32 v2, 28, v3
	v_cmp_gt_i64_e32 vcc, 0, v[1:2]
	v_not_b32_e32 v2, v2
	v_ashrrev_i32_e32 v2, 31, v2
	v_and_b32_e32 v49, v49, v50
	;; [unrolled: 8-line block ×5, first 2 shown]
	v_xor_b32_e32 v50, vcc_hi, v2
	v_xor_b32_e32 v2, vcc_lo, v2
	v_and_b32_e32 v5, v5, v2
	v_lshlrev_b32_e32 v2, 24, v3
	v_cmp_gt_i64_e32 vcc, 0, v[1:2]
	v_not_b32_e32 v2, v2
	v_ashrrev_i32_e32 v2, 31, v2
	v_xor_b32_e32 v3, vcc_hi, v2
	v_xor_b32_e32 v2, vcc_lo, v2
	v_and_b32_e32 v49, v49, v50
	v_and_b32_e32 v2, v5, v2
	;; [unrolled: 1-line block ×3, first 2 shown]
	v_mbcnt_lo_u32_b32 v5, v2, 0
	v_mbcnt_hi_u32_b32 v49, v3, v5
	v_cmp_ne_u64_e32 vcc, 0, v[2:3]
	v_cmp_eq_u32_e64 s[28:29], 0, v49
	s_and_b64 s[38:39], vcc, s[28:29]
	v_add_u32_e32 v50, v30, v4
	; wave barrier
	s_and_saveexec_b64 s[28:29], s[38:39]
	s_cbranch_execz .LBB231_14
; %bb.13:                               ;   in Loop: Header=BB231_4 Depth=2
	v_bcnt_u32_b32 v2, v2, 0
	v_bcnt_u32_b32 v2, v3, v2
	s_waitcnt lgkmcnt(0)
	v_add_u32_e32 v2, v48, v2
	ds_write_b32 v50, v2 offset:20
.LBB231_14:                             ;   in Loop: Header=BB231_4 Depth=2
	s_or_b64 exec, exec, s[28:29]
	v_lshrrev_b32_e32 v3, v14, v17
	v_and_b32_e32 v2, 0xff, v3
	v_mul_u32_u24_e32 v4, 20, v2
	v_mad_u32_u24 v2, v2, 20, v30
	; wave barrier
	ds_read_b32 v51, v2 offset:20
	v_and_b32_e32 v2, 1, v3
	v_add_co_u32_e32 v5, vcc, -1, v2
	v_addc_co_u32_e64 v52, s[28:29], 0, -1, vcc
	v_cmp_ne_u32_e32 vcc, 0, v2
	v_xor_b32_e32 v2, vcc_hi, v52
	v_and_b32_e32 v52, exec_hi, v2
	v_lshlrev_b32_e32 v2, 30, v3
	v_xor_b32_e32 v5, vcc_lo, v5
	v_cmp_gt_i64_e32 vcc, 0, v[1:2]
	v_not_b32_e32 v2, v2
	v_ashrrev_i32_e32 v2, 31, v2
	v_and_b32_e32 v5, exec_lo, v5
	v_xor_b32_e32 v53, vcc_hi, v2
	v_xor_b32_e32 v2, vcc_lo, v2
	v_and_b32_e32 v5, v5, v2
	v_lshlrev_b32_e32 v2, 29, v3
	v_cmp_gt_i64_e32 vcc, 0, v[1:2]
	v_not_b32_e32 v2, v2
	v_ashrrev_i32_e32 v2, 31, v2
	v_and_b32_e32 v52, v52, v53
	v_xor_b32_e32 v53, vcc_hi, v2
	v_xor_b32_e32 v2, vcc_lo, v2
	v_and_b32_e32 v5, v5, v2
	v_lshlrev_b32_e32 v2, 28, v3
	v_cmp_gt_i64_e32 vcc, 0, v[1:2]
	v_not_b32_e32 v2, v2
	v_ashrrev_i32_e32 v2, 31, v2
	v_and_b32_e32 v52, v52, v53
	v_xor_b32_e32 v53, vcc_hi, v2
	v_xor_b32_e32 v2, vcc_lo, v2
	v_and_b32_e32 v5, v5, v2
	v_lshlrev_b32_e32 v2, 27, v3
	v_cmp_gt_i64_e32 vcc, 0, v[1:2]
	v_not_b32_e32 v2, v2
	v_ashrrev_i32_e32 v2, 31, v2
	v_and_b32_e32 v52, v52, v53
	v_xor_b32_e32 v53, vcc_hi, v2
	v_xor_b32_e32 v2, vcc_lo, v2
	v_and_b32_e32 v5, v5, v2
	v_lshlrev_b32_e32 v2, 26, v3
	v_cmp_gt_i64_e32 vcc, 0, v[1:2]
	v_not_b32_e32 v2, v2
	v_ashrrev_i32_e32 v2, 31, v2
	v_and_b32_e32 v52, v52, v53
	v_xor_b32_e32 v53, vcc_hi, v2
	v_xor_b32_e32 v2, vcc_lo, v2
	v_and_b32_e32 v5, v5, v2
	v_lshlrev_b32_e32 v2, 25, v3
	v_cmp_gt_i64_e32 vcc, 0, v[1:2]
	v_not_b32_e32 v2, v2
	v_ashrrev_i32_e32 v2, 31, v2
	v_and_b32_e32 v52, v52, v53
	v_xor_b32_e32 v53, vcc_hi, v2
	v_xor_b32_e32 v2, vcc_lo, v2
	v_and_b32_e32 v5, v5, v2
	v_lshlrev_b32_e32 v2, 24, v3
	v_cmp_gt_i64_e32 vcc, 0, v[1:2]
	v_not_b32_e32 v2, v2
	v_ashrrev_i32_e32 v2, 31, v2
	v_xor_b32_e32 v3, vcc_hi, v2
	v_xor_b32_e32 v2, vcc_lo, v2
	v_and_b32_e32 v52, v52, v53
	v_and_b32_e32 v2, v5, v2
	;; [unrolled: 1-line block ×3, first 2 shown]
	v_mbcnt_lo_u32_b32 v5, v2, 0
	v_mbcnt_hi_u32_b32 v52, v3, v5
	v_cmp_ne_u64_e32 vcc, 0, v[2:3]
	v_cmp_eq_u32_e64 s[28:29], 0, v52
	s_and_b64 s[38:39], vcc, s[28:29]
	v_add_u32_e32 v53, v30, v4
	; wave barrier
	s_and_saveexec_b64 s[28:29], s[38:39]
	s_cbranch_execz .LBB231_16
; %bb.15:                               ;   in Loop: Header=BB231_4 Depth=2
	v_bcnt_u32_b32 v2, v2, 0
	v_bcnt_u32_b32 v2, v3, v2
	s_waitcnt lgkmcnt(0)
	v_add_u32_e32 v2, v51, v2
	ds_write_b32 v53, v2 offset:20
.LBB231_16:                             ;   in Loop: Header=BB231_4 Depth=2
	s_or_b64 exec, exec, s[28:29]
	v_lshrrev_b32_e32 v3, v14, v16
	v_and_b32_e32 v2, 0xff, v3
	v_mul_u32_u24_e32 v4, 20, v2
	v_mad_u32_u24 v2, v2, 20, v30
	; wave barrier
	ds_read_b32 v54, v2 offset:20
	v_and_b32_e32 v2, 1, v3
	v_add_co_u32_e32 v5, vcc, -1, v2
	v_addc_co_u32_e64 v55, s[28:29], 0, -1, vcc
	v_cmp_ne_u32_e32 vcc, 0, v2
	v_xor_b32_e32 v2, vcc_hi, v55
	v_and_b32_e32 v55, exec_hi, v2
	v_lshlrev_b32_e32 v2, 30, v3
	v_xor_b32_e32 v5, vcc_lo, v5
	v_cmp_gt_i64_e32 vcc, 0, v[1:2]
	v_not_b32_e32 v2, v2
	v_ashrrev_i32_e32 v2, 31, v2
	v_and_b32_e32 v5, exec_lo, v5
	v_xor_b32_e32 v56, vcc_hi, v2
	v_xor_b32_e32 v2, vcc_lo, v2
	v_and_b32_e32 v5, v5, v2
	v_lshlrev_b32_e32 v2, 29, v3
	v_cmp_gt_i64_e32 vcc, 0, v[1:2]
	v_not_b32_e32 v2, v2
	v_ashrrev_i32_e32 v2, 31, v2
	v_and_b32_e32 v55, v55, v56
	v_xor_b32_e32 v56, vcc_hi, v2
	v_xor_b32_e32 v2, vcc_lo, v2
	v_and_b32_e32 v5, v5, v2
	v_lshlrev_b32_e32 v2, 28, v3
	v_cmp_gt_i64_e32 vcc, 0, v[1:2]
	v_not_b32_e32 v2, v2
	v_ashrrev_i32_e32 v2, 31, v2
	v_and_b32_e32 v55, v55, v56
	;; [unrolled: 8-line block ×5, first 2 shown]
	v_xor_b32_e32 v56, vcc_hi, v2
	v_xor_b32_e32 v2, vcc_lo, v2
	v_and_b32_e32 v5, v5, v2
	v_lshlrev_b32_e32 v2, 24, v3
	v_cmp_gt_i64_e32 vcc, 0, v[1:2]
	v_not_b32_e32 v2, v2
	v_ashrrev_i32_e32 v2, 31, v2
	v_xor_b32_e32 v3, vcc_hi, v2
	v_xor_b32_e32 v2, vcc_lo, v2
	v_and_b32_e32 v55, v55, v56
	v_and_b32_e32 v2, v5, v2
	v_and_b32_e32 v3, v55, v3
	v_mbcnt_lo_u32_b32 v5, v2, 0
	v_mbcnt_hi_u32_b32 v55, v3, v5
	v_cmp_ne_u64_e32 vcc, 0, v[2:3]
	v_cmp_eq_u32_e64 s[28:29], 0, v55
	s_and_b64 s[38:39], vcc, s[28:29]
	v_add_u32_e32 v56, v30, v4
	; wave barrier
	s_and_saveexec_b64 s[28:29], s[38:39]
	s_cbranch_execz .LBB231_18
; %bb.17:                               ;   in Loop: Header=BB231_4 Depth=2
	v_bcnt_u32_b32 v2, v2, 0
	v_bcnt_u32_b32 v2, v3, v2
	s_waitcnt lgkmcnt(0)
	v_add_u32_e32 v2, v54, v2
	ds_write_b32 v56, v2 offset:20
.LBB231_18:                             ;   in Loop: Header=BB231_4 Depth=2
	s_or_b64 exec, exec, s[28:29]
	v_lshrrev_b32_e32 v3, v14, v12
	v_and_b32_e32 v2, 0xff, v3
	v_mul_u32_u24_e32 v4, 20, v2
	v_mad_u32_u24 v2, v2, 20, v30
	; wave barrier
	ds_read_b32 v57, v2 offset:20
	v_and_b32_e32 v2, 1, v3
	v_add_co_u32_e32 v5, vcc, -1, v2
	v_addc_co_u32_e64 v58, s[28:29], 0, -1, vcc
	v_cmp_ne_u32_e32 vcc, 0, v2
	v_xor_b32_e32 v2, vcc_hi, v58
	v_and_b32_e32 v58, exec_hi, v2
	v_lshlrev_b32_e32 v2, 30, v3
	v_xor_b32_e32 v5, vcc_lo, v5
	v_cmp_gt_i64_e32 vcc, 0, v[1:2]
	v_not_b32_e32 v2, v2
	v_ashrrev_i32_e32 v2, 31, v2
	v_and_b32_e32 v5, exec_lo, v5
	v_xor_b32_e32 v59, vcc_hi, v2
	v_xor_b32_e32 v2, vcc_lo, v2
	v_and_b32_e32 v5, v5, v2
	v_lshlrev_b32_e32 v2, 29, v3
	v_cmp_gt_i64_e32 vcc, 0, v[1:2]
	v_not_b32_e32 v2, v2
	v_ashrrev_i32_e32 v2, 31, v2
	v_and_b32_e32 v58, v58, v59
	v_xor_b32_e32 v59, vcc_hi, v2
	v_xor_b32_e32 v2, vcc_lo, v2
	v_and_b32_e32 v5, v5, v2
	v_lshlrev_b32_e32 v2, 28, v3
	v_cmp_gt_i64_e32 vcc, 0, v[1:2]
	v_not_b32_e32 v2, v2
	v_ashrrev_i32_e32 v2, 31, v2
	v_and_b32_e32 v58, v58, v59
	;; [unrolled: 8-line block ×5, first 2 shown]
	v_xor_b32_e32 v59, vcc_hi, v2
	v_xor_b32_e32 v2, vcc_lo, v2
	v_and_b32_e32 v5, v5, v2
	v_lshlrev_b32_e32 v2, 24, v3
	v_cmp_gt_i64_e32 vcc, 0, v[1:2]
	v_not_b32_e32 v2, v2
	v_ashrrev_i32_e32 v2, 31, v2
	v_xor_b32_e32 v3, vcc_hi, v2
	v_xor_b32_e32 v2, vcc_lo, v2
	v_and_b32_e32 v58, v58, v59
	v_and_b32_e32 v2, v5, v2
	v_and_b32_e32 v3, v58, v3
	v_mbcnt_lo_u32_b32 v5, v2, 0
	v_mbcnt_hi_u32_b32 v58, v3, v5
	v_cmp_ne_u64_e32 vcc, 0, v[2:3]
	v_cmp_eq_u32_e64 s[28:29], 0, v58
	s_and_b64 s[38:39], vcc, s[28:29]
	v_add_u32_e32 v59, v30, v4
	; wave barrier
	s_and_saveexec_b64 s[28:29], s[38:39]
	s_cbranch_execz .LBB231_20
; %bb.19:                               ;   in Loop: Header=BB231_4 Depth=2
	v_bcnt_u32_b32 v2, v2, 0
	v_bcnt_u32_b32 v2, v3, v2
	s_waitcnt lgkmcnt(0)
	v_add_u32_e32 v2, v57, v2
	ds_write_b32 v59, v2 offset:20
.LBB231_20:                             ;   in Loop: Header=BB231_4 Depth=2
	s_or_b64 exec, exec, s[28:29]
	; wave barrier
	s_waitcnt lgkmcnt(0)
	s_barrier
	ds_read2_b32 v[4:5], v31 offset0:5 offset1:6
	ds_read2_b32 v[2:3], v31 offset0:7 offset1:8
	s_waitcnt lgkmcnt(1)
	v_add_u32_e32 v60, v5, v4
	s_waitcnt lgkmcnt(0)
	v_add3_u32 v3, v60, v2, v3
	s_nop 1
	v_mov_b32_dpp v60, v3 row_shr:1 row_mask:0xf bank_mask:0xf
	v_cndmask_b32_e64 v60, v60, 0, s[4:5]
	v_add_u32_e32 v3, v60, v3
	s_nop 1
	v_mov_b32_dpp v60, v3 row_shr:2 row_mask:0xf bank_mask:0xf
	v_cndmask_b32_e64 v60, 0, v60, s[6:7]
	v_add_u32_e32 v3, v3, v60
	;; [unrolled: 4-line block ×4, first 2 shown]
	s_nop 1
	v_mov_b32_dpp v60, v3 row_bcast:15 row_mask:0xf bank_mask:0xf
	v_cndmask_b32_e64 v60, v60, 0, s[12:13]
	v_add_u32_e32 v3, v3, v60
	s_nop 1
	v_mov_b32_dpp v60, v3 row_bcast:31 row_mask:0xf bank_mask:0xf
	v_cndmask_b32_e64 v60, 0, v60, s[0:1]
	v_add_u32_e32 v3, v3, v60
	s_and_saveexec_b64 s[28:29], s[20:21]
; %bb.21:                               ;   in Loop: Header=BB231_4 Depth=2
	ds_write_b32 v29, v3
; %bb.22:                               ;   in Loop: Header=BB231_4 Depth=2
	s_or_b64 exec, exec, s[28:29]
	s_waitcnt lgkmcnt(0)
	s_barrier
	s_and_saveexec_b64 s[28:29], s[22:23]
	s_cbranch_execz .LBB231_24
; %bb.23:                               ;   in Loop: Header=BB231_4 Depth=2
	v_add_u32_e32 v60, v31, v32
	ds_read_b32 v61, v60
	s_waitcnt lgkmcnt(0)
	s_nop 0
	v_mov_b32_dpp v62, v61 row_shr:1 row_mask:0xf bank_mask:0xf
	v_cndmask_b32_e64 v62, v62, 0, s[14:15]
	v_add_u32_e32 v61, v62, v61
	s_nop 1
	v_mov_b32_dpp v62, v61 row_shr:2 row_mask:0xf bank_mask:0xf
	v_cndmask_b32_e64 v62, 0, v62, s[16:17]
	v_add_u32_e32 v61, v61, v62
	;; [unrolled: 4-line block ×3, first 2 shown]
	ds_write_b32 v60, v61
.LBB231_24:                             ;   in Loop: Header=BB231_4 Depth=2
	s_or_b64 exec, exec, s[28:29]
	v_mov_b32_e32 v60, 0
	s_waitcnt lgkmcnt(0)
	s_barrier
	s_and_saveexec_b64 s[28:29], s[24:25]
; %bb.25:                               ;   in Loop: Header=BB231_4 Depth=2
	v_add_u32_e32 v60, -4, v29
	ds_read_b32 v60, v60
; %bb.26:                               ;   in Loop: Header=BB231_4 Depth=2
	s_or_b64 exec, exec, s[28:29]
	s_waitcnt lgkmcnt(0)
	v_add_u32_e32 v3, v60, v3
	ds_bpermute_b32 v3, v28, v3
	v_cmp_lt_u32_e32 vcc, 23, v14
	s_and_b64 vcc, exec, vcc
	s_mov_b64 s[28:29], -1
	s_waitcnt lgkmcnt(0)
	v_cndmask_b32_e64 v3, v3, v60, s[2:3]
	v_cndmask_b32_e64 v3, v3, 0, s[26:27]
	v_add_u32_e32 v4, v3, v4
	v_add_u32_e32 v5, v4, v5
	v_add_u32_e32 v2, v5, v2
	ds_write2_b32 v31, v3, v4 offset0:5 offset1:6
	ds_write2_b32 v31, v5, v2 offset0:7 offset1:8
	s_waitcnt lgkmcnt(0)
	s_barrier
	ds_read_b32 v2, v38 offset:20
	ds_read_b32 v4, v41 offset:20
	;; [unrolled: 1-line block ×3, first 2 shown]
                                        ; implicit-def: $vgpr44
	s_waitcnt lgkmcnt(2)
	v_add_u32_e32 v3, v2, v37
	s_waitcnt lgkmcnt(1)
	v_add3_u32 v2, v40, v39, v4
	ds_read_b32 v37, v47 offset:20
	s_waitcnt lgkmcnt(1)
	v_add3_u32 v4, v43, v42, v5
	ds_read_b32 v5, v50 offset:20
	ds_read_b32 v38, v53 offset:20
	;; [unrolled: 1-line block ×4, first 2 shown]
                                        ; implicit-def: $vgpr47
                                        ; implicit-def: $vgpr43
                                        ; implicit-def: $vgpr56
                                        ; implicit-def: $vgpr53
                                        ; implicit-def: $vgpr50
	s_waitcnt lgkmcnt(3)
	v_add3_u32 v39, v49, v48, v5
	v_add3_u32 v40, v46, v45, v37
	s_waitcnt lgkmcnt(2)
	v_add3_u32 v38, v52, v51, v38
	s_waitcnt lgkmcnt(1)
	;; [unrolled: 2-line block ×3, first 2 shown]
	v_add3_u32 v5, v58, v57, v42
                                        ; implicit-def: $vgpr48
                                        ; implicit-def: $vgpr46
                                        ; implicit-def: $vgpr45
                                        ; implicit-def: $vgpr42
                                        ; implicit-def: $vgpr41
                                        ; implicit-def: $vgpr55
                                        ; implicit-def: $vgpr54
                                        ; implicit-def: $vgpr52
                                        ; implicit-def: $vgpr51
                                        ; implicit-def: $vgpr49
	s_cbranch_vccnz .LBB231_3
; %bb.27:                               ;   in Loop: Header=BB231_4 Depth=2
	v_lshrrev_b32_e32 v41, 3, v3
	v_and_b32_e32 v41, 0x1ffffffc, v41
	v_lshl_add_u32 v49, v3, 2, v41
	v_lshrrev_b32_e32 v41, 3, v2
	v_and_b32_e32 v41, 0x1ffffffc, v41
	v_lshl_add_u32 v50, v2, 2, v41
	;; [unrolled: 3-line block ×8, first 2 shown]
	s_barrier
	ds_write_b32 v49, v36
	ds_write_b32 v50, v35
	;; [unrolled: 1-line block ×8, first 2 shown]
	s_waitcnt lgkmcnt(0)
	s_barrier
	ds_read_b32 v41, v20
	ds_read_b32 v42, v21 offset:256
	ds_read_b32 v43, v22 offset:512
	;; [unrolled: 1-line block ×7, first 2 shown]
	s_waitcnt lgkmcnt(0)
	s_barrier
	ds_write_b32 v49, v15
	ds_write_b32 v50, v13
	;; [unrolled: 1-line block ×8, first 2 shown]
	s_waitcnt lgkmcnt(0)
	s_barrier
	ds_read_b32 v49, v20
	ds_read_b32 v50, v21 offset:256
	ds_read_b32 v51, v22 offset:512
	;; [unrolled: 1-line block ×7, first 2 shown]
	v_add_u32_e32 v14, 8, v14
	s_mov_b64 s[28:29], 0
	s_waitcnt lgkmcnt(0)
	s_barrier
	s_branch .LBB231_3
.LBB231_28:
	s_add_u32 s0, s30, s34
	s_addc_u32 s1, s31, s35
	v_lshlrev_b32_e32 v0, 2, v0
	s_waitcnt lgkmcnt(3)
	v_add_u32_e32 v1, v7, v11
	v_add_u32_e32 v2, v8, v12
	s_waitcnt lgkmcnt(2)
	v_add_u32_e32 v7, v9, v13
	v_add_u32_e32 v8, v10, v14
	v_mov_b32_e32 v9, s1
	v_add_co_u32_e32 v10, vcc, s0, v0
	v_addc_co_u32_e32 v9, vcc, 0, v9, vcc
	global_store_dword v0, v1, s[0:1]
	global_store_dword v0, v2, s[0:1] offset:1280
	global_store_dword v0, v7, s[0:1] offset:2560
	;; [unrolled: 1-line block ×3, first 2 shown]
	v_add_co_u32_e32 v0, vcc, 0x1000, v10
	s_waitcnt lgkmcnt(1)
	v_add_u32_e32 v3, v3, v15
	v_addc_co_u32_e32 v1, vcc, 0, v9, vcc
	v_add_u32_e32 v4, v4, v16
	s_waitcnt lgkmcnt(0)
	v_add_u32_e32 v5, v5, v17
	global_store_dword v[0:1], v3, off offset:1024
	global_store_dword v[0:1], v4, off offset:2304
	;; [unrolled: 1-line block ×3, first 2 shown]
	v_add_co_u32_e32 v0, vcc, 0x2000, v10
	v_add_u32_e32 v6, v6, v18
	v_addc_co_u32_e32 v1, vcc, 0, v9, vcc
	global_store_dword v[0:1], v6, off offset:768
	s_endpgm
	.section	.rodata,"a",@progbits
	.p2align	6, 0x0
	.amdhsa_kernel _Z17sort_pairs_kernelI22helper_blocked_stripediLj320ELj8ELj10EEvPKT0_PS1_
		.amdhsa_group_segment_fixed_size 10560
		.amdhsa_private_segment_fixed_size 0
		.amdhsa_kernarg_size 272
		.amdhsa_user_sgpr_count 6
		.amdhsa_user_sgpr_private_segment_buffer 1
		.amdhsa_user_sgpr_dispatch_ptr 0
		.amdhsa_user_sgpr_queue_ptr 0
		.amdhsa_user_sgpr_kernarg_segment_ptr 1
		.amdhsa_user_sgpr_dispatch_id 0
		.amdhsa_user_sgpr_flat_scratch_init 0
		.amdhsa_user_sgpr_private_segment_size 0
		.amdhsa_uses_dynamic_stack 0
		.amdhsa_system_sgpr_private_segment_wavefront_offset 0
		.amdhsa_system_sgpr_workgroup_id_x 1
		.amdhsa_system_sgpr_workgroup_id_y 0
		.amdhsa_system_sgpr_workgroup_id_z 0
		.amdhsa_system_sgpr_workgroup_info 0
		.amdhsa_system_vgpr_workitem_id 2
		.amdhsa_next_free_vgpr 63
		.amdhsa_next_free_sgpr 61
		.amdhsa_reserve_vcc 1
		.amdhsa_reserve_flat_scratch 0
		.amdhsa_float_round_mode_32 0
		.amdhsa_float_round_mode_16_64 0
		.amdhsa_float_denorm_mode_32 3
		.amdhsa_float_denorm_mode_16_64 3
		.amdhsa_dx10_clamp 1
		.amdhsa_ieee_mode 1
		.amdhsa_fp16_overflow 0
		.amdhsa_exception_fp_ieee_invalid_op 0
		.amdhsa_exception_fp_denorm_src 0
		.amdhsa_exception_fp_ieee_div_zero 0
		.amdhsa_exception_fp_ieee_overflow 0
		.amdhsa_exception_fp_ieee_underflow 0
		.amdhsa_exception_fp_ieee_inexact 0
		.amdhsa_exception_int_div_zero 0
	.end_amdhsa_kernel
	.section	.text._Z17sort_pairs_kernelI22helper_blocked_stripediLj320ELj8ELj10EEvPKT0_PS1_,"axG",@progbits,_Z17sort_pairs_kernelI22helper_blocked_stripediLj320ELj8ELj10EEvPKT0_PS1_,comdat
.Lfunc_end231:
	.size	_Z17sort_pairs_kernelI22helper_blocked_stripediLj320ELj8ELj10EEvPKT0_PS1_, .Lfunc_end231-_Z17sort_pairs_kernelI22helper_blocked_stripediLj320ELj8ELj10EEvPKT0_PS1_
                                        ; -- End function
	.set _Z17sort_pairs_kernelI22helper_blocked_stripediLj320ELj8ELj10EEvPKT0_PS1_.num_vgpr, 63
	.set _Z17sort_pairs_kernelI22helper_blocked_stripediLj320ELj8ELj10EEvPKT0_PS1_.num_agpr, 0
	.set _Z17sort_pairs_kernelI22helper_blocked_stripediLj320ELj8ELj10EEvPKT0_PS1_.numbered_sgpr, 40
	.set _Z17sort_pairs_kernelI22helper_blocked_stripediLj320ELj8ELj10EEvPKT0_PS1_.num_named_barrier, 0
	.set _Z17sort_pairs_kernelI22helper_blocked_stripediLj320ELj8ELj10EEvPKT0_PS1_.private_seg_size, 0
	.set _Z17sort_pairs_kernelI22helper_blocked_stripediLj320ELj8ELj10EEvPKT0_PS1_.uses_vcc, 1
	.set _Z17sort_pairs_kernelI22helper_blocked_stripediLj320ELj8ELj10EEvPKT0_PS1_.uses_flat_scratch, 0
	.set _Z17sort_pairs_kernelI22helper_blocked_stripediLj320ELj8ELj10EEvPKT0_PS1_.has_dyn_sized_stack, 0
	.set _Z17sort_pairs_kernelI22helper_blocked_stripediLj320ELj8ELj10EEvPKT0_PS1_.has_recursion, 0
	.set _Z17sort_pairs_kernelI22helper_blocked_stripediLj320ELj8ELj10EEvPKT0_PS1_.has_indirect_call, 0
	.section	.AMDGPU.csdata,"",@progbits
; Kernel info:
; codeLenInByte = 5440
; TotalNumSgprs: 44
; NumVgprs: 63
; ScratchSize: 0
; MemoryBound: 0
; FloatMode: 240
; IeeeMode: 1
; LDSByteSize: 10560 bytes/workgroup (compile time only)
; SGPRBlocks: 8
; VGPRBlocks: 15
; NumSGPRsForWavesPerEU: 65
; NumVGPRsForWavesPerEU: 63
; Occupancy: 4
; WaveLimiterHint : 1
; COMPUTE_PGM_RSRC2:SCRATCH_EN: 0
; COMPUTE_PGM_RSRC2:USER_SGPR: 6
; COMPUTE_PGM_RSRC2:TRAP_HANDLER: 0
; COMPUTE_PGM_RSRC2:TGID_X_EN: 1
; COMPUTE_PGM_RSRC2:TGID_Y_EN: 0
; COMPUTE_PGM_RSRC2:TGID_Z_EN: 0
; COMPUTE_PGM_RSRC2:TIDIG_COMP_CNT: 2
	.section	.text._Z16sort_keys_kernelI22helper_blocked_stripediLj512ELj1ELj10EEvPKT0_PS1_,"axG",@progbits,_Z16sort_keys_kernelI22helper_blocked_stripediLj512ELj1ELj10EEvPKT0_PS1_,comdat
	.protected	_Z16sort_keys_kernelI22helper_blocked_stripediLj512ELj1ELj10EEvPKT0_PS1_ ; -- Begin function _Z16sort_keys_kernelI22helper_blocked_stripediLj512ELj1ELj10EEvPKT0_PS1_
	.globl	_Z16sort_keys_kernelI22helper_blocked_stripediLj512ELj1ELj10EEvPKT0_PS1_
	.p2align	8
	.type	_Z16sort_keys_kernelI22helper_blocked_stripediLj512ELj1ELj10EEvPKT0_PS1_,@function
_Z16sort_keys_kernelI22helper_blocked_stripediLj512ELj1ELj10EEvPKT0_PS1_: ; @_Z16sort_keys_kernelI22helper_blocked_stripediLj512ELj1ELj10EEvPKT0_PS1_
; %bb.0:
	s_load_dwordx4 s[28:31], s[4:5], 0x0
	s_load_dword s41, s[4:5], 0x1c
	s_lshl_b32 s34, s6, 9
	s_mov_b32 s35, 0
	s_lshl_b64 s[36:37], s[34:35], 2
	s_waitcnt lgkmcnt(0)
	s_add_u32 s0, s28, s36
	s_addc_u32 s1, s29, s37
	v_lshlrev_b32_e32 v3, 2, v0
	global_load_dword v3, v3, s[0:1]
	v_mbcnt_lo_u32_b32 v4, -1, 0
	v_mbcnt_hi_u32_b32 v4, -1, v4
	v_subrev_co_u32_e64 v24, s[4:5], 1, v4
	v_and_b32_e32 v25, 64, v4
	v_and_b32_e32 v9, 15, v4
	v_cmp_lt_i32_e64 s[26:27], v24, v25
	v_cmp_eq_u32_e64 s[8:9], 0, v9
	v_cmp_lt_u32_e64 s[10:11], 1, v9
	v_cmp_lt_u32_e64 s[12:13], 3, v9
	v_cmp_lt_u32_e64 s[14:15], 7, v9
	v_cndmask_b32_e64 v9, v24, v4, s[26:27]
	s_lshr_b32 s26, s41, 16
	s_and_b32 s27, s41, 0xffff
	v_mad_u32_u24 v1, v2, s26, v1
	v_mad_u64_u32 v[1:2], s[26:27], v1, s27, v[0:1]
	v_and_b32_e32 v6, 0x1c0, v0
	v_lshlrev_b32_e32 v20, 4, v0
	v_lshrrev_b32_e32 v7, 4, v0
	v_mul_i32_i24_e32 v8, -12, v0
	s_mov_b32 s38, s35
	v_and_b32_e32 v10, 16, v4
	s_mov_b32 s34, s35
	s_mov_b32 s39, s35
	v_or_b32_e32 v23, 63, v6
	v_and_b32_e32 v26, 7, v4
	v_lshlrev_b32_e32 v6, 2, v6
	v_and_b32_e32 v21, 28, v7
	v_add_u32_e32 v22, v20, v8
	v_cmp_eq_u32_e64 s[16:17], 0, v10
	v_mov_b32_e32 v7, s34
	v_lshlrev_b32_e32 v25, 2, v9
	v_lshrrev_b32_e32 v1, 4, v1
	v_mov_b32_e32 v9, s38
	v_mov_b32_e32 v5, 0
	s_mov_b32 s33, 10
	s_movk_i32 s40, 0xff
	v_mov_b32_e32 v11, 5
	v_mov_b32_e32 v12, 1
	;; [unrolled: 1-line block ×9, first 2 shown]
	v_cmp_gt_u32_e32 vcc, 8, v0
	v_cmp_lt_u32_e64 s[0:1], 63, v0
	v_cmp_eq_u32_e64 s[2:3], 0, v0
	v_cmp_lt_u32_e64 s[6:7], 31, v4
	v_cmp_eq_u32_e64 s[18:19], v0, v23
	v_cmp_eq_u32_e64 s[20:21], 0, v26
	v_cmp_lt_u32_e64 s[22:23], 1, v26
	v_cmp_lt_u32_e64 s[24:25], 3, v26
	v_lshl_add_u32 v23, v4, 2, v6
	v_add_u32_e32 v24, -4, v21
	v_mov_b32_e32 v8, s35
	v_and_b32_e32 v26, 0xffffffc, v1
	v_mov_b32_e32 v10, s39
	s_waitcnt vmcnt(0)
	v_xor_b32_e32 v27, 0x80000000, v3
	s_branch .LBB232_2
.LBB232_1:                              ;   in Loop: Header=BB232_2 Depth=1
	s_or_b64 exec, exec, s[26:27]
	s_waitcnt lgkmcnt(0)
	v_add_u32_e32 v4, v29, v4
	ds_bpermute_b32 v4, v25, v4
	s_add_i32 s33, s33, -1
	s_cmp_eq_u32 s33, 0
	s_waitcnt lgkmcnt(0)
	v_cndmask_b32_e64 v4, v4, v29, s[4:5]
	v_cndmask_b32_e64 v29, v4, 0, s[2:3]
	v_add_u32_e32 v30, v29, v1
	v_add_u32_e32 v1, v30, v2
	;; [unrolled: 1-line block ×3, first 2 shown]
	ds_write2_b64 v20, v[29:30], v[1:2] offset0:4 offset1:5
	s_waitcnt lgkmcnt(0)
	s_barrier
	ds_read_b32 v1, v28 offset:32
	v_lshlrev_b32_e32 v2, 2, v6
	s_waitcnt lgkmcnt(0)
	s_barrier
	v_lshl_add_u32 v1, v1, 2, v2
	ds_write_b32 v1, v27
	s_waitcnt lgkmcnt(0)
	s_barrier
	ds_read_b32 v27, v22
	s_cbranch_scc1 .LBB232_34
.LBB232_2:                              ; =>This Inner Loop Header: Depth=1
	s_waitcnt lgkmcnt(0)
	v_and_b32_e32 v1, 1, v27
	v_add_co_u32_e64 v2, s[26:27], -1, v1
	v_addc_co_u32_e64 v4, s[26:27], 0, -1, s[26:27]
	v_cmp_ne_u32_e64 s[26:27], 0, v1
	v_lshlrev_b32_e32 v6, 30, v27
	v_xor_b32_e32 v1, s27, v4
	v_xor_b32_e32 v2, s26, v2
	v_cmp_gt_i64_e64 s[26:27], 0, v[5:6]
	v_not_b32_e32 v4, v6
	v_ashrrev_i32_e32 v4, 31, v4
	v_and_b32_e32 v1, exec_hi, v1
	v_xor_b32_e32 v6, s27, v4
	v_and_b32_e32 v2, exec_lo, v2
	v_xor_b32_e32 v4, s26, v4
	v_and_b32_e32 v1, v1, v6
	v_lshlrev_b32_e32 v6, 29, v27
	v_and_b32_e32 v2, v2, v4
	v_cmp_gt_i64_e64 s[26:27], 0, v[5:6]
	v_not_b32_e32 v4, v6
	v_ashrrev_i32_e32 v4, 31, v4
	v_xor_b32_e32 v6, s27, v4
	v_xor_b32_e32 v4, s26, v4
	v_and_b32_e32 v1, v1, v6
	v_lshlrev_b32_e32 v6, 28, v27
	v_and_b32_e32 v2, v2, v4
	v_cmp_gt_i64_e64 s[26:27], 0, v[5:6]
	v_not_b32_e32 v4, v6
	v_ashrrev_i32_e32 v4, 31, v4
	v_xor_b32_e32 v6, s27, v4
	;; [unrolled: 8-line block ×6, first 2 shown]
	v_xor_b32_e32 v28, s26, v2
	v_and_b32_e32 v2, v1, v6
	v_and_b32_e32 v1, v4, v28
	v_mbcnt_lo_u32_b32 v4, v1, 0
	v_mbcnt_hi_u32_b32 v6, v2, v4
	v_cmp_ne_u64_e64 s[26:27], 0, v[1:2]
	v_lshlrev_b32_sdwa v3, v11, v27 dst_sel:DWORD dst_unused:UNUSED_PAD src0_sel:DWORD src1_sel:BYTE_0
	v_cmp_eq_u32_e64 s[28:29], 0, v6
	s_and_b64 s[28:29], s[26:27], s[28:29]
	v_add_u32_e32 v28, v26, v3
	ds_write2_b64 v20, v[7:8], v[9:10] offset0:4 offset1:5
	s_waitcnt lgkmcnt(0)
	s_barrier
	; wave barrier
	s_and_saveexec_b64 s[26:27], s[28:29]
; %bb.3:                                ;   in Loop: Header=BB232_2 Depth=1
	v_bcnt_u32_b32 v1, v1, 0
	v_bcnt_u32_b32 v1, v2, v1
	ds_write_b32 v28, v1 offset:32
; %bb.4:                                ;   in Loop: Header=BB232_2 Depth=1
	s_or_b64 exec, exec, s[26:27]
	; wave barrier
	s_waitcnt lgkmcnt(0)
	s_barrier
	ds_read2_b64 v[1:4], v20 offset0:4 offset1:5
	s_waitcnt lgkmcnt(0)
	v_add_u32_e32 v29, v2, v1
	v_add3_u32 v4, v29, v3, v4
	s_nop 1
	v_mov_b32_dpp v29, v4 row_shr:1 row_mask:0xf bank_mask:0xf
	v_cndmask_b32_e64 v29, v29, 0, s[8:9]
	v_add_u32_e32 v4, v29, v4
	s_nop 1
	v_mov_b32_dpp v29, v4 row_shr:2 row_mask:0xf bank_mask:0xf
	v_cndmask_b32_e64 v29, 0, v29, s[10:11]
	v_add_u32_e32 v4, v4, v29
	s_nop 1
	v_mov_b32_dpp v29, v4 row_shr:4 row_mask:0xf bank_mask:0xf
	v_cndmask_b32_e64 v29, 0, v29, s[12:13]
	v_add_u32_e32 v4, v4, v29
	s_nop 1
	v_mov_b32_dpp v29, v4 row_shr:8 row_mask:0xf bank_mask:0xf
	v_cndmask_b32_e64 v29, 0, v29, s[14:15]
	v_add_u32_e32 v4, v4, v29
	s_nop 1
	v_mov_b32_dpp v29, v4 row_bcast:15 row_mask:0xf bank_mask:0xf
	v_cndmask_b32_e64 v29, v29, 0, s[16:17]
	v_add_u32_e32 v4, v4, v29
	s_nop 1
	v_mov_b32_dpp v29, v4 row_bcast:31 row_mask:0xf bank_mask:0xf
	v_cndmask_b32_e64 v29, 0, v29, s[6:7]
	v_add_u32_e32 v4, v4, v29
	s_and_saveexec_b64 s[26:27], s[18:19]
; %bb.5:                                ;   in Loop: Header=BB232_2 Depth=1
	ds_write_b32 v21, v4
; %bb.6:                                ;   in Loop: Header=BB232_2 Depth=1
	s_or_b64 exec, exec, s[26:27]
	s_waitcnt lgkmcnt(0)
	s_barrier
	s_and_saveexec_b64 s[26:27], vcc
	s_cbranch_execz .LBB232_8
; %bb.7:                                ;   in Loop: Header=BB232_2 Depth=1
	ds_read_b32 v29, v22
	s_waitcnt lgkmcnt(0)
	s_nop 0
	v_mov_b32_dpp v30, v29 row_shr:1 row_mask:0xf bank_mask:0xf
	v_cndmask_b32_e64 v30, v30, 0, s[20:21]
	v_add_u32_e32 v29, v30, v29
	s_nop 1
	v_mov_b32_dpp v30, v29 row_shr:2 row_mask:0xf bank_mask:0xf
	v_cndmask_b32_e64 v30, 0, v30, s[22:23]
	v_add_u32_e32 v29, v29, v30
	;; [unrolled: 4-line block ×3, first 2 shown]
	ds_write_b32 v22, v29
.LBB232_8:                              ;   in Loop: Header=BB232_2 Depth=1
	s_or_b64 exec, exec, s[26:27]
	v_mov_b32_e32 v29, 0
	s_waitcnt lgkmcnt(0)
	s_barrier
	s_and_saveexec_b64 s[26:27], s[0:1]
; %bb.9:                                ;   in Loop: Header=BB232_2 Depth=1
	ds_read_b32 v29, v24
; %bb.10:                               ;   in Loop: Header=BB232_2 Depth=1
	s_or_b64 exec, exec, s[26:27]
	s_waitcnt lgkmcnt(0)
	v_add_u32_e32 v4, v29, v4
	ds_bpermute_b32 v4, v25, v4
	s_waitcnt lgkmcnt(0)
	v_cndmask_b32_e64 v4, v4, v29, s[4:5]
	v_cndmask_b32_e64 v29, v4, 0, s[2:3]
	v_add_u32_e32 v30, v29, v1
	v_add_u32_e32 v1, v30, v2
	;; [unrolled: 1-line block ×3, first 2 shown]
	ds_write2_b64 v20, v[29:30], v[1:2] offset0:4 offset1:5
	s_waitcnt lgkmcnt(0)
	s_barrier
	ds_read_b32 v1, v28 offset:32
	v_lshlrev_b32_e32 v2, 2, v6
	s_waitcnt lgkmcnt(0)
	s_barrier
	v_lshl_add_u32 v1, v1, 2, v2
	ds_write_b32 v1, v27
	s_waitcnt lgkmcnt(0)
	s_barrier
	ds_read_b32 v27, v23
	s_waitcnt lgkmcnt(0)
	s_barrier
	ds_write2_b64 v20, v[7:8], v[9:10] offset0:4 offset1:5
	v_lshrrev_b32_e32 v1, 8, v27
	v_and_b32_e32 v2, 1, v1
	v_add_co_u32_e64 v4, s[26:27], -1, v2
	v_addc_co_u32_e64 v6, s[26:27], 0, -1, s[26:27]
	v_cmp_ne_u32_e64 s[26:27], 0, v2
	v_xor_b32_e32 v2, s27, v6
	v_lshlrev_b32_e32 v6, 30, v1
	v_xor_b32_e32 v4, s26, v4
	v_cmp_gt_i64_e64 s[26:27], 0, v[5:6]
	v_not_b32_e32 v6, v6
	v_ashrrev_i32_e32 v6, 31, v6
	v_and_b32_e32 v4, exec_lo, v4
	v_xor_b32_e32 v28, s27, v6
	v_xor_b32_e32 v6, s26, v6
	v_and_b32_e32 v4, v4, v6
	v_lshlrev_b32_e32 v6, 29, v1
	v_cmp_gt_i64_e64 s[26:27], 0, v[5:6]
	v_not_b32_e32 v6, v6
	v_and_b32_e32 v2, exec_hi, v2
	v_ashrrev_i32_e32 v6, 31, v6
	v_and_b32_e32 v2, v2, v28
	v_xor_b32_e32 v28, s27, v6
	v_xor_b32_e32 v6, s26, v6
	v_and_b32_e32 v4, v4, v6
	v_lshlrev_b32_e32 v6, 28, v1
	v_cmp_gt_i64_e64 s[26:27], 0, v[5:6]
	v_not_b32_e32 v6, v6
	v_ashrrev_i32_e32 v6, 31, v6
	v_and_b32_e32 v2, v2, v28
	v_xor_b32_e32 v28, s27, v6
	v_xor_b32_e32 v6, s26, v6
	v_and_b32_e32 v4, v4, v6
	v_lshlrev_b32_e32 v6, 27, v1
	v_cmp_gt_i64_e64 s[26:27], 0, v[5:6]
	v_not_b32_e32 v6, v6
	;; [unrolled: 8-line block ×4, first 2 shown]
	v_ashrrev_i32_e32 v6, 31, v6
	v_and_b32_e32 v2, v2, v28
	v_xor_b32_e32 v28, s27, v6
	v_xor_b32_e32 v6, s26, v6
	v_and_b32_e32 v4, v4, v6
	v_lshlrev_b32_e32 v6, 24, v1
	v_lshlrev_b32_sdwa v3, v11, v1 dst_sel:DWORD dst_unused:UNUSED_PAD src0_sel:DWORD src1_sel:BYTE_0
	v_cmp_gt_i64_e64 s[26:27], 0, v[5:6]
	v_not_b32_e32 v1, v6
	v_ashrrev_i32_e32 v1, 31, v1
	v_xor_b32_e32 v6, s27, v1
	v_xor_b32_e32 v1, s26, v1
	v_and_b32_e32 v2, v2, v28
	v_and_b32_e32 v1, v4, v1
	;; [unrolled: 1-line block ×3, first 2 shown]
	v_mbcnt_lo_u32_b32 v4, v1, 0
	v_mbcnt_hi_u32_b32 v6, v2, v4
	v_cmp_ne_u64_e64 s[26:27], 0, v[1:2]
	v_cmp_eq_u32_e64 s[28:29], 0, v6
	s_and_b64 s[28:29], s[26:27], s[28:29]
	v_add_u32_e32 v28, v26, v3
	s_waitcnt lgkmcnt(0)
	s_barrier
	; wave barrier
	s_and_saveexec_b64 s[26:27], s[28:29]
; %bb.11:                               ;   in Loop: Header=BB232_2 Depth=1
	v_bcnt_u32_b32 v1, v1, 0
	v_bcnt_u32_b32 v1, v2, v1
	ds_write_b32 v28, v1 offset:32
; %bb.12:                               ;   in Loop: Header=BB232_2 Depth=1
	s_or_b64 exec, exec, s[26:27]
	; wave barrier
	s_waitcnt lgkmcnt(0)
	s_barrier
	ds_read2_b64 v[1:4], v20 offset0:4 offset1:5
	s_waitcnt lgkmcnt(0)
	v_add_u32_e32 v29, v2, v1
	v_add3_u32 v4, v29, v3, v4
	s_nop 1
	v_mov_b32_dpp v29, v4 row_shr:1 row_mask:0xf bank_mask:0xf
	v_cndmask_b32_e64 v29, v29, 0, s[8:9]
	v_add_u32_e32 v4, v29, v4
	s_nop 1
	v_mov_b32_dpp v29, v4 row_shr:2 row_mask:0xf bank_mask:0xf
	v_cndmask_b32_e64 v29, 0, v29, s[10:11]
	v_add_u32_e32 v4, v4, v29
	;; [unrolled: 4-line block ×4, first 2 shown]
	s_nop 1
	v_mov_b32_dpp v29, v4 row_bcast:15 row_mask:0xf bank_mask:0xf
	v_cndmask_b32_e64 v29, v29, 0, s[16:17]
	v_add_u32_e32 v4, v4, v29
	s_nop 1
	v_mov_b32_dpp v29, v4 row_bcast:31 row_mask:0xf bank_mask:0xf
	v_cndmask_b32_e64 v29, 0, v29, s[6:7]
	v_add_u32_e32 v4, v4, v29
	s_and_saveexec_b64 s[26:27], s[18:19]
; %bb.13:                               ;   in Loop: Header=BB232_2 Depth=1
	ds_write_b32 v21, v4
; %bb.14:                               ;   in Loop: Header=BB232_2 Depth=1
	s_or_b64 exec, exec, s[26:27]
	s_waitcnt lgkmcnt(0)
	s_barrier
	s_and_saveexec_b64 s[26:27], vcc
	s_cbranch_execz .LBB232_16
; %bb.15:                               ;   in Loop: Header=BB232_2 Depth=1
	ds_read_b32 v29, v22
	s_waitcnt lgkmcnt(0)
	s_nop 0
	v_mov_b32_dpp v30, v29 row_shr:1 row_mask:0xf bank_mask:0xf
	v_cndmask_b32_e64 v30, v30, 0, s[20:21]
	v_add_u32_e32 v29, v30, v29
	s_nop 1
	v_mov_b32_dpp v30, v29 row_shr:2 row_mask:0xf bank_mask:0xf
	v_cndmask_b32_e64 v30, 0, v30, s[22:23]
	v_add_u32_e32 v29, v29, v30
	;; [unrolled: 4-line block ×3, first 2 shown]
	ds_write_b32 v22, v29
.LBB232_16:                             ;   in Loop: Header=BB232_2 Depth=1
	s_or_b64 exec, exec, s[26:27]
	v_mov_b32_e32 v29, 0
	s_waitcnt lgkmcnt(0)
	s_barrier
	s_and_saveexec_b64 s[26:27], s[0:1]
; %bb.17:                               ;   in Loop: Header=BB232_2 Depth=1
	ds_read_b32 v29, v24
; %bb.18:                               ;   in Loop: Header=BB232_2 Depth=1
	s_or_b64 exec, exec, s[26:27]
	s_waitcnt lgkmcnt(0)
	v_add_u32_e32 v4, v29, v4
	ds_bpermute_b32 v4, v25, v4
	s_waitcnt lgkmcnt(0)
	v_cndmask_b32_e64 v4, v4, v29, s[4:5]
	v_cndmask_b32_e64 v29, v4, 0, s[2:3]
	v_add_u32_e32 v30, v29, v1
	v_add_u32_e32 v1, v30, v2
	;; [unrolled: 1-line block ×3, first 2 shown]
	ds_write2_b64 v20, v[29:30], v[1:2] offset0:4 offset1:5
	s_waitcnt lgkmcnt(0)
	s_barrier
	ds_read_b32 v1, v28 offset:32
	v_lshlrev_b32_e32 v2, 2, v6
	s_waitcnt lgkmcnt(0)
	s_barrier
	v_lshl_add_u32 v1, v1, 2, v2
	ds_write_b32 v1, v27
	s_waitcnt lgkmcnt(0)
	s_barrier
	ds_read_b32 v27, v23
	s_waitcnt lgkmcnt(0)
	s_barrier
	ds_write2_b64 v20, v[7:8], v[9:10] offset0:4 offset1:5
	v_and_b32_sdwa v1, v27, s40 dst_sel:DWORD dst_unused:UNUSED_PAD src0_sel:WORD_1 src1_sel:DWORD
	v_lshlrev_b32_e32 v3, 5, v1
	v_and_b32_sdwa v1, v27, v12 dst_sel:DWORD dst_unused:UNUSED_PAD src0_sel:WORD_1 src1_sel:DWORD
	v_add_co_u32_e64 v2, s[26:27], -1, v1
	v_addc_co_u32_e64 v4, s[26:27], 0, -1, s[26:27]
	v_cmp_ne_u32_e64 s[26:27], 0, v1
	v_lshlrev_b32_sdwa v6, v13, v27 dst_sel:DWORD dst_unused:UNUSED_PAD src0_sel:DWORD src1_sel:WORD_1
	v_xor_b32_e32 v1, s27, v4
	v_xor_b32_e32 v2, s26, v2
	v_cmp_gt_i64_e64 s[26:27], 0, v[5:6]
	v_not_b32_e32 v4, v6
	v_ashrrev_i32_e32 v4, 31, v4
	v_and_b32_e32 v1, exec_hi, v1
	v_xor_b32_e32 v6, s27, v4
	v_and_b32_e32 v2, exec_lo, v2
	v_xor_b32_e32 v4, s26, v4
	v_and_b32_e32 v1, v1, v6
	v_lshlrev_b32_sdwa v6, v14, v27 dst_sel:DWORD dst_unused:UNUSED_PAD src0_sel:DWORD src1_sel:WORD_1
	v_and_b32_e32 v2, v2, v4
	v_cmp_gt_i64_e64 s[26:27], 0, v[5:6]
	v_not_b32_e32 v4, v6
	v_ashrrev_i32_e32 v4, 31, v4
	v_xor_b32_e32 v6, s27, v4
	v_xor_b32_e32 v4, s26, v4
	v_and_b32_e32 v1, v1, v6
	v_lshlrev_b32_sdwa v6, v15, v27 dst_sel:DWORD dst_unused:UNUSED_PAD src0_sel:DWORD src1_sel:WORD_1
	v_and_b32_e32 v2, v2, v4
	v_cmp_gt_i64_e64 s[26:27], 0, v[5:6]
	v_not_b32_e32 v4, v6
	v_ashrrev_i32_e32 v4, 31, v4
	v_xor_b32_e32 v6, s27, v4
	;; [unrolled: 8-line block ×6, first 2 shown]
	v_xor_b32_e32 v28, s26, v2
	v_and_b32_e32 v2, v1, v6
	v_and_b32_e32 v1, v4, v28
	v_mbcnt_lo_u32_b32 v4, v1, 0
	v_mbcnt_hi_u32_b32 v6, v2, v4
	v_cmp_ne_u64_e64 s[26:27], 0, v[1:2]
	v_cmp_eq_u32_e64 s[28:29], 0, v6
	s_and_b64 s[28:29], s[26:27], s[28:29]
	v_add_u32_e32 v28, v26, v3
	s_waitcnt lgkmcnt(0)
	s_barrier
	; wave barrier
	s_and_saveexec_b64 s[26:27], s[28:29]
; %bb.19:                               ;   in Loop: Header=BB232_2 Depth=1
	v_bcnt_u32_b32 v1, v1, 0
	v_bcnt_u32_b32 v1, v2, v1
	ds_write_b32 v28, v1 offset:32
; %bb.20:                               ;   in Loop: Header=BB232_2 Depth=1
	s_or_b64 exec, exec, s[26:27]
	; wave barrier
	s_waitcnt lgkmcnt(0)
	s_barrier
	ds_read2_b64 v[1:4], v20 offset0:4 offset1:5
	s_waitcnt lgkmcnt(0)
	v_add_u32_e32 v29, v2, v1
	v_add3_u32 v4, v29, v3, v4
	s_nop 1
	v_mov_b32_dpp v29, v4 row_shr:1 row_mask:0xf bank_mask:0xf
	v_cndmask_b32_e64 v29, v29, 0, s[8:9]
	v_add_u32_e32 v4, v29, v4
	s_nop 1
	v_mov_b32_dpp v29, v4 row_shr:2 row_mask:0xf bank_mask:0xf
	v_cndmask_b32_e64 v29, 0, v29, s[10:11]
	v_add_u32_e32 v4, v4, v29
	;; [unrolled: 4-line block ×4, first 2 shown]
	s_nop 1
	v_mov_b32_dpp v29, v4 row_bcast:15 row_mask:0xf bank_mask:0xf
	v_cndmask_b32_e64 v29, v29, 0, s[16:17]
	v_add_u32_e32 v4, v4, v29
	s_nop 1
	v_mov_b32_dpp v29, v4 row_bcast:31 row_mask:0xf bank_mask:0xf
	v_cndmask_b32_e64 v29, 0, v29, s[6:7]
	v_add_u32_e32 v4, v4, v29
	s_and_saveexec_b64 s[26:27], s[18:19]
; %bb.21:                               ;   in Loop: Header=BB232_2 Depth=1
	ds_write_b32 v21, v4
; %bb.22:                               ;   in Loop: Header=BB232_2 Depth=1
	s_or_b64 exec, exec, s[26:27]
	s_waitcnt lgkmcnt(0)
	s_barrier
	s_and_saveexec_b64 s[26:27], vcc
	s_cbranch_execz .LBB232_24
; %bb.23:                               ;   in Loop: Header=BB232_2 Depth=1
	ds_read_b32 v29, v22
	s_waitcnt lgkmcnt(0)
	s_nop 0
	v_mov_b32_dpp v30, v29 row_shr:1 row_mask:0xf bank_mask:0xf
	v_cndmask_b32_e64 v30, v30, 0, s[20:21]
	v_add_u32_e32 v29, v30, v29
	s_nop 1
	v_mov_b32_dpp v30, v29 row_shr:2 row_mask:0xf bank_mask:0xf
	v_cndmask_b32_e64 v30, 0, v30, s[22:23]
	v_add_u32_e32 v29, v29, v30
	s_nop 1
	v_mov_b32_dpp v30, v29 row_shr:4 row_mask:0xf bank_mask:0xf
	v_cndmask_b32_e64 v30, 0, v30, s[24:25]
	v_add_u32_e32 v29, v29, v30
	ds_write_b32 v22, v29
.LBB232_24:                             ;   in Loop: Header=BB232_2 Depth=1
	s_or_b64 exec, exec, s[26:27]
	v_mov_b32_e32 v29, 0
	s_waitcnt lgkmcnt(0)
	s_barrier
	s_and_saveexec_b64 s[26:27], s[0:1]
; %bb.25:                               ;   in Loop: Header=BB232_2 Depth=1
	ds_read_b32 v29, v24
; %bb.26:                               ;   in Loop: Header=BB232_2 Depth=1
	s_or_b64 exec, exec, s[26:27]
	s_waitcnt lgkmcnt(0)
	v_add_u32_e32 v4, v29, v4
	ds_bpermute_b32 v4, v25, v4
	s_waitcnt lgkmcnt(0)
	v_cndmask_b32_e64 v4, v4, v29, s[4:5]
	v_cndmask_b32_e64 v29, v4, 0, s[2:3]
	v_add_u32_e32 v30, v29, v1
	v_add_u32_e32 v1, v30, v2
	;; [unrolled: 1-line block ×3, first 2 shown]
	ds_write2_b64 v20, v[29:30], v[1:2] offset0:4 offset1:5
	s_waitcnt lgkmcnt(0)
	s_barrier
	ds_read_b32 v1, v28 offset:32
	v_lshlrev_b32_e32 v2, 2, v6
	s_waitcnt lgkmcnt(0)
	s_barrier
	v_lshl_add_u32 v1, v1, 2, v2
	ds_write_b32 v1, v27
	s_waitcnt lgkmcnt(0)
	s_barrier
	ds_read_b32 v27, v23
	v_mov_b32_e32 v1, s34
	v_mov_b32_e32 v3, s38
	;; [unrolled: 1-line block ×4, first 2 shown]
	s_waitcnt lgkmcnt(0)
	s_barrier
	ds_write2_b64 v20, v[1:2], v[3:4] offset0:4 offset1:5
	v_and_b32_sdwa v1, v27, v12 dst_sel:DWORD dst_unused:UNUSED_PAD src0_sel:BYTE_3 src1_sel:DWORD
	v_add_co_u32_e64 v2, s[26:27], -1, v1
	v_addc_co_u32_e64 v4, s[26:27], 0, -1, s[26:27]
	v_cmp_ne_u32_e64 s[26:27], 0, v1
	v_lshlrev_b32_sdwa v6, v13, v27 dst_sel:DWORD dst_unused:UNUSED_PAD src0_sel:DWORD src1_sel:BYTE_3
	v_xor_b32_e32 v1, s27, v4
	v_xor_b32_e32 v2, s26, v2
	v_cmp_gt_i64_e64 s[26:27], 0, v[5:6]
	v_not_b32_e32 v4, v6
	v_ashrrev_i32_e32 v4, 31, v4
	v_and_b32_e32 v1, exec_hi, v1
	v_xor_b32_e32 v6, s27, v4
	v_and_b32_e32 v2, exec_lo, v2
	v_xor_b32_e32 v4, s26, v4
	v_and_b32_e32 v1, v1, v6
	v_lshlrev_b32_sdwa v6, v14, v27 dst_sel:DWORD dst_unused:UNUSED_PAD src0_sel:DWORD src1_sel:BYTE_3
	v_and_b32_e32 v2, v2, v4
	v_cmp_gt_i64_e64 s[26:27], 0, v[5:6]
	v_not_b32_e32 v4, v6
	v_ashrrev_i32_e32 v4, 31, v4
	v_xor_b32_e32 v6, s27, v4
	v_xor_b32_e32 v4, s26, v4
	v_and_b32_e32 v1, v1, v6
	v_lshlrev_b32_sdwa v6, v15, v27 dst_sel:DWORD dst_unused:UNUSED_PAD src0_sel:DWORD src1_sel:BYTE_3
	v_and_b32_e32 v2, v2, v4
	v_cmp_gt_i64_e64 s[26:27], 0, v[5:6]
	v_not_b32_e32 v4, v6
	v_ashrrev_i32_e32 v4, 31, v4
	v_xor_b32_e32 v6, s27, v4
	;; [unrolled: 8-line block ×6, first 2 shown]
	v_xor_b32_e32 v28, s26, v2
	v_and_b32_e32 v2, v1, v6
	v_and_b32_e32 v1, v4, v28
	v_mbcnt_lo_u32_b32 v4, v1, 0
	v_mbcnt_hi_u32_b32 v6, v2, v4
	v_cmp_ne_u64_e64 s[26:27], 0, v[1:2]
	v_lshlrev_b32_sdwa v3, v11, v27 dst_sel:DWORD dst_unused:UNUSED_PAD src0_sel:DWORD src1_sel:BYTE_3
	v_cmp_eq_u32_e64 s[28:29], 0, v6
	s_and_b64 s[28:29], s[26:27], s[28:29]
	v_add_u32_e32 v28, v26, v3
	s_waitcnt lgkmcnt(0)
	s_barrier
	; wave barrier
	s_and_saveexec_b64 s[26:27], s[28:29]
; %bb.27:                               ;   in Loop: Header=BB232_2 Depth=1
	v_bcnt_u32_b32 v1, v1, 0
	v_bcnt_u32_b32 v1, v2, v1
	ds_write_b32 v28, v1 offset:32
; %bb.28:                               ;   in Loop: Header=BB232_2 Depth=1
	s_or_b64 exec, exec, s[26:27]
	; wave barrier
	s_waitcnt lgkmcnt(0)
	s_barrier
	ds_read2_b64 v[1:4], v20 offset0:4 offset1:5
	s_waitcnt lgkmcnt(0)
	v_add_u32_e32 v29, v2, v1
	v_add3_u32 v4, v29, v3, v4
	s_nop 1
	v_mov_b32_dpp v29, v4 row_shr:1 row_mask:0xf bank_mask:0xf
	v_cndmask_b32_e64 v29, v29, 0, s[8:9]
	v_add_u32_e32 v4, v29, v4
	s_nop 1
	v_mov_b32_dpp v29, v4 row_shr:2 row_mask:0xf bank_mask:0xf
	v_cndmask_b32_e64 v29, 0, v29, s[10:11]
	v_add_u32_e32 v4, v4, v29
	;; [unrolled: 4-line block ×4, first 2 shown]
	s_nop 1
	v_mov_b32_dpp v29, v4 row_bcast:15 row_mask:0xf bank_mask:0xf
	v_cndmask_b32_e64 v29, v29, 0, s[16:17]
	v_add_u32_e32 v4, v4, v29
	s_nop 1
	v_mov_b32_dpp v29, v4 row_bcast:31 row_mask:0xf bank_mask:0xf
	v_cndmask_b32_e64 v29, 0, v29, s[6:7]
	v_add_u32_e32 v4, v4, v29
	s_and_saveexec_b64 s[26:27], s[18:19]
; %bb.29:                               ;   in Loop: Header=BB232_2 Depth=1
	ds_write_b32 v21, v4
; %bb.30:                               ;   in Loop: Header=BB232_2 Depth=1
	s_or_b64 exec, exec, s[26:27]
	s_waitcnt lgkmcnt(0)
	s_barrier
	s_and_saveexec_b64 s[26:27], vcc
	s_cbranch_execz .LBB232_32
; %bb.31:                               ;   in Loop: Header=BB232_2 Depth=1
	ds_read_b32 v29, v22
	s_waitcnt lgkmcnt(0)
	s_nop 0
	v_mov_b32_dpp v30, v29 row_shr:1 row_mask:0xf bank_mask:0xf
	v_cndmask_b32_e64 v30, v30, 0, s[20:21]
	v_add_u32_e32 v29, v30, v29
	s_nop 1
	v_mov_b32_dpp v30, v29 row_shr:2 row_mask:0xf bank_mask:0xf
	v_cndmask_b32_e64 v30, 0, v30, s[22:23]
	v_add_u32_e32 v29, v29, v30
	;; [unrolled: 4-line block ×3, first 2 shown]
	ds_write_b32 v22, v29
.LBB232_32:                             ;   in Loop: Header=BB232_2 Depth=1
	s_or_b64 exec, exec, s[26:27]
	v_mov_b32_e32 v29, 0
	s_waitcnt lgkmcnt(0)
	s_barrier
	s_and_saveexec_b64 s[26:27], s[0:1]
	s_cbranch_execz .LBB232_1
; %bb.33:                               ;   in Loop: Header=BB232_2 Depth=1
	ds_read_b32 v29, v24
	s_branch .LBB232_1
.LBB232_34:
	s_add_u32 s0, s30, s36
	s_waitcnt lgkmcnt(0)
	v_xor_b32_e32 v1, 0x80000000, v27
	s_addc_u32 s1, s31, s37
	v_lshlrev_b32_e32 v0, 2, v0
	global_store_dword v0, v1, s[0:1]
	s_endpgm
	.section	.rodata,"a",@progbits
	.p2align	6, 0x0
	.amdhsa_kernel _Z16sort_keys_kernelI22helper_blocked_stripediLj512ELj1ELj10EEvPKT0_PS1_
		.amdhsa_group_segment_fixed_size 8224
		.amdhsa_private_segment_fixed_size 0
		.amdhsa_kernarg_size 272
		.amdhsa_user_sgpr_count 6
		.amdhsa_user_sgpr_private_segment_buffer 1
		.amdhsa_user_sgpr_dispatch_ptr 0
		.amdhsa_user_sgpr_queue_ptr 0
		.amdhsa_user_sgpr_kernarg_segment_ptr 1
		.amdhsa_user_sgpr_dispatch_id 0
		.amdhsa_user_sgpr_flat_scratch_init 0
		.amdhsa_user_sgpr_private_segment_size 0
		.amdhsa_uses_dynamic_stack 0
		.amdhsa_system_sgpr_private_segment_wavefront_offset 0
		.amdhsa_system_sgpr_workgroup_id_x 1
		.amdhsa_system_sgpr_workgroup_id_y 0
		.amdhsa_system_sgpr_workgroup_id_z 0
		.amdhsa_system_sgpr_workgroup_info 0
		.amdhsa_system_vgpr_workitem_id 2
		.amdhsa_next_free_vgpr 31
		.amdhsa_next_free_sgpr 42
		.amdhsa_reserve_vcc 1
		.amdhsa_reserve_flat_scratch 0
		.amdhsa_float_round_mode_32 0
		.amdhsa_float_round_mode_16_64 0
		.amdhsa_float_denorm_mode_32 3
		.amdhsa_float_denorm_mode_16_64 3
		.amdhsa_dx10_clamp 1
		.amdhsa_ieee_mode 1
		.amdhsa_fp16_overflow 0
		.amdhsa_exception_fp_ieee_invalid_op 0
		.amdhsa_exception_fp_denorm_src 0
		.amdhsa_exception_fp_ieee_div_zero 0
		.amdhsa_exception_fp_ieee_overflow 0
		.amdhsa_exception_fp_ieee_underflow 0
		.amdhsa_exception_fp_ieee_inexact 0
		.amdhsa_exception_int_div_zero 0
	.end_amdhsa_kernel
	.section	.text._Z16sort_keys_kernelI22helper_blocked_stripediLj512ELj1ELj10EEvPKT0_PS1_,"axG",@progbits,_Z16sort_keys_kernelI22helper_blocked_stripediLj512ELj1ELj10EEvPKT0_PS1_,comdat
.Lfunc_end232:
	.size	_Z16sort_keys_kernelI22helper_blocked_stripediLj512ELj1ELj10EEvPKT0_PS1_, .Lfunc_end232-_Z16sort_keys_kernelI22helper_blocked_stripediLj512ELj1ELj10EEvPKT0_PS1_
                                        ; -- End function
	.set _Z16sort_keys_kernelI22helper_blocked_stripediLj512ELj1ELj10EEvPKT0_PS1_.num_vgpr, 31
	.set _Z16sort_keys_kernelI22helper_blocked_stripediLj512ELj1ELj10EEvPKT0_PS1_.num_agpr, 0
	.set _Z16sort_keys_kernelI22helper_blocked_stripediLj512ELj1ELj10EEvPKT0_PS1_.numbered_sgpr, 42
	.set _Z16sort_keys_kernelI22helper_blocked_stripediLj512ELj1ELj10EEvPKT0_PS1_.num_named_barrier, 0
	.set _Z16sort_keys_kernelI22helper_blocked_stripediLj512ELj1ELj10EEvPKT0_PS1_.private_seg_size, 0
	.set _Z16sort_keys_kernelI22helper_blocked_stripediLj512ELj1ELj10EEvPKT0_PS1_.uses_vcc, 1
	.set _Z16sort_keys_kernelI22helper_blocked_stripediLj512ELj1ELj10EEvPKT0_PS1_.uses_flat_scratch, 0
	.set _Z16sort_keys_kernelI22helper_blocked_stripediLj512ELj1ELj10EEvPKT0_PS1_.has_dyn_sized_stack, 0
	.set _Z16sort_keys_kernelI22helper_blocked_stripediLj512ELj1ELj10EEvPKT0_PS1_.has_recursion, 0
	.set _Z16sort_keys_kernelI22helper_blocked_stripediLj512ELj1ELj10EEvPKT0_PS1_.has_indirect_call, 0
	.section	.AMDGPU.csdata,"",@progbits
; Kernel info:
; codeLenInByte = 3924
; TotalNumSgprs: 46
; NumVgprs: 31
; ScratchSize: 0
; MemoryBound: 0
; FloatMode: 240
; IeeeMode: 1
; LDSByteSize: 8224 bytes/workgroup (compile time only)
; SGPRBlocks: 5
; VGPRBlocks: 7
; NumSGPRsForWavesPerEU: 46
; NumVGPRsForWavesPerEU: 31
; Occupancy: 8
; WaveLimiterHint : 0
; COMPUTE_PGM_RSRC2:SCRATCH_EN: 0
; COMPUTE_PGM_RSRC2:USER_SGPR: 6
; COMPUTE_PGM_RSRC2:TRAP_HANDLER: 0
; COMPUTE_PGM_RSRC2:TGID_X_EN: 1
; COMPUTE_PGM_RSRC2:TGID_Y_EN: 0
; COMPUTE_PGM_RSRC2:TGID_Z_EN: 0
; COMPUTE_PGM_RSRC2:TIDIG_COMP_CNT: 2
	.section	.text._Z17sort_pairs_kernelI22helper_blocked_stripediLj512ELj1ELj10EEvPKT0_PS1_,"axG",@progbits,_Z17sort_pairs_kernelI22helper_blocked_stripediLj512ELj1ELj10EEvPKT0_PS1_,comdat
	.protected	_Z17sort_pairs_kernelI22helper_blocked_stripediLj512ELj1ELj10EEvPKT0_PS1_ ; -- Begin function _Z17sort_pairs_kernelI22helper_blocked_stripediLj512ELj1ELj10EEvPKT0_PS1_
	.globl	_Z17sort_pairs_kernelI22helper_blocked_stripediLj512ELj1ELj10EEvPKT0_PS1_
	.p2align	8
	.type	_Z17sort_pairs_kernelI22helper_blocked_stripediLj512ELj1ELj10EEvPKT0_PS1_,@function
_Z17sort_pairs_kernelI22helper_blocked_stripediLj512ELj1ELj10EEvPKT0_PS1_: ; @_Z17sort_pairs_kernelI22helper_blocked_stripediLj512ELj1ELj10EEvPKT0_PS1_
; %bb.0:
	s_load_dwordx4 s[28:31], s[4:5], 0x0
	s_load_dword s41, s[4:5], 0x1c
	s_lshl_b32 s36, s6, 9
	s_mov_b32 s37, 0
	s_lshl_b64 s[34:35], s[36:37], 2
	s_waitcnt lgkmcnt(0)
	s_add_u32 s0, s28, s34
	s_addc_u32 s1, s29, s35
	v_lshlrev_b32_e32 v3, 2, v0
	global_load_dword v3, v3, s[0:1]
	v_mbcnt_lo_u32_b32 v4, -1, 0
	v_mbcnt_hi_u32_b32 v4, -1, v4
	v_subrev_co_u32_e64 v24, s[4:5], 1, v4
	v_and_b32_e32 v25, 64, v4
	v_and_b32_e32 v9, 15, v4
	v_cmp_lt_i32_e64 s[26:27], v24, v25
	v_cmp_eq_u32_e64 s[8:9], 0, v9
	v_cmp_lt_u32_e64 s[10:11], 1, v9
	v_cmp_lt_u32_e64 s[12:13], 3, v9
	;; [unrolled: 1-line block ×3, first 2 shown]
	v_cndmask_b32_e64 v9, v24, v4, s[26:27]
	s_lshr_b32 s26, s41, 16
	s_and_b32 s27, s41, 0xffff
	v_mad_u32_u24 v1, v2, s26, v1
	v_mad_u64_u32 v[1:2], s[26:27], v1, s27, v[0:1]
	v_lshlrev_b32_e32 v20, 4, v0
	v_and_b32_e32 v6, 0x1c0, v0
	v_lshrrev_b32_e32 v7, 4, v0
	v_mul_i32_i24_e32 v8, -12, v0
	s_mov_b32 s38, s37
	v_and_b32_e32 v10, 16, v4
	s_mov_b32 s36, s37
	s_mov_b32 s39, s37
	v_or_b32_e32 v23, 63, v6
	v_and_b32_e32 v26, 7, v4
	v_and_b32_e32 v21, 28, v7
	v_lshlrev_b32_e32 v6, 2, v6
	v_add_u32_e32 v22, v20, v8
	v_cmp_eq_u32_e64 s[16:17], 0, v10
	v_mov_b32_e32 v7, s36
	v_lshlrev_b32_e32 v25, 2, v9
	v_lshrrev_b32_e32 v1, 4, v1
	v_mov_b32_e32 v9, s38
	s_mov_b32 s33, 10
	s_movk_i32 s40, 0xff
	v_mov_b32_e32 v11, 5
	v_mov_b32_e32 v12, 1
	;; [unrolled: 1-line block ×10, first 2 shown]
	v_cmp_gt_u32_e32 vcc, 8, v0
	v_cmp_lt_u32_e64 s[0:1], 63, v0
	v_cmp_eq_u32_e64 s[2:3], 0, v0
	v_cmp_lt_u32_e64 s[6:7], 31, v4
	v_cmp_eq_u32_e64 s[18:19], v0, v23
	v_cmp_eq_u32_e64 s[20:21], 0, v26
	v_cmp_lt_u32_e64 s[22:23], 1, v26
	v_cmp_lt_u32_e64 s[24:25], 3, v26
	v_lshl_add_u32 v23, v4, 2, v6
	v_add_u32_e32 v24, -4, v21
	v_mov_b32_e32 v8, s37
	v_and_b32_e32 v26, 0xffffffc, v1
	v_mov_b32_e32 v10, s39
	s_waitcnt vmcnt(0)
	v_add_u32_e32 v27, 1, v3
	v_xor_b32_e32 v28, 0x80000000, v3
	s_branch .LBB233_2
.LBB233_1:                              ;   in Loop: Header=BB233_2 Depth=1
	s_or_b64 exec, exec, s[26:27]
	s_waitcnt lgkmcnt(0)
	v_add_u32_e32 v4, v30, v4
	ds_bpermute_b32 v4, v25, v4
	s_add_i32 s33, s33, -1
	s_cmp_eq_u32 s33, 0
	s_waitcnt lgkmcnt(0)
	v_cndmask_b32_e64 v4, v4, v30, s[4:5]
	v_cndmask_b32_e64 v30, v4, 0, s[2:3]
	v_add_u32_e32 v31, v30, v1
	v_add_u32_e32 v1, v31, v2
	;; [unrolled: 1-line block ×3, first 2 shown]
	ds_write2_b64 v20, v[30:31], v[1:2] offset0:4 offset1:5
	s_waitcnt lgkmcnt(0)
	s_barrier
	ds_read_b32 v1, v28 offset:32
	v_lshlrev_b32_e32 v2, 2, v6
	s_waitcnt lgkmcnt(0)
	s_barrier
	v_lshl_add_u32 v1, v1, 2, v2
	ds_write_b32 v1, v27
	s_waitcnt lgkmcnt(0)
	s_barrier
	ds_read_b32 v28, v22
	s_waitcnt lgkmcnt(0)
	s_barrier
	ds_write_b32 v1, v29
	s_waitcnt lgkmcnt(0)
	s_barrier
	ds_read_b32 v27, v22
	s_cbranch_scc1 .LBB233_34
.LBB233_2:                              ; =>This Inner Loop Header: Depth=1
	v_and_b32_e32 v1, 1, v28
	v_add_co_u32_e64 v2, s[26:27], -1, v1
	v_addc_co_u32_e64 v4, s[26:27], 0, -1, s[26:27]
	v_cmp_ne_u32_e64 s[26:27], 0, v1
	v_lshlrev_b32_e32 v6, 30, v28
	v_xor_b32_e32 v1, s27, v4
	v_xor_b32_e32 v2, s26, v2
	v_cmp_gt_i64_e64 s[26:27], 0, v[5:6]
	v_not_b32_e32 v4, v6
	v_ashrrev_i32_e32 v4, 31, v4
	v_and_b32_e32 v1, exec_hi, v1
	v_xor_b32_e32 v6, s27, v4
	v_and_b32_e32 v2, exec_lo, v2
	v_xor_b32_e32 v4, s26, v4
	v_and_b32_e32 v1, v1, v6
	v_lshlrev_b32_e32 v6, 29, v28
	v_and_b32_e32 v2, v2, v4
	v_cmp_gt_i64_e64 s[26:27], 0, v[5:6]
	v_not_b32_e32 v4, v6
	v_ashrrev_i32_e32 v4, 31, v4
	v_xor_b32_e32 v6, s27, v4
	v_xor_b32_e32 v4, s26, v4
	v_and_b32_e32 v1, v1, v6
	v_lshlrev_b32_e32 v6, 28, v28
	v_and_b32_e32 v2, v2, v4
	v_cmp_gt_i64_e64 s[26:27], 0, v[5:6]
	v_not_b32_e32 v4, v6
	v_ashrrev_i32_e32 v4, 31, v4
	v_xor_b32_e32 v6, s27, v4
	;; [unrolled: 8-line block ×6, first 2 shown]
	v_xor_b32_e32 v29, s26, v2
	v_and_b32_e32 v2, v1, v6
	v_and_b32_e32 v1, v4, v29
	v_mbcnt_lo_u32_b32 v4, v1, 0
	v_mbcnt_hi_u32_b32 v6, v2, v4
	v_cmp_ne_u64_e64 s[26:27], 0, v[1:2]
	v_lshlrev_b32_sdwa v3, v11, v28 dst_sel:DWORD dst_unused:UNUSED_PAD src0_sel:DWORD src1_sel:BYTE_0
	v_cmp_eq_u32_e64 s[28:29], 0, v6
	s_and_b64 s[28:29], s[26:27], s[28:29]
	v_add_u32_e32 v29, v26, v3
	ds_write2_b64 v20, v[7:8], v[9:10] offset0:4 offset1:5
	s_waitcnt lgkmcnt(0)
	s_barrier
	; wave barrier
	s_and_saveexec_b64 s[26:27], s[28:29]
; %bb.3:                                ;   in Loop: Header=BB233_2 Depth=1
	v_bcnt_u32_b32 v1, v1, 0
	v_bcnt_u32_b32 v1, v2, v1
	ds_write_b32 v29, v1 offset:32
; %bb.4:                                ;   in Loop: Header=BB233_2 Depth=1
	s_or_b64 exec, exec, s[26:27]
	; wave barrier
	s_waitcnt lgkmcnt(0)
	s_barrier
	ds_read2_b64 v[1:4], v20 offset0:4 offset1:5
	s_waitcnt lgkmcnt(0)
	v_add_u32_e32 v30, v2, v1
	v_add3_u32 v4, v30, v3, v4
	s_nop 1
	v_mov_b32_dpp v30, v4 row_shr:1 row_mask:0xf bank_mask:0xf
	v_cndmask_b32_e64 v30, v30, 0, s[8:9]
	v_add_u32_e32 v4, v30, v4
	s_nop 1
	v_mov_b32_dpp v30, v4 row_shr:2 row_mask:0xf bank_mask:0xf
	v_cndmask_b32_e64 v30, 0, v30, s[10:11]
	v_add_u32_e32 v4, v4, v30
	;; [unrolled: 4-line block ×4, first 2 shown]
	s_nop 1
	v_mov_b32_dpp v30, v4 row_bcast:15 row_mask:0xf bank_mask:0xf
	v_cndmask_b32_e64 v30, v30, 0, s[16:17]
	v_add_u32_e32 v4, v4, v30
	s_nop 1
	v_mov_b32_dpp v30, v4 row_bcast:31 row_mask:0xf bank_mask:0xf
	v_cndmask_b32_e64 v30, 0, v30, s[6:7]
	v_add_u32_e32 v4, v4, v30
	s_and_saveexec_b64 s[26:27], s[18:19]
; %bb.5:                                ;   in Loop: Header=BB233_2 Depth=1
	ds_write_b32 v21, v4
; %bb.6:                                ;   in Loop: Header=BB233_2 Depth=1
	s_or_b64 exec, exec, s[26:27]
	s_waitcnt lgkmcnt(0)
	s_barrier
	s_and_saveexec_b64 s[26:27], vcc
	s_cbranch_execz .LBB233_8
; %bb.7:                                ;   in Loop: Header=BB233_2 Depth=1
	ds_read_b32 v30, v22
	s_waitcnt lgkmcnt(0)
	s_nop 0
	v_mov_b32_dpp v31, v30 row_shr:1 row_mask:0xf bank_mask:0xf
	v_cndmask_b32_e64 v31, v31, 0, s[20:21]
	v_add_u32_e32 v30, v31, v30
	s_nop 1
	v_mov_b32_dpp v31, v30 row_shr:2 row_mask:0xf bank_mask:0xf
	v_cndmask_b32_e64 v31, 0, v31, s[22:23]
	v_add_u32_e32 v30, v30, v31
	;; [unrolled: 4-line block ×3, first 2 shown]
	ds_write_b32 v22, v30
.LBB233_8:                              ;   in Loop: Header=BB233_2 Depth=1
	s_or_b64 exec, exec, s[26:27]
	v_mov_b32_e32 v30, 0
	s_waitcnt lgkmcnt(0)
	s_barrier
	s_and_saveexec_b64 s[26:27], s[0:1]
; %bb.9:                                ;   in Loop: Header=BB233_2 Depth=1
	ds_read_b32 v30, v24
; %bb.10:                               ;   in Loop: Header=BB233_2 Depth=1
	s_or_b64 exec, exec, s[26:27]
	s_waitcnt lgkmcnt(0)
	v_add_u32_e32 v4, v30, v4
	ds_bpermute_b32 v4, v25, v4
	s_waitcnt lgkmcnt(0)
	v_cndmask_b32_e64 v4, v4, v30, s[4:5]
	v_cndmask_b32_e64 v30, v4, 0, s[2:3]
	v_add_u32_e32 v31, v30, v1
	v_add_u32_e32 v1, v31, v2
	v_add_u32_e32 v2, v1, v3
	ds_write2_b64 v20, v[30:31], v[1:2] offset0:4 offset1:5
	s_waitcnt lgkmcnt(0)
	s_barrier
	ds_read_b32 v1, v29 offset:32
	v_lshlrev_b32_e32 v2, 2, v6
	s_waitcnt lgkmcnt(0)
	s_barrier
	v_lshl_add_u32 v1, v1, 2, v2
	ds_write_b32 v1, v28
	s_waitcnt lgkmcnt(0)
	s_barrier
	ds_read_b32 v28, v23
	s_waitcnt lgkmcnt(0)
	s_barrier
	ds_write_b32 v1, v27
	v_lshrrev_b32_e32 v1, 8, v28
	v_and_b32_e32 v2, 1, v1
	v_add_co_u32_e64 v4, s[26:27], -1, v2
	v_addc_co_u32_e64 v6, s[26:27], 0, -1, s[26:27]
	v_cmp_ne_u32_e64 s[26:27], 0, v2
	v_xor_b32_e32 v2, s27, v6
	v_lshlrev_b32_e32 v6, 30, v1
	v_xor_b32_e32 v4, s26, v4
	v_cmp_gt_i64_e64 s[26:27], 0, v[5:6]
	v_not_b32_e32 v6, v6
	v_ashrrev_i32_e32 v6, 31, v6
	v_and_b32_e32 v4, exec_lo, v4
	v_xor_b32_e32 v29, s27, v6
	v_xor_b32_e32 v6, s26, v6
	v_and_b32_e32 v4, v4, v6
	v_lshlrev_b32_e32 v6, 29, v1
	v_cmp_gt_i64_e64 s[26:27], 0, v[5:6]
	v_not_b32_e32 v6, v6
	v_and_b32_e32 v2, exec_hi, v2
	v_ashrrev_i32_e32 v6, 31, v6
	v_and_b32_e32 v2, v2, v29
	v_xor_b32_e32 v29, s27, v6
	v_xor_b32_e32 v6, s26, v6
	v_and_b32_e32 v4, v4, v6
	v_lshlrev_b32_e32 v6, 28, v1
	v_cmp_gt_i64_e64 s[26:27], 0, v[5:6]
	v_not_b32_e32 v6, v6
	v_ashrrev_i32_e32 v6, 31, v6
	v_and_b32_e32 v2, v2, v29
	v_xor_b32_e32 v29, s27, v6
	v_xor_b32_e32 v6, s26, v6
	v_and_b32_e32 v4, v4, v6
	v_lshlrev_b32_e32 v6, 27, v1
	v_cmp_gt_i64_e64 s[26:27], 0, v[5:6]
	v_not_b32_e32 v6, v6
	;; [unrolled: 8-line block ×4, first 2 shown]
	v_ashrrev_i32_e32 v6, 31, v6
	v_and_b32_e32 v2, v2, v29
	v_xor_b32_e32 v29, s27, v6
	v_xor_b32_e32 v6, s26, v6
	v_and_b32_e32 v4, v4, v6
	v_lshlrev_b32_e32 v6, 24, v1
	v_lshlrev_b32_sdwa v3, v11, v1 dst_sel:DWORD dst_unused:UNUSED_PAD src0_sel:DWORD src1_sel:BYTE_0
	v_cmp_gt_i64_e64 s[26:27], 0, v[5:6]
	v_not_b32_e32 v1, v6
	v_ashrrev_i32_e32 v1, 31, v1
	v_xor_b32_e32 v6, s27, v1
	v_xor_b32_e32 v1, s26, v1
	s_waitcnt lgkmcnt(0)
	s_barrier
	ds_read_b32 v27, v23
	v_and_b32_e32 v2, v2, v29
	v_and_b32_e32 v1, v4, v1
	;; [unrolled: 1-line block ×3, first 2 shown]
	v_mbcnt_lo_u32_b32 v4, v1, 0
	v_mbcnt_hi_u32_b32 v6, v2, v4
	v_cmp_ne_u64_e64 s[26:27], 0, v[1:2]
	v_cmp_eq_u32_e64 s[28:29], 0, v6
	s_and_b64 s[28:29], s[26:27], s[28:29]
	v_add_u32_e32 v29, v26, v3
	s_waitcnt lgkmcnt(0)
	s_barrier
	ds_write2_b64 v20, v[7:8], v[9:10] offset0:4 offset1:5
	s_waitcnt lgkmcnt(0)
	s_barrier
	; wave barrier
	s_and_saveexec_b64 s[26:27], s[28:29]
; %bb.11:                               ;   in Loop: Header=BB233_2 Depth=1
	v_bcnt_u32_b32 v1, v1, 0
	v_bcnt_u32_b32 v1, v2, v1
	ds_write_b32 v29, v1 offset:32
; %bb.12:                               ;   in Loop: Header=BB233_2 Depth=1
	s_or_b64 exec, exec, s[26:27]
	; wave barrier
	s_waitcnt lgkmcnt(0)
	s_barrier
	ds_read2_b64 v[1:4], v20 offset0:4 offset1:5
	s_waitcnt lgkmcnt(0)
	v_add_u32_e32 v30, v2, v1
	v_add3_u32 v4, v30, v3, v4
	s_nop 1
	v_mov_b32_dpp v30, v4 row_shr:1 row_mask:0xf bank_mask:0xf
	v_cndmask_b32_e64 v30, v30, 0, s[8:9]
	v_add_u32_e32 v4, v30, v4
	s_nop 1
	v_mov_b32_dpp v30, v4 row_shr:2 row_mask:0xf bank_mask:0xf
	v_cndmask_b32_e64 v30, 0, v30, s[10:11]
	v_add_u32_e32 v4, v4, v30
	;; [unrolled: 4-line block ×4, first 2 shown]
	s_nop 1
	v_mov_b32_dpp v30, v4 row_bcast:15 row_mask:0xf bank_mask:0xf
	v_cndmask_b32_e64 v30, v30, 0, s[16:17]
	v_add_u32_e32 v4, v4, v30
	s_nop 1
	v_mov_b32_dpp v30, v4 row_bcast:31 row_mask:0xf bank_mask:0xf
	v_cndmask_b32_e64 v30, 0, v30, s[6:7]
	v_add_u32_e32 v4, v4, v30
	s_and_saveexec_b64 s[26:27], s[18:19]
; %bb.13:                               ;   in Loop: Header=BB233_2 Depth=1
	ds_write_b32 v21, v4
; %bb.14:                               ;   in Loop: Header=BB233_2 Depth=1
	s_or_b64 exec, exec, s[26:27]
	s_waitcnt lgkmcnt(0)
	s_barrier
	s_and_saveexec_b64 s[26:27], vcc
	s_cbranch_execz .LBB233_16
; %bb.15:                               ;   in Loop: Header=BB233_2 Depth=1
	ds_read_b32 v30, v22
	s_waitcnt lgkmcnt(0)
	s_nop 0
	v_mov_b32_dpp v31, v30 row_shr:1 row_mask:0xf bank_mask:0xf
	v_cndmask_b32_e64 v31, v31, 0, s[20:21]
	v_add_u32_e32 v30, v31, v30
	s_nop 1
	v_mov_b32_dpp v31, v30 row_shr:2 row_mask:0xf bank_mask:0xf
	v_cndmask_b32_e64 v31, 0, v31, s[22:23]
	v_add_u32_e32 v30, v30, v31
	;; [unrolled: 4-line block ×3, first 2 shown]
	ds_write_b32 v22, v30
.LBB233_16:                             ;   in Loop: Header=BB233_2 Depth=1
	s_or_b64 exec, exec, s[26:27]
	v_mov_b32_e32 v30, 0
	s_waitcnt lgkmcnt(0)
	s_barrier
	s_and_saveexec_b64 s[26:27], s[0:1]
; %bb.17:                               ;   in Loop: Header=BB233_2 Depth=1
	ds_read_b32 v30, v24
; %bb.18:                               ;   in Loop: Header=BB233_2 Depth=1
	s_or_b64 exec, exec, s[26:27]
	s_waitcnt lgkmcnt(0)
	v_add_u32_e32 v4, v30, v4
	ds_bpermute_b32 v4, v25, v4
	s_waitcnt lgkmcnt(0)
	v_cndmask_b32_e64 v4, v4, v30, s[4:5]
	v_cndmask_b32_e64 v30, v4, 0, s[2:3]
	v_add_u32_e32 v31, v30, v1
	v_add_u32_e32 v1, v31, v2
	;; [unrolled: 1-line block ×3, first 2 shown]
	ds_write2_b64 v20, v[30:31], v[1:2] offset0:4 offset1:5
	s_waitcnt lgkmcnt(0)
	s_barrier
	ds_read_b32 v1, v29 offset:32
	v_lshlrev_b32_e32 v2, 2, v6
	s_waitcnt lgkmcnt(0)
	s_barrier
	v_lshl_add_u32 v1, v1, 2, v2
	ds_write_b32 v1, v28
	s_waitcnt lgkmcnt(0)
	s_barrier
	ds_read_b32 v28, v23
	s_waitcnt lgkmcnt(0)
	s_barrier
	ds_write_b32 v1, v27
	v_and_b32_sdwa v1, v28, s40 dst_sel:DWORD dst_unused:UNUSED_PAD src0_sel:WORD_1 src1_sel:DWORD
	v_lshlrev_b32_e32 v3, 5, v1
	v_and_b32_sdwa v1, v28, v12 dst_sel:DWORD dst_unused:UNUSED_PAD src0_sel:WORD_1 src1_sel:DWORD
	v_add_co_u32_e64 v2, s[26:27], -1, v1
	v_addc_co_u32_e64 v4, s[26:27], 0, -1, s[26:27]
	v_cmp_ne_u32_e64 s[26:27], 0, v1
	v_lshlrev_b32_sdwa v6, v13, v28 dst_sel:DWORD dst_unused:UNUSED_PAD src0_sel:DWORD src1_sel:WORD_1
	v_xor_b32_e32 v1, s27, v4
	v_xor_b32_e32 v2, s26, v2
	v_cmp_gt_i64_e64 s[26:27], 0, v[5:6]
	v_not_b32_e32 v4, v6
	v_ashrrev_i32_e32 v4, 31, v4
	v_and_b32_e32 v1, exec_hi, v1
	v_xor_b32_e32 v6, s27, v4
	v_and_b32_e32 v2, exec_lo, v2
	v_xor_b32_e32 v4, s26, v4
	v_and_b32_e32 v1, v1, v6
	v_lshlrev_b32_sdwa v6, v14, v28 dst_sel:DWORD dst_unused:UNUSED_PAD src0_sel:DWORD src1_sel:WORD_1
	v_and_b32_e32 v2, v2, v4
	v_cmp_gt_i64_e64 s[26:27], 0, v[5:6]
	v_not_b32_e32 v4, v6
	v_ashrrev_i32_e32 v4, 31, v4
	v_xor_b32_e32 v6, s27, v4
	v_xor_b32_e32 v4, s26, v4
	v_and_b32_e32 v1, v1, v6
	v_lshlrev_b32_sdwa v6, v15, v28 dst_sel:DWORD dst_unused:UNUSED_PAD src0_sel:DWORD src1_sel:WORD_1
	v_and_b32_e32 v2, v2, v4
	v_cmp_gt_i64_e64 s[26:27], 0, v[5:6]
	v_not_b32_e32 v4, v6
	v_ashrrev_i32_e32 v4, 31, v4
	v_xor_b32_e32 v6, s27, v4
	;; [unrolled: 8-line block ×6, first 2 shown]
	v_xor_b32_e32 v27, s26, v2
	s_waitcnt lgkmcnt(0)
	s_barrier
	ds_read_b32 v29, v23
	v_and_b32_e32 v2, v1, v6
	v_and_b32_e32 v1, v4, v27
	v_mbcnt_lo_u32_b32 v4, v1, 0
	v_mbcnt_hi_u32_b32 v6, v2, v4
	v_cmp_ne_u64_e64 s[26:27], 0, v[1:2]
	v_cmp_eq_u32_e64 s[28:29], 0, v6
	s_and_b64 s[28:29], s[26:27], s[28:29]
	v_add_u32_e32 v27, v26, v3
	s_waitcnt lgkmcnt(0)
	s_barrier
	ds_write2_b64 v20, v[7:8], v[9:10] offset0:4 offset1:5
	s_waitcnt lgkmcnt(0)
	s_barrier
	; wave barrier
	s_and_saveexec_b64 s[26:27], s[28:29]
; %bb.19:                               ;   in Loop: Header=BB233_2 Depth=1
	v_bcnt_u32_b32 v1, v1, 0
	v_bcnt_u32_b32 v1, v2, v1
	ds_write_b32 v27, v1 offset:32
; %bb.20:                               ;   in Loop: Header=BB233_2 Depth=1
	s_or_b64 exec, exec, s[26:27]
	; wave barrier
	s_waitcnt lgkmcnt(0)
	s_barrier
	ds_read2_b64 v[1:4], v20 offset0:4 offset1:5
	s_waitcnt lgkmcnt(0)
	v_add_u32_e32 v30, v2, v1
	v_add3_u32 v4, v30, v3, v4
	s_nop 1
	v_mov_b32_dpp v30, v4 row_shr:1 row_mask:0xf bank_mask:0xf
	v_cndmask_b32_e64 v30, v30, 0, s[8:9]
	v_add_u32_e32 v4, v30, v4
	s_nop 1
	v_mov_b32_dpp v30, v4 row_shr:2 row_mask:0xf bank_mask:0xf
	v_cndmask_b32_e64 v30, 0, v30, s[10:11]
	v_add_u32_e32 v4, v4, v30
	;; [unrolled: 4-line block ×4, first 2 shown]
	s_nop 1
	v_mov_b32_dpp v30, v4 row_bcast:15 row_mask:0xf bank_mask:0xf
	v_cndmask_b32_e64 v30, v30, 0, s[16:17]
	v_add_u32_e32 v4, v4, v30
	s_nop 1
	v_mov_b32_dpp v30, v4 row_bcast:31 row_mask:0xf bank_mask:0xf
	v_cndmask_b32_e64 v30, 0, v30, s[6:7]
	v_add_u32_e32 v4, v4, v30
	s_and_saveexec_b64 s[26:27], s[18:19]
; %bb.21:                               ;   in Loop: Header=BB233_2 Depth=1
	ds_write_b32 v21, v4
; %bb.22:                               ;   in Loop: Header=BB233_2 Depth=1
	s_or_b64 exec, exec, s[26:27]
	s_waitcnt lgkmcnt(0)
	s_barrier
	s_and_saveexec_b64 s[26:27], vcc
	s_cbranch_execz .LBB233_24
; %bb.23:                               ;   in Loop: Header=BB233_2 Depth=1
	ds_read_b32 v30, v22
	s_waitcnt lgkmcnt(0)
	s_nop 0
	v_mov_b32_dpp v31, v30 row_shr:1 row_mask:0xf bank_mask:0xf
	v_cndmask_b32_e64 v31, v31, 0, s[20:21]
	v_add_u32_e32 v30, v31, v30
	s_nop 1
	v_mov_b32_dpp v31, v30 row_shr:2 row_mask:0xf bank_mask:0xf
	v_cndmask_b32_e64 v31, 0, v31, s[22:23]
	v_add_u32_e32 v30, v30, v31
	;; [unrolled: 4-line block ×3, first 2 shown]
	ds_write_b32 v22, v30
.LBB233_24:                             ;   in Loop: Header=BB233_2 Depth=1
	s_or_b64 exec, exec, s[26:27]
	v_mov_b32_e32 v30, 0
	s_waitcnt lgkmcnt(0)
	s_barrier
	s_and_saveexec_b64 s[26:27], s[0:1]
; %bb.25:                               ;   in Loop: Header=BB233_2 Depth=1
	ds_read_b32 v30, v24
; %bb.26:                               ;   in Loop: Header=BB233_2 Depth=1
	s_or_b64 exec, exec, s[26:27]
	s_waitcnt lgkmcnt(0)
	v_add_u32_e32 v4, v30, v4
	ds_bpermute_b32 v4, v25, v4
	s_waitcnt lgkmcnt(0)
	v_cndmask_b32_e64 v4, v4, v30, s[4:5]
	v_cndmask_b32_e64 v30, v4, 0, s[2:3]
	v_add_u32_e32 v31, v30, v1
	v_add_u32_e32 v1, v31, v2
	;; [unrolled: 1-line block ×3, first 2 shown]
	ds_write2_b64 v20, v[30:31], v[1:2] offset0:4 offset1:5
	s_waitcnt lgkmcnt(0)
	s_barrier
	ds_read_b32 v1, v27 offset:32
	v_lshlrev_b32_e32 v2, 2, v6
	s_waitcnt lgkmcnt(0)
	s_barrier
	v_lshl_add_u32 v1, v1, 2, v2
	ds_write_b32 v1, v28
	s_waitcnt lgkmcnt(0)
	s_barrier
	ds_read_b32 v27, v23
	s_waitcnt lgkmcnt(0)
	s_barrier
	ds_write_b32 v1, v29
	v_mov_b32_e32 v1, s36
	v_mov_b32_e32 v3, s38
	;; [unrolled: 1-line block ×4, first 2 shown]
	s_waitcnt lgkmcnt(0)
	s_barrier
	ds_read_b32 v29, v23
	s_waitcnt lgkmcnt(0)
	s_barrier
	ds_write2_b64 v20, v[1:2], v[3:4] offset0:4 offset1:5
	v_and_b32_sdwa v1, v27, v12 dst_sel:DWORD dst_unused:UNUSED_PAD src0_sel:BYTE_3 src1_sel:DWORD
	v_add_co_u32_e64 v2, s[26:27], -1, v1
	v_addc_co_u32_e64 v4, s[26:27], 0, -1, s[26:27]
	v_cmp_ne_u32_e64 s[26:27], 0, v1
	v_lshlrev_b32_sdwa v6, v13, v27 dst_sel:DWORD dst_unused:UNUSED_PAD src0_sel:DWORD src1_sel:BYTE_3
	v_xor_b32_e32 v1, s27, v4
	v_xor_b32_e32 v2, s26, v2
	v_cmp_gt_i64_e64 s[26:27], 0, v[5:6]
	v_not_b32_e32 v4, v6
	v_ashrrev_i32_e32 v4, 31, v4
	v_and_b32_e32 v1, exec_hi, v1
	v_xor_b32_e32 v6, s27, v4
	v_and_b32_e32 v2, exec_lo, v2
	v_xor_b32_e32 v4, s26, v4
	v_and_b32_e32 v1, v1, v6
	v_lshlrev_b32_sdwa v6, v14, v27 dst_sel:DWORD dst_unused:UNUSED_PAD src0_sel:DWORD src1_sel:BYTE_3
	v_and_b32_e32 v2, v2, v4
	v_cmp_gt_i64_e64 s[26:27], 0, v[5:6]
	v_not_b32_e32 v4, v6
	v_ashrrev_i32_e32 v4, 31, v4
	v_xor_b32_e32 v6, s27, v4
	v_xor_b32_e32 v4, s26, v4
	v_and_b32_e32 v1, v1, v6
	v_lshlrev_b32_sdwa v6, v15, v27 dst_sel:DWORD dst_unused:UNUSED_PAD src0_sel:DWORD src1_sel:BYTE_3
	v_and_b32_e32 v2, v2, v4
	v_cmp_gt_i64_e64 s[26:27], 0, v[5:6]
	v_not_b32_e32 v4, v6
	v_ashrrev_i32_e32 v4, 31, v4
	v_xor_b32_e32 v6, s27, v4
	;; [unrolled: 8-line block ×6, first 2 shown]
	v_xor_b32_e32 v28, s26, v2
	v_and_b32_e32 v2, v1, v6
	v_and_b32_e32 v1, v4, v28
	v_mbcnt_lo_u32_b32 v4, v1, 0
	v_mbcnt_hi_u32_b32 v6, v2, v4
	v_cmp_ne_u64_e64 s[26:27], 0, v[1:2]
	v_lshlrev_b32_sdwa v3, v11, v27 dst_sel:DWORD dst_unused:UNUSED_PAD src0_sel:DWORD src1_sel:BYTE_3
	v_cmp_eq_u32_e64 s[28:29], 0, v6
	s_and_b64 s[28:29], s[26:27], s[28:29]
	v_add_u32_e32 v28, v26, v3
	s_waitcnt lgkmcnt(0)
	s_barrier
	; wave barrier
	s_and_saveexec_b64 s[26:27], s[28:29]
; %bb.27:                               ;   in Loop: Header=BB233_2 Depth=1
	v_bcnt_u32_b32 v1, v1, 0
	v_bcnt_u32_b32 v1, v2, v1
	ds_write_b32 v28, v1 offset:32
; %bb.28:                               ;   in Loop: Header=BB233_2 Depth=1
	s_or_b64 exec, exec, s[26:27]
	; wave barrier
	s_waitcnt lgkmcnt(0)
	s_barrier
	ds_read2_b64 v[1:4], v20 offset0:4 offset1:5
	s_waitcnt lgkmcnt(0)
	v_add_u32_e32 v30, v2, v1
	v_add3_u32 v4, v30, v3, v4
	s_nop 1
	v_mov_b32_dpp v30, v4 row_shr:1 row_mask:0xf bank_mask:0xf
	v_cndmask_b32_e64 v30, v30, 0, s[8:9]
	v_add_u32_e32 v4, v30, v4
	s_nop 1
	v_mov_b32_dpp v30, v4 row_shr:2 row_mask:0xf bank_mask:0xf
	v_cndmask_b32_e64 v30, 0, v30, s[10:11]
	v_add_u32_e32 v4, v4, v30
	;; [unrolled: 4-line block ×4, first 2 shown]
	s_nop 1
	v_mov_b32_dpp v30, v4 row_bcast:15 row_mask:0xf bank_mask:0xf
	v_cndmask_b32_e64 v30, v30, 0, s[16:17]
	v_add_u32_e32 v4, v4, v30
	s_nop 1
	v_mov_b32_dpp v30, v4 row_bcast:31 row_mask:0xf bank_mask:0xf
	v_cndmask_b32_e64 v30, 0, v30, s[6:7]
	v_add_u32_e32 v4, v4, v30
	s_and_saveexec_b64 s[26:27], s[18:19]
; %bb.29:                               ;   in Loop: Header=BB233_2 Depth=1
	ds_write_b32 v21, v4
; %bb.30:                               ;   in Loop: Header=BB233_2 Depth=1
	s_or_b64 exec, exec, s[26:27]
	s_waitcnt lgkmcnt(0)
	s_barrier
	s_and_saveexec_b64 s[26:27], vcc
	s_cbranch_execz .LBB233_32
; %bb.31:                               ;   in Loop: Header=BB233_2 Depth=1
	ds_read_b32 v30, v22
	s_waitcnt lgkmcnt(0)
	s_nop 0
	v_mov_b32_dpp v31, v30 row_shr:1 row_mask:0xf bank_mask:0xf
	v_cndmask_b32_e64 v31, v31, 0, s[20:21]
	v_add_u32_e32 v30, v31, v30
	s_nop 1
	v_mov_b32_dpp v31, v30 row_shr:2 row_mask:0xf bank_mask:0xf
	v_cndmask_b32_e64 v31, 0, v31, s[22:23]
	v_add_u32_e32 v30, v30, v31
	;; [unrolled: 4-line block ×3, first 2 shown]
	ds_write_b32 v22, v30
.LBB233_32:                             ;   in Loop: Header=BB233_2 Depth=1
	s_or_b64 exec, exec, s[26:27]
	v_mov_b32_e32 v30, 0
	s_waitcnt lgkmcnt(0)
	s_barrier
	s_and_saveexec_b64 s[26:27], s[0:1]
	s_cbranch_execz .LBB233_1
; %bb.33:                               ;   in Loop: Header=BB233_2 Depth=1
	ds_read_b32 v30, v24
	s_branch .LBB233_1
.LBB233_34:
	s_brev_b32 s0, 1
	s_waitcnt lgkmcnt(0)
	v_add3_u32 v1, v27, v28, s0
	s_add_u32 s0, s30, s34
	s_addc_u32 s1, s31, s35
	v_lshlrev_b32_e32 v0, 2, v0
	global_store_dword v0, v1, s[0:1]
	s_endpgm
	.section	.rodata,"a",@progbits
	.p2align	6, 0x0
	.amdhsa_kernel _Z17sort_pairs_kernelI22helper_blocked_stripediLj512ELj1ELj10EEvPKT0_PS1_
		.amdhsa_group_segment_fixed_size 8224
		.amdhsa_private_segment_fixed_size 0
		.amdhsa_kernarg_size 272
		.amdhsa_user_sgpr_count 6
		.amdhsa_user_sgpr_private_segment_buffer 1
		.amdhsa_user_sgpr_dispatch_ptr 0
		.amdhsa_user_sgpr_queue_ptr 0
		.amdhsa_user_sgpr_kernarg_segment_ptr 1
		.amdhsa_user_sgpr_dispatch_id 0
		.amdhsa_user_sgpr_flat_scratch_init 0
		.amdhsa_user_sgpr_private_segment_size 0
		.amdhsa_uses_dynamic_stack 0
		.amdhsa_system_sgpr_private_segment_wavefront_offset 0
		.amdhsa_system_sgpr_workgroup_id_x 1
		.amdhsa_system_sgpr_workgroup_id_y 0
		.amdhsa_system_sgpr_workgroup_id_z 0
		.amdhsa_system_sgpr_workgroup_info 0
		.amdhsa_system_vgpr_workitem_id 2
		.amdhsa_next_free_vgpr 32
		.amdhsa_next_free_sgpr 42
		.amdhsa_reserve_vcc 1
		.amdhsa_reserve_flat_scratch 0
		.amdhsa_float_round_mode_32 0
		.amdhsa_float_round_mode_16_64 0
		.amdhsa_float_denorm_mode_32 3
		.amdhsa_float_denorm_mode_16_64 3
		.amdhsa_dx10_clamp 1
		.amdhsa_ieee_mode 1
		.amdhsa_fp16_overflow 0
		.amdhsa_exception_fp_ieee_invalid_op 0
		.amdhsa_exception_fp_denorm_src 0
		.amdhsa_exception_fp_ieee_div_zero 0
		.amdhsa_exception_fp_ieee_overflow 0
		.amdhsa_exception_fp_ieee_underflow 0
		.amdhsa_exception_fp_ieee_inexact 0
		.amdhsa_exception_int_div_zero 0
	.end_amdhsa_kernel
	.section	.text._Z17sort_pairs_kernelI22helper_blocked_stripediLj512ELj1ELj10EEvPKT0_PS1_,"axG",@progbits,_Z17sort_pairs_kernelI22helper_blocked_stripediLj512ELj1ELj10EEvPKT0_PS1_,comdat
.Lfunc_end233:
	.size	_Z17sort_pairs_kernelI22helper_blocked_stripediLj512ELj1ELj10EEvPKT0_PS1_, .Lfunc_end233-_Z17sort_pairs_kernelI22helper_blocked_stripediLj512ELj1ELj10EEvPKT0_PS1_
                                        ; -- End function
	.set _Z17sort_pairs_kernelI22helper_blocked_stripediLj512ELj1ELj10EEvPKT0_PS1_.num_vgpr, 32
	.set _Z17sort_pairs_kernelI22helper_blocked_stripediLj512ELj1ELj10EEvPKT0_PS1_.num_agpr, 0
	.set _Z17sort_pairs_kernelI22helper_blocked_stripediLj512ELj1ELj10EEvPKT0_PS1_.numbered_sgpr, 42
	.set _Z17sort_pairs_kernelI22helper_blocked_stripediLj512ELj1ELj10EEvPKT0_PS1_.num_named_barrier, 0
	.set _Z17sort_pairs_kernelI22helper_blocked_stripediLj512ELj1ELj10EEvPKT0_PS1_.private_seg_size, 0
	.set _Z17sort_pairs_kernelI22helper_blocked_stripediLj512ELj1ELj10EEvPKT0_PS1_.uses_vcc, 1
	.set _Z17sort_pairs_kernelI22helper_blocked_stripediLj512ELj1ELj10EEvPKT0_PS1_.uses_flat_scratch, 0
	.set _Z17sort_pairs_kernelI22helper_blocked_stripediLj512ELj1ELj10EEvPKT0_PS1_.has_dyn_sized_stack, 0
	.set _Z17sort_pairs_kernelI22helper_blocked_stripediLj512ELj1ELj10EEvPKT0_PS1_.has_recursion, 0
	.set _Z17sort_pairs_kernelI22helper_blocked_stripediLj512ELj1ELj10EEvPKT0_PS1_.has_indirect_call, 0
	.section	.AMDGPU.csdata,"",@progbits
; Kernel info:
; codeLenInByte = 4056
; TotalNumSgprs: 46
; NumVgprs: 32
; ScratchSize: 0
; MemoryBound: 0
; FloatMode: 240
; IeeeMode: 1
; LDSByteSize: 8224 bytes/workgroup (compile time only)
; SGPRBlocks: 5
; VGPRBlocks: 7
; NumSGPRsForWavesPerEU: 46
; NumVGPRsForWavesPerEU: 32
; Occupancy: 8
; WaveLimiterHint : 0
; COMPUTE_PGM_RSRC2:SCRATCH_EN: 0
; COMPUTE_PGM_RSRC2:USER_SGPR: 6
; COMPUTE_PGM_RSRC2:TRAP_HANDLER: 0
; COMPUTE_PGM_RSRC2:TGID_X_EN: 1
; COMPUTE_PGM_RSRC2:TGID_Y_EN: 0
; COMPUTE_PGM_RSRC2:TGID_Z_EN: 0
; COMPUTE_PGM_RSRC2:TIDIG_COMP_CNT: 2
	.section	.text._Z16sort_keys_kernelI22helper_blocked_stripediLj512ELj3ELj10EEvPKT0_PS1_,"axG",@progbits,_Z16sort_keys_kernelI22helper_blocked_stripediLj512ELj3ELj10EEvPKT0_PS1_,comdat
	.protected	_Z16sort_keys_kernelI22helper_blocked_stripediLj512ELj3ELj10EEvPKT0_PS1_ ; -- Begin function _Z16sort_keys_kernelI22helper_blocked_stripediLj512ELj3ELj10EEvPKT0_PS1_
	.globl	_Z16sort_keys_kernelI22helper_blocked_stripediLj512ELj3ELj10EEvPKT0_PS1_
	.p2align	8
	.type	_Z16sort_keys_kernelI22helper_blocked_stripediLj512ELj3ELj10EEvPKT0_PS1_,@function
_Z16sort_keys_kernelI22helper_blocked_stripediLj512ELj3ELj10EEvPKT0_PS1_: ; @_Z16sort_keys_kernelI22helper_blocked_stripediLj512ELj3ELj10EEvPKT0_PS1_
; %bb.0:
	s_load_dwordx4 s[28:31], s[4:5], 0x0
	s_load_dword s2, s[4:5], 0x1c
	s_mul_i32 s34, s6, 0x600
	s_mov_b32 s35, 0
	s_lshl_b64 s[36:37], s[34:35], 2
	s_waitcnt lgkmcnt(0)
	s_add_u32 s0, s28, s36
	v_mul_u32_u24_e32 v3, 3, v0
	s_addc_u32 s1, s29, s37
	v_lshlrev_b32_e32 v3, 2, v3
	global_load_dwordx3 v[3:5], v3, s[0:1]
	s_lshr_b32 s0, s2, 16
	v_mbcnt_lo_u32_b32 v6, -1, 0
	s_and_b32 s1, s2, 0xffff
	v_mad_u32_u24 v1, v2, s0, v1
	v_mbcnt_hi_u32_b32 v6, -1, v6
	v_mad_u64_u32 v[1:2], s[0:1], v1, s1, v[0:1]
	v_lshrrev_b32_e32 v7, 6, v0
	v_and_b32_e32 v2, 15, v6
	v_mul_u32_u24_e32 v8, 0xc0, v7
	v_cmp_eq_u32_e64 s[0:1], 0, v2
	v_cmp_lt_u32_e64 s[2:3], 1, v2
	v_cmp_lt_u32_e64 s[4:5], 3, v2
	;; [unrolled: 1-line block ×3, first 2 shown]
	v_and_b32_e32 v2, 16, v6
	v_lshlrev_b32_e32 v8, 2, v8
	v_lshlrev_b32_e32 v10, 2, v6
	v_cmp_eq_u32_e64 s[8:9], 0, v2
	v_and_b32_e32 v2, 0x1c0, v0
	v_mad_u32_u24 v12, v6, 12, v8
	v_add_u32_e32 v13, v10, v8
	v_or_b32_e32 v8, 63, v2
	v_cmp_eq_u32_e64 s[12:13], v0, v8
	v_subrev_co_u32_e64 v8, s[18:19], 1, v6
	v_and_b32_e32 v9, 64, v6
	v_cmp_lt_i32_e32 vcc, v8, v9
	v_cmp_lt_u32_e64 s[10:11], 31, v6
	v_cndmask_b32_e32 v8, v8, v6, vcc
	v_and_b32_e32 v6, 7, v6
	s_mov_b32 s34, s35
	s_mov_b32 s28, s35
	v_lshlrev_b32_e32 v14, 4, v0
	v_lshlrev_b32_e32 v15, 2, v8
	;; [unrolled: 1-line block ×3, first 2 shown]
	v_mul_i32_i24_e32 v11, -12, v0
	v_cmp_eq_u32_e64 s[22:23], 0, v6
	v_cmp_lt_u32_e64 s[24:25], 1, v6
	v_cmp_lt_u32_e64 s[26:27], 3, v6
	v_mul_u32_u24_e32 v2, 12, v2
	v_lshrrev_b32_e32 v1, 4, v1
	s_mov_b32 s29, s35
	v_mov_b32_e32 v6, s34
	v_mov_b32_e32 v8, s28
	v_cmp_gt_u32_e64 s[14:15], 8, v0
	v_cmp_lt_u32_e64 s[16:17], 63, v0
	v_cmp_eq_u32_e64 s[20:21], 0, v0
	v_add_u32_e32 v17, -4, v16
	v_and_b32_e32 v18, 0xffffffc, v1
	v_mov_b32_e32 v7, s35
	v_mov_b32_e32 v9, s29
	v_add_u32_e32 v19, v10, v2
	v_mov_b32_e32 v10, 0
	v_add_u32_e32 v20, v14, v11
	v_mov_b32_e32 v21, 5
	s_branch .LBB234_2
.LBB234_1:                              ;   in Loop: Header=BB234_2 Depth=1
	v_lshlrev_b32_e32 v1, 2, v25
	s_barrier
	ds_write_b32 v1, v24
	v_lshlrev_b32_e32 v1, 2, v4
	ds_write_b32 v1, v22
	v_lshlrev_b32_e32 v1, 2, v3
	ds_write_b32 v1, v5
	s_waitcnt lgkmcnt(0)
	s_barrier
	ds_read2st64_b32 v[1:2], v20 offset1:8
	ds_read_b32 v5, v20 offset:4096
	s_add_i32 s35, s35, 1
	s_cmp_eq_u32 s35, 10
	s_waitcnt lgkmcnt(1)
	v_xor_b32_e32 v3, 0x80000000, v1
	v_xor_b32_e32 v4, 0x80000000, v2
	s_waitcnt lgkmcnt(0)
	v_xor_b32_e32 v5, 0x80000000, v5
	s_cbranch_scc1 .LBB234_18
.LBB234_2:                              ; =>This Loop Header: Depth=1
                                        ;     Child Loop BB234_4 Depth 2
	s_waitcnt vmcnt(0)
	v_xor_b32_e32 v1, 0x80000000, v3
	v_xor_b32_e32 v2, 0x80000000, v4
	;; [unrolled: 1-line block ×3, first 2 shown]
	ds_write2_b32 v12, v1, v2 offset1:1
	ds_write_b32 v12, v3 offset:8
	; wave barrier
	ds_read2st64_b32 v[1:2], v13 offset1:1
	ds_read_b32 v11, v13 offset:512
	v_mov_b32_e32 v23, v10
	s_waitcnt lgkmcnt(0)
	s_barrier
	; wave barrier
	s_barrier
	s_branch .LBB234_4
.LBB234_3:                              ;   in Loop: Header=BB234_4 Depth=2
	s_andn2_b64 vcc, exec, s[28:29]
	s_cbranch_vccz .LBB234_1
.LBB234_4:                              ;   Parent Loop BB234_2 Depth=1
                                        ; =>  This Inner Loop Header: Depth=2
	v_mov_b32_e32 v24, v1
	v_lshrrev_b32_e32 v1, v23, v24
	v_mov_b32_e32 v22, v2
	v_and_b32_e32 v2, 1, v1
	v_add_co_u32_e32 v4, vcc, -1, v2
	v_mov_b32_e32 v5, v11
	v_addc_co_u32_e64 v11, s[28:29], 0, -1, vcc
	v_cmp_ne_u32_e32 vcc, 0, v2
	v_xor_b32_e32 v2, vcc_hi, v11
	v_lshlrev_b32_e32 v11, 30, v1
	v_xor_b32_e32 v4, vcc_lo, v4
	v_cmp_gt_i64_e32 vcc, 0, v[10:11]
	v_not_b32_e32 v11, v11
	v_ashrrev_i32_e32 v11, 31, v11
	v_and_b32_e32 v4, exec_lo, v4
	v_xor_b32_e32 v25, vcc_hi, v11
	v_xor_b32_e32 v11, vcc_lo, v11
	v_and_b32_e32 v4, v4, v11
	v_lshlrev_b32_e32 v11, 29, v1
	v_cmp_gt_i64_e32 vcc, 0, v[10:11]
	v_not_b32_e32 v11, v11
	v_and_b32_e32 v2, exec_hi, v2
	v_ashrrev_i32_e32 v11, 31, v11
	v_and_b32_e32 v2, v2, v25
	v_xor_b32_e32 v25, vcc_hi, v11
	v_xor_b32_e32 v11, vcc_lo, v11
	v_and_b32_e32 v4, v4, v11
	v_lshlrev_b32_e32 v11, 28, v1
	v_cmp_gt_i64_e32 vcc, 0, v[10:11]
	v_not_b32_e32 v11, v11
	v_ashrrev_i32_e32 v11, 31, v11
	v_and_b32_e32 v2, v2, v25
	v_xor_b32_e32 v25, vcc_hi, v11
	v_xor_b32_e32 v11, vcc_lo, v11
	v_and_b32_e32 v4, v4, v11
	v_lshlrev_b32_e32 v11, 27, v1
	v_cmp_gt_i64_e32 vcc, 0, v[10:11]
	v_not_b32_e32 v11, v11
	;; [unrolled: 8-line block ×4, first 2 shown]
	v_ashrrev_i32_e32 v11, 31, v11
	v_and_b32_e32 v2, v2, v25
	v_xor_b32_e32 v25, vcc_hi, v11
	v_xor_b32_e32 v11, vcc_lo, v11
	v_and_b32_e32 v4, v4, v11
	v_lshlrev_b32_e32 v11, 24, v1
	v_lshlrev_b32_sdwa v3, v21, v1 dst_sel:DWORD dst_unused:UNUSED_PAD src0_sel:DWORD src1_sel:BYTE_0
	v_cmp_gt_i64_e32 vcc, 0, v[10:11]
	v_not_b32_e32 v1, v11
	v_ashrrev_i32_e32 v1, 31, v1
	v_xor_b32_e32 v11, vcc_hi, v1
	v_xor_b32_e32 v1, vcc_lo, v1
	v_and_b32_e32 v2, v2, v25
	v_and_b32_e32 v1, v4, v1
	;; [unrolled: 1-line block ×3, first 2 shown]
	v_mbcnt_lo_u32_b32 v4, v1, 0
	v_mbcnt_hi_u32_b32 v25, v2, v4
	v_cmp_ne_u64_e32 vcc, 0, v[1:2]
	v_cmp_eq_u32_e64 s[28:29], 0, v25
	s_and_b64 s[38:39], vcc, s[28:29]
	v_add_u32_e32 v26, v18, v3
	ds_write2_b64 v14, v[6:7], v[8:9] offset0:4 offset1:5
	s_waitcnt lgkmcnt(0)
	s_barrier
	; wave barrier
	s_and_saveexec_b64 s[28:29], s[38:39]
; %bb.5:                                ;   in Loop: Header=BB234_4 Depth=2
	v_bcnt_u32_b32 v1, v1, 0
	v_bcnt_u32_b32 v1, v2, v1
	ds_write_b32 v26, v1 offset:32
; %bb.6:                                ;   in Loop: Header=BB234_4 Depth=2
	s_or_b64 exec, exec, s[28:29]
	v_lshrrev_b32_e32 v1, v23, v22
	v_lshlrev_b32_sdwa v2, v21, v1 dst_sel:DWORD dst_unused:UNUSED_PAD src0_sel:DWORD src1_sel:BYTE_0
	v_add_u32_e32 v28, v18, v2
	v_and_b32_e32 v2, 1, v1
	v_add_co_u32_e32 v3, vcc, -1, v2
	v_addc_co_u32_e64 v4, s[28:29], 0, -1, vcc
	v_cmp_ne_u32_e32 vcc, 0, v2
	v_lshlrev_b32_e32 v11, 30, v1
	v_xor_b32_e32 v2, vcc_hi, v4
	v_xor_b32_e32 v3, vcc_lo, v3
	v_cmp_gt_i64_e32 vcc, 0, v[10:11]
	v_not_b32_e32 v4, v11
	v_ashrrev_i32_e32 v4, 31, v4
	v_and_b32_e32 v2, exec_hi, v2
	v_xor_b32_e32 v11, vcc_hi, v4
	v_and_b32_e32 v3, exec_lo, v3
	v_xor_b32_e32 v4, vcc_lo, v4
	v_and_b32_e32 v2, v2, v11
	v_lshlrev_b32_e32 v11, 29, v1
	v_and_b32_e32 v3, v3, v4
	v_cmp_gt_i64_e32 vcc, 0, v[10:11]
	v_not_b32_e32 v4, v11
	v_ashrrev_i32_e32 v4, 31, v4
	v_xor_b32_e32 v11, vcc_hi, v4
	v_xor_b32_e32 v4, vcc_lo, v4
	v_and_b32_e32 v2, v2, v11
	v_lshlrev_b32_e32 v11, 28, v1
	v_and_b32_e32 v3, v3, v4
	v_cmp_gt_i64_e32 vcc, 0, v[10:11]
	v_not_b32_e32 v4, v11
	v_ashrrev_i32_e32 v4, 31, v4
	v_xor_b32_e32 v11, vcc_hi, v4
	;; [unrolled: 8-line block ×5, first 2 shown]
	v_and_b32_e32 v2, v2, v11
	v_lshlrev_b32_e32 v11, 24, v1
	v_xor_b32_e32 v4, vcc_lo, v4
	v_cmp_gt_i64_e32 vcc, 0, v[10:11]
	v_not_b32_e32 v1, v11
	v_ashrrev_i32_e32 v1, 31, v1
	v_and_b32_e32 v3, v3, v4
	v_xor_b32_e32 v4, vcc_hi, v1
	v_xor_b32_e32 v1, vcc_lo, v1
	; wave barrier
	ds_read_b32 v27, v28 offset:32
	v_and_b32_e32 v1, v3, v1
	v_and_b32_e32 v2, v2, v4
	v_mbcnt_lo_u32_b32 v3, v1, 0
	v_mbcnt_hi_u32_b32 v29, v2, v3
	v_cmp_ne_u64_e32 vcc, 0, v[1:2]
	v_cmp_eq_u32_e64 s[28:29], 0, v29
	s_and_b64 s[38:39], vcc, s[28:29]
	; wave barrier
	s_and_saveexec_b64 s[28:29], s[38:39]
	s_cbranch_execz .LBB234_8
; %bb.7:                                ;   in Loop: Header=BB234_4 Depth=2
	v_bcnt_u32_b32 v1, v1, 0
	v_bcnt_u32_b32 v1, v2, v1
	s_waitcnt lgkmcnt(0)
	v_add_u32_e32 v1, v27, v1
	ds_write_b32 v28, v1 offset:32
.LBB234_8:                              ;   in Loop: Header=BB234_4 Depth=2
	s_or_b64 exec, exec, s[28:29]
	v_lshrrev_b32_e32 v1, v23, v5
	v_lshlrev_b32_sdwa v2, v21, v1 dst_sel:DWORD dst_unused:UNUSED_PAD src0_sel:DWORD src1_sel:BYTE_0
	v_add_u32_e32 v31, v18, v2
	v_and_b32_e32 v2, 1, v1
	v_add_co_u32_e32 v3, vcc, -1, v2
	v_addc_co_u32_e64 v4, s[28:29], 0, -1, vcc
	v_cmp_ne_u32_e32 vcc, 0, v2
	v_lshlrev_b32_e32 v11, 30, v1
	v_xor_b32_e32 v2, vcc_hi, v4
	v_xor_b32_e32 v3, vcc_lo, v3
	v_cmp_gt_i64_e32 vcc, 0, v[10:11]
	v_not_b32_e32 v4, v11
	v_ashrrev_i32_e32 v4, 31, v4
	v_and_b32_e32 v2, exec_hi, v2
	v_xor_b32_e32 v11, vcc_hi, v4
	v_and_b32_e32 v3, exec_lo, v3
	v_xor_b32_e32 v4, vcc_lo, v4
	v_and_b32_e32 v2, v2, v11
	v_lshlrev_b32_e32 v11, 29, v1
	v_and_b32_e32 v3, v3, v4
	v_cmp_gt_i64_e32 vcc, 0, v[10:11]
	v_not_b32_e32 v4, v11
	v_ashrrev_i32_e32 v4, 31, v4
	v_xor_b32_e32 v11, vcc_hi, v4
	v_xor_b32_e32 v4, vcc_lo, v4
	v_and_b32_e32 v2, v2, v11
	v_lshlrev_b32_e32 v11, 28, v1
	v_and_b32_e32 v3, v3, v4
	v_cmp_gt_i64_e32 vcc, 0, v[10:11]
	v_not_b32_e32 v4, v11
	v_ashrrev_i32_e32 v4, 31, v4
	v_xor_b32_e32 v11, vcc_hi, v4
	v_xor_b32_e32 v4, vcc_lo, v4
	v_and_b32_e32 v2, v2, v11
	v_lshlrev_b32_e32 v11, 27, v1
	v_and_b32_e32 v3, v3, v4
	v_cmp_gt_i64_e32 vcc, 0, v[10:11]
	v_not_b32_e32 v4, v11
	v_ashrrev_i32_e32 v4, 31, v4
	v_xor_b32_e32 v11, vcc_hi, v4
	v_xor_b32_e32 v4, vcc_lo, v4
	v_and_b32_e32 v2, v2, v11
	v_lshlrev_b32_e32 v11, 26, v1
	v_and_b32_e32 v3, v3, v4
	v_cmp_gt_i64_e32 vcc, 0, v[10:11]
	v_not_b32_e32 v4, v11
	v_ashrrev_i32_e32 v4, 31, v4
	v_xor_b32_e32 v11, vcc_hi, v4
	v_xor_b32_e32 v4, vcc_lo, v4
	v_and_b32_e32 v2, v2, v11
	v_lshlrev_b32_e32 v11, 25, v1
	v_and_b32_e32 v3, v3, v4
	v_cmp_gt_i64_e32 vcc, 0, v[10:11]
	v_not_b32_e32 v4, v11
	v_ashrrev_i32_e32 v4, 31, v4
	v_xor_b32_e32 v11, vcc_hi, v4
	v_and_b32_e32 v2, v2, v11
	v_lshlrev_b32_e32 v11, 24, v1
	v_xor_b32_e32 v4, vcc_lo, v4
	v_cmp_gt_i64_e32 vcc, 0, v[10:11]
	v_not_b32_e32 v1, v11
	v_ashrrev_i32_e32 v1, 31, v1
	v_and_b32_e32 v3, v3, v4
	v_xor_b32_e32 v4, vcc_hi, v1
	v_xor_b32_e32 v1, vcc_lo, v1
	; wave barrier
	ds_read_b32 v30, v31 offset:32
	v_and_b32_e32 v1, v3, v1
	v_and_b32_e32 v2, v2, v4
	v_mbcnt_lo_u32_b32 v3, v1, 0
	v_mbcnt_hi_u32_b32 v11, v2, v3
	v_cmp_ne_u64_e32 vcc, 0, v[1:2]
	v_cmp_eq_u32_e64 s[28:29], 0, v11
	s_and_b64 s[38:39], vcc, s[28:29]
	; wave barrier
	s_and_saveexec_b64 s[28:29], s[38:39]
	s_cbranch_execz .LBB234_10
; %bb.9:                                ;   in Loop: Header=BB234_4 Depth=2
	v_bcnt_u32_b32 v1, v1, 0
	v_bcnt_u32_b32 v1, v2, v1
	s_waitcnt lgkmcnt(0)
	v_add_u32_e32 v1, v30, v1
	ds_write_b32 v31, v1 offset:32
.LBB234_10:                             ;   in Loop: Header=BB234_4 Depth=2
	s_or_b64 exec, exec, s[28:29]
	; wave barrier
	s_waitcnt lgkmcnt(0)
	s_barrier
	ds_read2_b64 v[1:4], v14 offset0:4 offset1:5
	s_waitcnt lgkmcnt(0)
	v_add_u32_e32 v32, v2, v1
	v_add3_u32 v4, v32, v3, v4
	s_nop 1
	v_mov_b32_dpp v32, v4 row_shr:1 row_mask:0xf bank_mask:0xf
	v_cndmask_b32_e64 v32, v32, 0, s[0:1]
	v_add_u32_e32 v4, v32, v4
	s_nop 1
	v_mov_b32_dpp v32, v4 row_shr:2 row_mask:0xf bank_mask:0xf
	v_cndmask_b32_e64 v32, 0, v32, s[2:3]
	v_add_u32_e32 v4, v4, v32
	;; [unrolled: 4-line block ×4, first 2 shown]
	s_nop 1
	v_mov_b32_dpp v32, v4 row_bcast:15 row_mask:0xf bank_mask:0xf
	v_cndmask_b32_e64 v32, v32, 0, s[8:9]
	v_add_u32_e32 v4, v4, v32
	s_nop 1
	v_mov_b32_dpp v32, v4 row_bcast:31 row_mask:0xf bank_mask:0xf
	v_cndmask_b32_e64 v32, 0, v32, s[10:11]
	v_add_u32_e32 v4, v4, v32
	s_and_saveexec_b64 s[28:29], s[12:13]
; %bb.11:                               ;   in Loop: Header=BB234_4 Depth=2
	ds_write_b32 v16, v4
; %bb.12:                               ;   in Loop: Header=BB234_4 Depth=2
	s_or_b64 exec, exec, s[28:29]
	s_waitcnt lgkmcnt(0)
	s_barrier
	s_and_saveexec_b64 s[28:29], s[14:15]
	s_cbranch_execz .LBB234_14
; %bb.13:                               ;   in Loop: Header=BB234_4 Depth=2
	ds_read_b32 v32, v20
	s_waitcnt lgkmcnt(0)
	s_nop 0
	v_mov_b32_dpp v33, v32 row_shr:1 row_mask:0xf bank_mask:0xf
	v_cndmask_b32_e64 v33, v33, 0, s[22:23]
	v_add_u32_e32 v32, v33, v32
	s_nop 1
	v_mov_b32_dpp v33, v32 row_shr:2 row_mask:0xf bank_mask:0xf
	v_cndmask_b32_e64 v33, 0, v33, s[24:25]
	v_add_u32_e32 v32, v32, v33
	;; [unrolled: 4-line block ×3, first 2 shown]
	ds_write_b32 v20, v32
.LBB234_14:                             ;   in Loop: Header=BB234_4 Depth=2
	s_or_b64 exec, exec, s[28:29]
	v_mov_b32_e32 v32, 0
	s_waitcnt lgkmcnt(0)
	s_barrier
	s_and_saveexec_b64 s[28:29], s[16:17]
; %bb.15:                               ;   in Loop: Header=BB234_4 Depth=2
	ds_read_b32 v32, v17
; %bb.16:                               ;   in Loop: Header=BB234_4 Depth=2
	s_or_b64 exec, exec, s[28:29]
	s_waitcnt lgkmcnt(0)
	v_add_u32_e32 v4, v32, v4
	ds_bpermute_b32 v4, v15, v4
	v_cmp_lt_u32_e32 vcc, 23, v23
	s_and_b64 vcc, exec, vcc
	s_mov_b64 s[28:29], -1
	s_waitcnt lgkmcnt(0)
	v_cndmask_b32_e64 v4, v4, v32, s[18:19]
	v_cndmask_b32_e64 v32, v4, 0, s[20:21]
	v_add_u32_e32 v33, v32, v1
	v_add_u32_e32 v1, v33, v2
	;; [unrolled: 1-line block ×3, first 2 shown]
	ds_write2_b64 v14, v[32:33], v[1:2] offset0:4 offset1:5
	s_waitcnt lgkmcnt(0)
	s_barrier
	ds_read_b32 v1, v26 offset:32
	ds_read_b32 v2, v28 offset:32
	;; [unrolled: 1-line block ×3, first 2 shown]
	s_waitcnt lgkmcnt(2)
	v_add_u32_e32 v25, v1, v25
	s_waitcnt lgkmcnt(1)
	v_add3_u32 v4, v29, v27, v2
	s_waitcnt lgkmcnt(0)
	v_add3_u32 v3, v11, v30, v3
                                        ; implicit-def: $vgpr11
                                        ; implicit-def: $vgpr2
	s_cbranch_vccnz .LBB234_3
; %bb.17:                               ;   in Loop: Header=BB234_4 Depth=2
	v_lshlrev_b32_e32 v1, 2, v25
	s_barrier
	ds_write_b32 v1, v24
	v_lshlrev_b32_e32 v1, 2, v4
	ds_write_b32 v1, v22
	v_lshlrev_b32_e32 v1, 2, v3
	ds_write_b32 v1, v5
	s_waitcnt lgkmcnt(0)
	s_barrier
	ds_read2st64_b32 v[1:2], v19 offset1:1
	ds_read_b32 v11, v19 offset:512
	v_add_u32_e32 v23, 8, v23
	s_mov_b64 s[28:29], 0
	s_waitcnt lgkmcnt(0)
	s_barrier
	s_branch .LBB234_3
.LBB234_18:
	s_add_u32 s0, s30, s36
	s_addc_u32 s1, s31, s37
	v_lshlrev_b32_e32 v0, 2, v0
	v_mov_b32_e32 v1, s1
	v_add_co_u32_e32 v2, vcc, s0, v0
	v_addc_co_u32_e32 v1, vcc, 0, v1, vcc
	global_store_dword v0, v3, s[0:1]
	global_store_dword v0, v4, s[0:1] offset:2048
	v_add_co_u32_e32 v0, vcc, 0x1000, v2
	v_addc_co_u32_e32 v1, vcc, 0, v1, vcc
	global_store_dword v[0:1], v5, off
	s_endpgm
	.section	.rodata,"a",@progbits
	.p2align	6, 0x0
	.amdhsa_kernel _Z16sort_keys_kernelI22helper_blocked_stripediLj512ELj3ELj10EEvPKT0_PS1_
		.amdhsa_group_segment_fixed_size 8224
		.amdhsa_private_segment_fixed_size 0
		.amdhsa_kernarg_size 272
		.amdhsa_user_sgpr_count 6
		.amdhsa_user_sgpr_private_segment_buffer 1
		.amdhsa_user_sgpr_dispatch_ptr 0
		.amdhsa_user_sgpr_queue_ptr 0
		.amdhsa_user_sgpr_kernarg_segment_ptr 1
		.amdhsa_user_sgpr_dispatch_id 0
		.amdhsa_user_sgpr_flat_scratch_init 0
		.amdhsa_user_sgpr_private_segment_size 0
		.amdhsa_uses_dynamic_stack 0
		.amdhsa_system_sgpr_private_segment_wavefront_offset 0
		.amdhsa_system_sgpr_workgroup_id_x 1
		.amdhsa_system_sgpr_workgroup_id_y 0
		.amdhsa_system_sgpr_workgroup_id_z 0
		.amdhsa_system_sgpr_workgroup_info 0
		.amdhsa_system_vgpr_workitem_id 2
		.amdhsa_next_free_vgpr 34
		.amdhsa_next_free_sgpr 40
		.amdhsa_reserve_vcc 1
		.amdhsa_reserve_flat_scratch 0
		.amdhsa_float_round_mode_32 0
		.amdhsa_float_round_mode_16_64 0
		.amdhsa_float_denorm_mode_32 3
		.amdhsa_float_denorm_mode_16_64 3
		.amdhsa_dx10_clamp 1
		.amdhsa_ieee_mode 1
		.amdhsa_fp16_overflow 0
		.amdhsa_exception_fp_ieee_invalid_op 0
		.amdhsa_exception_fp_denorm_src 0
		.amdhsa_exception_fp_ieee_div_zero 0
		.amdhsa_exception_fp_ieee_overflow 0
		.amdhsa_exception_fp_ieee_underflow 0
		.amdhsa_exception_fp_ieee_inexact 0
		.amdhsa_exception_int_div_zero 0
	.end_amdhsa_kernel
	.section	.text._Z16sort_keys_kernelI22helper_blocked_stripediLj512ELj3ELj10EEvPKT0_PS1_,"axG",@progbits,_Z16sort_keys_kernelI22helper_blocked_stripediLj512ELj3ELj10EEvPKT0_PS1_,comdat
.Lfunc_end234:
	.size	_Z16sort_keys_kernelI22helper_blocked_stripediLj512ELj3ELj10EEvPKT0_PS1_, .Lfunc_end234-_Z16sort_keys_kernelI22helper_blocked_stripediLj512ELj3ELj10EEvPKT0_PS1_
                                        ; -- End function
	.set _Z16sort_keys_kernelI22helper_blocked_stripediLj512ELj3ELj10EEvPKT0_PS1_.num_vgpr, 34
	.set _Z16sort_keys_kernelI22helper_blocked_stripediLj512ELj3ELj10EEvPKT0_PS1_.num_agpr, 0
	.set _Z16sort_keys_kernelI22helper_blocked_stripediLj512ELj3ELj10EEvPKT0_PS1_.numbered_sgpr, 40
	.set _Z16sort_keys_kernelI22helper_blocked_stripediLj512ELj3ELj10EEvPKT0_PS1_.num_named_barrier, 0
	.set _Z16sort_keys_kernelI22helper_blocked_stripediLj512ELj3ELj10EEvPKT0_PS1_.private_seg_size, 0
	.set _Z16sort_keys_kernelI22helper_blocked_stripediLj512ELj3ELj10EEvPKT0_PS1_.uses_vcc, 1
	.set _Z16sort_keys_kernelI22helper_blocked_stripediLj512ELj3ELj10EEvPKT0_PS1_.uses_flat_scratch, 0
	.set _Z16sort_keys_kernelI22helper_blocked_stripediLj512ELj3ELj10EEvPKT0_PS1_.has_dyn_sized_stack, 0
	.set _Z16sort_keys_kernelI22helper_blocked_stripediLj512ELj3ELj10EEvPKT0_PS1_.has_recursion, 0
	.set _Z16sort_keys_kernelI22helper_blocked_stripediLj512ELj3ELj10EEvPKT0_PS1_.has_indirect_call, 0
	.section	.AMDGPU.csdata,"",@progbits
; Kernel info:
; codeLenInByte = 2268
; TotalNumSgprs: 44
; NumVgprs: 34
; ScratchSize: 0
; MemoryBound: 0
; FloatMode: 240
; IeeeMode: 1
; LDSByteSize: 8224 bytes/workgroup (compile time only)
; SGPRBlocks: 5
; VGPRBlocks: 8
; NumSGPRsForWavesPerEU: 44
; NumVGPRsForWavesPerEU: 34
; Occupancy: 7
; WaveLimiterHint : 1
; COMPUTE_PGM_RSRC2:SCRATCH_EN: 0
; COMPUTE_PGM_RSRC2:USER_SGPR: 6
; COMPUTE_PGM_RSRC2:TRAP_HANDLER: 0
; COMPUTE_PGM_RSRC2:TGID_X_EN: 1
; COMPUTE_PGM_RSRC2:TGID_Y_EN: 0
; COMPUTE_PGM_RSRC2:TGID_Z_EN: 0
; COMPUTE_PGM_RSRC2:TIDIG_COMP_CNT: 2
	.section	.text._Z17sort_pairs_kernelI22helper_blocked_stripediLj512ELj3ELj10EEvPKT0_PS1_,"axG",@progbits,_Z17sort_pairs_kernelI22helper_blocked_stripediLj512ELj3ELj10EEvPKT0_PS1_,comdat
	.protected	_Z17sort_pairs_kernelI22helper_blocked_stripediLj512ELj3ELj10EEvPKT0_PS1_ ; -- Begin function _Z17sort_pairs_kernelI22helper_blocked_stripediLj512ELj3ELj10EEvPKT0_PS1_
	.globl	_Z17sort_pairs_kernelI22helper_blocked_stripediLj512ELj3ELj10EEvPKT0_PS1_
	.p2align	8
	.type	_Z17sort_pairs_kernelI22helper_blocked_stripediLj512ELj3ELj10EEvPKT0_PS1_,@function
_Z17sort_pairs_kernelI22helper_blocked_stripediLj512ELj3ELj10EEvPKT0_PS1_: ; @_Z17sort_pairs_kernelI22helper_blocked_stripediLj512ELj3ELj10EEvPKT0_PS1_
; %bb.0:
	s_load_dwordx4 s[28:31], s[4:5], 0x0
	s_load_dword s33, s[4:5], 0x1c
	s_mul_i32 s36, s6, 0x600
	s_mov_b32 s37, 0
	s_lshl_b64 s[34:35], s[36:37], 2
	s_waitcnt lgkmcnt(0)
	s_add_u32 s0, s28, s34
	v_mul_u32_u24_e32 v3, 3, v0
	s_addc_u32 s1, s29, s35
	v_lshlrev_b32_e32 v3, 2, v3
	global_load_dwordx3 v[3:5], v3, s[0:1]
	s_lshr_b32 s28, s33, 16
	s_and_b32 s29, s33, 0xffff
	v_mad_u32_u24 v1, v2, s28, v1
	v_mbcnt_lo_u32_b32 v6, -1, 0
	v_mad_u64_u32 v[1:2], s[28:29], v1, s29, v[0:1]
	v_mbcnt_hi_u32_b32 v10, -1, v6
	v_lshrrev_b32_e32 v6, 6, v0
	v_and_b32_e32 v7, 0x1c0, v0
	s_mov_b32 s10, s37
	v_subrev_co_u32_e64 v19, s[8:9], 1, v10
	v_and_b32_e32 v20, 64, v10
	v_lshlrev_b32_e32 v14, 4, v0
	v_mul_i32_i24_e32 v8, -12, v0
	s_mov_b32 s11, s37
	v_mul_u32_u24_e32 v9, 0xc0, v6
	v_and_b32_e32 v12, 15, v10
	v_or_b32_e32 v18, 63, v7
	v_lshlrev_b32_e32 v15, 2, v6
	v_mul_u32_u24_e32 v22, 12, v7
	s_mov_b32 s36, s37
	v_mov_b32_e32 v6, s10
	v_cmp_lt_i32_e32 vcc, v19, v20
	v_lshlrev_b32_e32 v11, 2, v10
	v_and_b32_e32 v17, 16, v10
	v_and_b32_e32 v21, 7, v10
	v_mov_b32_e32 v7, s11
	v_add_u32_e32 v16, v14, v8
	v_cmp_eq_u32_e64 s[10:11], 0, v12
	v_cmp_lt_u32_e64 s[12:13], 1, v12
	v_cmp_lt_u32_e64 s[14:15], 3, v12
	;; [unrolled: 1-line block ×3, first 2 shown]
	v_lshlrev_b32_e32 v12, 2, v9
	v_cndmask_b32_e32 v23, v19, v10, vcc
	v_mov_b32_e32 v8, s36
	v_lshrrev_b32_e32 v1, 4, v1
	v_mov_b32_e32 v13, 5
	v_cmp_gt_u32_e64 s[0:1], 8, v0
	v_cmp_lt_u32_e64 s[2:3], 63, v0
	v_cmp_eq_u32_e64 s[4:5], 0, v0
	v_cmp_lt_u32_e64 s[6:7], 31, v10
	v_cmp_eq_u32_e64 s[18:19], 0, v17
	v_cmp_eq_u32_e64 s[20:21], v0, v18
	;; [unrolled: 1-line block ×3, first 2 shown]
	v_cmp_lt_u32_e64 s[24:25], 1, v21
	v_cmp_lt_u32_e64 s[26:27], 3, v21
	v_add_u32_e32 v17, -4, v15
	v_add_u32_e32 v18, v11, v22
	v_mov_b32_e32 v9, s37
	v_mad_u32_u24 v19, v10, 12, v12
	v_add_u32_e32 v20, v11, v12
	v_lshlrev_b32_e32 v21, 2, v23
	v_and_b32_e32 v22, 0xffffffc, v1
	v_mov_b32_e32 v10, 0
	s_waitcnt vmcnt(0)
	v_add_u32_e32 v11, 1, v3
	v_add_u32_e32 v12, 1, v4
	;; [unrolled: 1-line block ×3, first 2 shown]
	s_branch .LBB235_2
.LBB235_1:                              ;   in Loop: Header=BB235_2 Depth=1
	v_lshlrev_b32_e32 v3, 2, v31
	v_lshlrev_b32_e32 v4, 2, v12
	;; [unrolled: 1-line block ×3, first 2 shown]
	s_barrier
	ds_write_b32 v3, v23
	ds_write_b32 v4, v28
	;; [unrolled: 1-line block ×3, first 2 shown]
	s_waitcnt lgkmcnt(0)
	s_barrier
	ds_read2st64_b32 v[1:2], v16 offset1:8
	ds_read_b32 v27, v16 offset:4096
	s_waitcnt lgkmcnt(0)
	s_barrier
	ds_write_b32 v3, v26
	ds_write_b32 v4, v25
	;; [unrolled: 1-line block ×3, first 2 shown]
	s_waitcnt lgkmcnt(0)
	s_barrier
	ds_read2st64_b32 v[11:12], v16 offset1:8
	ds_read_b32 v23, v16 offset:4096
	s_add_i32 s37, s37, 1
	v_xor_b32_e32 v3, 0x80000000, v1
	v_xor_b32_e32 v4, 0x80000000, v2
	s_cmp_eq_u32 s37, 10
	v_xor_b32_e32 v5, 0x80000000, v27
	s_cbranch_scc1 .LBB235_18
.LBB235_2:                              ; =>This Loop Header: Depth=1
                                        ;     Child Loop BB235_4 Depth 2
	v_xor_b32_e32 v1, 0x80000000, v3
	v_xor_b32_e32 v2, 0x80000000, v4
	v_xor_b32_e32 v3, 0x80000000, v5
	ds_write2_b32 v19, v1, v2 offset1:1
	ds_write_b32 v19, v3 offset:8
	; wave barrier
	ds_read2st64_b32 v[1:2], v20 offset1:1
	ds_read_b32 v29, v20 offset:512
	; wave barrier
	s_waitcnt lgkmcnt(5)
	ds_write2_b32 v19, v11, v12 offset1:1
	s_waitcnt lgkmcnt(5)
	ds_write_b32 v19, v23 offset:8
	; wave barrier
	ds_read2st64_b32 v[3:4], v20 offset1:1
	ds_read_b32 v30, v20 offset:512
	v_mov_b32_e32 v5, v10
	s_waitcnt lgkmcnt(0)
	s_barrier
	s_branch .LBB235_4
.LBB235_3:                              ;   in Loop: Header=BB235_4 Depth=2
	s_andn2_b64 vcc, exec, s[28:29]
	s_cbranch_vccz .LBB235_1
.LBB235_4:                              ;   Parent Loop BB235_2 Depth=1
                                        ; =>  This Inner Loop Header: Depth=2
	v_mov_b32_e32 v23, v1
	v_lshrrev_b32_e32 v1, v5, v23
	v_and_b32_e32 v11, 1, v1
	v_add_co_u32_e64 v12, s[28:29], -1, v11
	v_cmp_ne_u32_e32 vcc, 0, v11
	v_addc_co_u32_e64 v11, s[28:29], 0, -1, s[28:29]
	v_xor_b32_e32 v11, vcc_hi, v11
	v_and_b32_e32 v24, exec_hi, v11
	v_lshlrev_b32_e32 v11, 30, v1
	v_cmp_gt_i64_e64 s[28:29], 0, v[10:11]
	v_not_b32_e32 v11, v11
	v_ashrrev_i32_e32 v11, 31, v11
	v_xor_b32_e32 v12, vcc_lo, v12
	v_xor_b32_e32 v25, s29, v11
	v_and_b32_e32 v12, exec_lo, v12
	v_xor_b32_e32 v11, s28, v11
	v_and_b32_e32 v12, v12, v11
	v_lshlrev_b32_e32 v11, 29, v1
	v_cmp_gt_i64_e32 vcc, 0, v[10:11]
	v_not_b32_e32 v11, v11
	v_ashrrev_i32_e32 v11, 31, v11
	v_and_b32_e32 v24, v24, v25
	v_xor_b32_e32 v25, vcc_hi, v11
	v_xor_b32_e32 v11, vcc_lo, v11
	v_and_b32_e32 v12, v12, v11
	v_lshlrev_b32_e32 v11, 28, v1
	v_cmp_gt_i64_e32 vcc, 0, v[10:11]
	v_not_b32_e32 v11, v11
	v_ashrrev_i32_e32 v11, 31, v11
	v_and_b32_e32 v24, v24, v25
	v_xor_b32_e32 v25, vcc_hi, v11
	v_xor_b32_e32 v11, vcc_lo, v11
	;; [unrolled: 8-line block ×5, first 2 shown]
	v_and_b32_e32 v24, v24, v25
	v_and_b32_e32 v25, v12, v11
	v_lshlrev_b32_e32 v11, 24, v1
	v_cmp_gt_i64_e32 vcc, 0, v[10:11]
	v_not_b32_e32 v11, v11
	v_ashrrev_i32_e32 v11, 31, v11
	v_xor_b32_e32 v12, vcc_hi, v11
	v_xor_b32_e32 v11, vcc_lo, v11
	v_and_b32_e32 v11, v25, v11
	v_and_b32_e32 v12, v24, v12
	v_mov_b32_e32 v28, v2
	v_mbcnt_lo_u32_b32 v2, v11, 0
	v_mov_b32_e32 v27, v29
	v_mbcnt_hi_u32_b32 v29, v12, v2
	v_cmp_ne_u64_e32 vcc, 0, v[11:12]
	v_lshlrev_b32_sdwa v1, v13, v1 dst_sel:DWORD dst_unused:UNUSED_PAD src0_sel:DWORD src1_sel:BYTE_0
	v_cmp_eq_u32_e64 s[28:29], 0, v29
	v_mov_b32_e32 v24, v30
	v_mov_b32_e32 v25, v4
	;; [unrolled: 1-line block ×3, first 2 shown]
	s_and_b64 s[38:39], vcc, s[28:29]
	v_add_u32_e32 v30, v22, v1
	ds_write2_b64 v14, v[8:9], v[6:7] offset0:4 offset1:5
	s_waitcnt lgkmcnt(0)
	s_barrier
	; wave barrier
	s_and_saveexec_b64 s[28:29], s[38:39]
; %bb.5:                                ;   in Loop: Header=BB235_4 Depth=2
	v_bcnt_u32_b32 v1, v11, 0
	v_bcnt_u32_b32 v1, v12, v1
	ds_write_b32 v30, v1 offset:32
; %bb.6:                                ;   in Loop: Header=BB235_4 Depth=2
	s_or_b64 exec, exec, s[28:29]
	v_lshrrev_b32_e32 v1, v5, v28
	v_lshlrev_b32_sdwa v2, v13, v1 dst_sel:DWORD dst_unused:UNUSED_PAD src0_sel:DWORD src1_sel:BYTE_0
	v_add_u32_e32 v31, v22, v2
	v_and_b32_e32 v2, 1, v1
	v_add_co_u32_e32 v3, vcc, -1, v2
	v_addc_co_u32_e64 v4, s[28:29], 0, -1, vcc
	v_cmp_ne_u32_e32 vcc, 0, v2
	v_lshlrev_b32_e32 v11, 30, v1
	v_xor_b32_e32 v2, vcc_hi, v4
	v_xor_b32_e32 v3, vcc_lo, v3
	v_cmp_gt_i64_e32 vcc, 0, v[10:11]
	v_not_b32_e32 v4, v11
	v_ashrrev_i32_e32 v4, 31, v4
	v_and_b32_e32 v2, exec_hi, v2
	v_xor_b32_e32 v11, vcc_hi, v4
	v_and_b32_e32 v3, exec_lo, v3
	v_xor_b32_e32 v4, vcc_lo, v4
	v_and_b32_e32 v2, v2, v11
	v_lshlrev_b32_e32 v11, 29, v1
	v_and_b32_e32 v3, v3, v4
	v_cmp_gt_i64_e32 vcc, 0, v[10:11]
	v_not_b32_e32 v4, v11
	v_ashrrev_i32_e32 v4, 31, v4
	v_xor_b32_e32 v11, vcc_hi, v4
	v_xor_b32_e32 v4, vcc_lo, v4
	v_and_b32_e32 v2, v2, v11
	v_lshlrev_b32_e32 v11, 28, v1
	v_and_b32_e32 v3, v3, v4
	v_cmp_gt_i64_e32 vcc, 0, v[10:11]
	v_not_b32_e32 v4, v11
	v_ashrrev_i32_e32 v4, 31, v4
	v_xor_b32_e32 v11, vcc_hi, v4
	;; [unrolled: 8-line block ×5, first 2 shown]
	v_and_b32_e32 v2, v2, v11
	v_lshlrev_b32_e32 v11, 24, v1
	v_xor_b32_e32 v4, vcc_lo, v4
	v_cmp_gt_i64_e32 vcc, 0, v[10:11]
	v_not_b32_e32 v1, v11
	v_ashrrev_i32_e32 v1, 31, v1
	v_and_b32_e32 v3, v3, v4
	v_xor_b32_e32 v4, vcc_hi, v1
	v_xor_b32_e32 v1, vcc_lo, v1
	; wave barrier
	ds_read_b32 v12, v31 offset:32
	v_and_b32_e32 v1, v3, v1
	v_and_b32_e32 v2, v2, v4
	v_mbcnt_lo_u32_b32 v3, v1, 0
	v_mbcnt_hi_u32_b32 v32, v2, v3
	v_cmp_ne_u64_e32 vcc, 0, v[1:2]
	v_cmp_eq_u32_e64 s[28:29], 0, v32
	s_and_b64 s[38:39], vcc, s[28:29]
	; wave barrier
	s_and_saveexec_b64 s[28:29], s[38:39]
	s_cbranch_execz .LBB235_8
; %bb.7:                                ;   in Loop: Header=BB235_4 Depth=2
	v_bcnt_u32_b32 v1, v1, 0
	v_bcnt_u32_b32 v1, v2, v1
	s_waitcnt lgkmcnt(0)
	v_add_u32_e32 v1, v12, v1
	ds_write_b32 v31, v1 offset:32
.LBB235_8:                              ;   in Loop: Header=BB235_4 Depth=2
	s_or_b64 exec, exec, s[28:29]
	v_lshrrev_b32_e32 v1, v5, v27
	v_lshlrev_b32_sdwa v2, v13, v1 dst_sel:DWORD dst_unused:UNUSED_PAD src0_sel:DWORD src1_sel:BYTE_0
	v_add_u32_e32 v34, v22, v2
	v_and_b32_e32 v2, 1, v1
	v_add_co_u32_e32 v3, vcc, -1, v2
	v_addc_co_u32_e64 v4, s[28:29], 0, -1, vcc
	v_cmp_ne_u32_e32 vcc, 0, v2
	v_lshlrev_b32_e32 v11, 30, v1
	v_xor_b32_e32 v2, vcc_hi, v4
	v_xor_b32_e32 v3, vcc_lo, v3
	v_cmp_gt_i64_e32 vcc, 0, v[10:11]
	v_not_b32_e32 v4, v11
	v_ashrrev_i32_e32 v4, 31, v4
	v_and_b32_e32 v2, exec_hi, v2
	v_xor_b32_e32 v11, vcc_hi, v4
	v_and_b32_e32 v3, exec_lo, v3
	v_xor_b32_e32 v4, vcc_lo, v4
	v_and_b32_e32 v2, v2, v11
	v_lshlrev_b32_e32 v11, 29, v1
	v_and_b32_e32 v3, v3, v4
	v_cmp_gt_i64_e32 vcc, 0, v[10:11]
	v_not_b32_e32 v4, v11
	v_ashrrev_i32_e32 v4, 31, v4
	v_xor_b32_e32 v11, vcc_hi, v4
	v_xor_b32_e32 v4, vcc_lo, v4
	v_and_b32_e32 v2, v2, v11
	v_lshlrev_b32_e32 v11, 28, v1
	v_and_b32_e32 v3, v3, v4
	v_cmp_gt_i64_e32 vcc, 0, v[10:11]
	v_not_b32_e32 v4, v11
	v_ashrrev_i32_e32 v4, 31, v4
	v_xor_b32_e32 v11, vcc_hi, v4
	;; [unrolled: 8-line block ×5, first 2 shown]
	v_and_b32_e32 v2, v2, v11
	v_lshlrev_b32_e32 v11, 24, v1
	v_xor_b32_e32 v4, vcc_lo, v4
	v_cmp_gt_i64_e32 vcc, 0, v[10:11]
	v_not_b32_e32 v1, v11
	v_ashrrev_i32_e32 v1, 31, v1
	v_and_b32_e32 v3, v3, v4
	v_xor_b32_e32 v4, vcc_hi, v1
	v_xor_b32_e32 v1, vcc_lo, v1
	; wave barrier
	ds_read_b32 v33, v34 offset:32
	v_and_b32_e32 v1, v3, v1
	v_and_b32_e32 v2, v2, v4
	v_mbcnt_lo_u32_b32 v3, v1, 0
	v_mbcnt_hi_u32_b32 v11, v2, v3
	v_cmp_ne_u64_e32 vcc, 0, v[1:2]
	v_cmp_eq_u32_e64 s[28:29], 0, v11
	s_and_b64 s[38:39], vcc, s[28:29]
	; wave barrier
	s_and_saveexec_b64 s[28:29], s[38:39]
	s_cbranch_execz .LBB235_10
; %bb.9:                                ;   in Loop: Header=BB235_4 Depth=2
	v_bcnt_u32_b32 v1, v1, 0
	v_bcnt_u32_b32 v1, v2, v1
	s_waitcnt lgkmcnt(0)
	v_add_u32_e32 v1, v33, v1
	ds_write_b32 v34, v1 offset:32
.LBB235_10:                             ;   in Loop: Header=BB235_4 Depth=2
	s_or_b64 exec, exec, s[28:29]
	; wave barrier
	s_waitcnt lgkmcnt(0)
	s_barrier
	ds_read2_b64 v[1:4], v14 offset0:4 offset1:5
	s_waitcnt lgkmcnt(0)
	v_add_u32_e32 v35, v2, v1
	v_add3_u32 v4, v35, v3, v4
	s_nop 1
	v_mov_b32_dpp v35, v4 row_shr:1 row_mask:0xf bank_mask:0xf
	v_cndmask_b32_e64 v35, v35, 0, s[10:11]
	v_add_u32_e32 v4, v35, v4
	s_nop 1
	v_mov_b32_dpp v35, v4 row_shr:2 row_mask:0xf bank_mask:0xf
	v_cndmask_b32_e64 v35, 0, v35, s[12:13]
	v_add_u32_e32 v4, v4, v35
	;; [unrolled: 4-line block ×4, first 2 shown]
	s_nop 1
	v_mov_b32_dpp v35, v4 row_bcast:15 row_mask:0xf bank_mask:0xf
	v_cndmask_b32_e64 v35, v35, 0, s[18:19]
	v_add_u32_e32 v4, v4, v35
	s_nop 1
	v_mov_b32_dpp v35, v4 row_bcast:31 row_mask:0xf bank_mask:0xf
	v_cndmask_b32_e64 v35, 0, v35, s[6:7]
	v_add_u32_e32 v4, v4, v35
	s_and_saveexec_b64 s[28:29], s[20:21]
; %bb.11:                               ;   in Loop: Header=BB235_4 Depth=2
	ds_write_b32 v15, v4
; %bb.12:                               ;   in Loop: Header=BB235_4 Depth=2
	s_or_b64 exec, exec, s[28:29]
	s_waitcnt lgkmcnt(0)
	s_barrier
	s_and_saveexec_b64 s[28:29], s[0:1]
	s_cbranch_execz .LBB235_14
; %bb.13:                               ;   in Loop: Header=BB235_4 Depth=2
	ds_read_b32 v35, v16
	s_waitcnt lgkmcnt(0)
	s_nop 0
	v_mov_b32_dpp v36, v35 row_shr:1 row_mask:0xf bank_mask:0xf
	v_cndmask_b32_e64 v36, v36, 0, s[22:23]
	v_add_u32_e32 v35, v36, v35
	s_nop 1
	v_mov_b32_dpp v36, v35 row_shr:2 row_mask:0xf bank_mask:0xf
	v_cndmask_b32_e64 v36, 0, v36, s[24:25]
	v_add_u32_e32 v35, v35, v36
	;; [unrolled: 4-line block ×3, first 2 shown]
	ds_write_b32 v16, v35
.LBB235_14:                             ;   in Loop: Header=BB235_4 Depth=2
	s_or_b64 exec, exec, s[28:29]
	v_mov_b32_e32 v35, 0
	s_waitcnt lgkmcnt(0)
	s_barrier
	s_and_saveexec_b64 s[28:29], s[2:3]
; %bb.15:                               ;   in Loop: Header=BB235_4 Depth=2
	ds_read_b32 v35, v17
; %bb.16:                               ;   in Loop: Header=BB235_4 Depth=2
	s_or_b64 exec, exec, s[28:29]
	s_waitcnt lgkmcnt(0)
	v_add_u32_e32 v4, v35, v4
	ds_bpermute_b32 v4, v21, v4
	v_cmp_lt_u32_e32 vcc, 23, v5
	s_and_b64 vcc, exec, vcc
	s_mov_b64 s[28:29], -1
	s_waitcnt lgkmcnt(0)
	v_cndmask_b32_e64 v4, v4, v35, s[8:9]
	v_cndmask_b32_e64 v35, v4, 0, s[4:5]
	v_add_u32_e32 v36, v35, v1
	v_add_u32_e32 v1, v36, v2
	v_add_u32_e32 v2, v1, v3
	ds_write2_b64 v14, v[35:36], v[1:2] offset0:4 offset1:5
	s_waitcnt lgkmcnt(0)
	s_barrier
	ds_read_b32 v1, v30 offset:32
	ds_read_b32 v2, v31 offset:32
	;; [unrolled: 1-line block ×3, first 2 shown]
                                        ; implicit-def: $vgpr30
	s_waitcnt lgkmcnt(2)
	v_add_u32_e32 v31, v1, v29
	s_waitcnt lgkmcnt(1)
	v_add3_u32 v12, v32, v12, v2
	s_waitcnt lgkmcnt(0)
	v_add3_u32 v11, v11, v33, v3
                                        ; implicit-def: $vgpr29
                                        ; implicit-def: $vgpr2
                                        ; implicit-def: $vgpr4
	s_cbranch_vccnz .LBB235_3
; %bb.17:                               ;   in Loop: Header=BB235_4 Depth=2
	v_lshlrev_b32_e32 v3, 2, v31
	v_lshlrev_b32_e32 v4, 2, v12
	;; [unrolled: 1-line block ×3, first 2 shown]
	s_barrier
	ds_write_b32 v3, v23
	ds_write_b32 v4, v28
	;; [unrolled: 1-line block ×3, first 2 shown]
	s_waitcnt lgkmcnt(0)
	s_barrier
	ds_read2st64_b32 v[1:2], v18 offset1:1
	ds_read_b32 v29, v18 offset:512
	s_waitcnt lgkmcnt(0)
	s_barrier
	ds_write_b32 v3, v26
	ds_write_b32 v4, v25
	;; [unrolled: 1-line block ×3, first 2 shown]
	s_waitcnt lgkmcnt(0)
	s_barrier
	ds_read2st64_b32 v[3:4], v18 offset1:1
	ds_read_b32 v30, v18 offset:512
	v_add_u32_e32 v5, 8, v5
	s_mov_b64 s[28:29], 0
	s_waitcnt lgkmcnt(0)
	s_barrier
	s_branch .LBB235_3
.LBB235_18:
	s_add_u32 s0, s30, s34
	s_addc_u32 s1, s31, s35
	v_lshlrev_b32_e32 v0, 2, v0
	s_waitcnt lgkmcnt(1)
	v_add_u32_e32 v1, v3, v11
	v_add_u32_e32 v2, v4, v12
	s_waitcnt lgkmcnt(0)
	v_add_u32_e32 v3, v5, v23
	v_mov_b32_e32 v4, s1
	v_add_co_u32_e32 v5, vcc, s0, v0
	v_addc_co_u32_e32 v4, vcc, 0, v4, vcc
	global_store_dword v0, v1, s[0:1]
	global_store_dword v0, v2, s[0:1] offset:2048
	v_add_co_u32_e32 v0, vcc, 0x1000, v5
	v_addc_co_u32_e32 v1, vcc, 0, v4, vcc
	global_store_dword v[0:1], v3, off
	s_endpgm
	.section	.rodata,"a",@progbits
	.p2align	6, 0x0
	.amdhsa_kernel _Z17sort_pairs_kernelI22helper_blocked_stripediLj512ELj3ELj10EEvPKT0_PS1_
		.amdhsa_group_segment_fixed_size 8224
		.amdhsa_private_segment_fixed_size 0
		.amdhsa_kernarg_size 272
		.amdhsa_user_sgpr_count 6
		.amdhsa_user_sgpr_private_segment_buffer 1
		.amdhsa_user_sgpr_dispatch_ptr 0
		.amdhsa_user_sgpr_queue_ptr 0
		.amdhsa_user_sgpr_kernarg_segment_ptr 1
		.amdhsa_user_sgpr_dispatch_id 0
		.amdhsa_user_sgpr_flat_scratch_init 0
		.amdhsa_user_sgpr_private_segment_size 0
		.amdhsa_uses_dynamic_stack 0
		.amdhsa_system_sgpr_private_segment_wavefront_offset 0
		.amdhsa_system_sgpr_workgroup_id_x 1
		.amdhsa_system_sgpr_workgroup_id_y 0
		.amdhsa_system_sgpr_workgroup_id_z 0
		.amdhsa_system_sgpr_workgroup_info 0
		.amdhsa_system_vgpr_workitem_id 2
		.amdhsa_next_free_vgpr 37
		.amdhsa_next_free_sgpr 40
		.amdhsa_reserve_vcc 1
		.amdhsa_reserve_flat_scratch 0
		.amdhsa_float_round_mode_32 0
		.amdhsa_float_round_mode_16_64 0
		.amdhsa_float_denorm_mode_32 3
		.amdhsa_float_denorm_mode_16_64 3
		.amdhsa_dx10_clamp 1
		.amdhsa_ieee_mode 1
		.amdhsa_fp16_overflow 0
		.amdhsa_exception_fp_ieee_invalid_op 0
		.amdhsa_exception_fp_denorm_src 0
		.amdhsa_exception_fp_ieee_div_zero 0
		.amdhsa_exception_fp_ieee_overflow 0
		.amdhsa_exception_fp_ieee_underflow 0
		.amdhsa_exception_fp_ieee_inexact 0
		.amdhsa_exception_int_div_zero 0
	.end_amdhsa_kernel
	.section	.text._Z17sort_pairs_kernelI22helper_blocked_stripediLj512ELj3ELj10EEvPKT0_PS1_,"axG",@progbits,_Z17sort_pairs_kernelI22helper_blocked_stripediLj512ELj3ELj10EEvPKT0_PS1_,comdat
.Lfunc_end235:
	.size	_Z17sort_pairs_kernelI22helper_blocked_stripediLj512ELj3ELj10EEvPKT0_PS1_, .Lfunc_end235-_Z17sort_pairs_kernelI22helper_blocked_stripediLj512ELj3ELj10EEvPKT0_PS1_
                                        ; -- End function
	.set _Z17sort_pairs_kernelI22helper_blocked_stripediLj512ELj3ELj10EEvPKT0_PS1_.num_vgpr, 37
	.set _Z17sort_pairs_kernelI22helper_blocked_stripediLj512ELj3ELj10EEvPKT0_PS1_.num_agpr, 0
	.set _Z17sort_pairs_kernelI22helper_blocked_stripediLj512ELj3ELj10EEvPKT0_PS1_.numbered_sgpr, 40
	.set _Z17sort_pairs_kernelI22helper_blocked_stripediLj512ELj3ELj10EEvPKT0_PS1_.num_named_barrier, 0
	.set _Z17sort_pairs_kernelI22helper_blocked_stripediLj512ELj3ELj10EEvPKT0_PS1_.private_seg_size, 0
	.set _Z17sort_pairs_kernelI22helper_blocked_stripediLj512ELj3ELj10EEvPKT0_PS1_.uses_vcc, 1
	.set _Z17sort_pairs_kernelI22helper_blocked_stripediLj512ELj3ELj10EEvPKT0_PS1_.uses_flat_scratch, 0
	.set _Z17sort_pairs_kernelI22helper_blocked_stripediLj512ELj3ELj10EEvPKT0_PS1_.has_dyn_sized_stack, 0
	.set _Z17sort_pairs_kernelI22helper_blocked_stripediLj512ELj3ELj10EEvPKT0_PS1_.has_recursion, 0
	.set _Z17sort_pairs_kernelI22helper_blocked_stripediLj512ELj3ELj10EEvPKT0_PS1_.has_indirect_call, 0
	.section	.AMDGPU.csdata,"",@progbits
; Kernel info:
; codeLenInByte = 2460
; TotalNumSgprs: 44
; NumVgprs: 37
; ScratchSize: 0
; MemoryBound: 0
; FloatMode: 240
; IeeeMode: 1
; LDSByteSize: 8224 bytes/workgroup (compile time only)
; SGPRBlocks: 5
; VGPRBlocks: 9
; NumSGPRsForWavesPerEU: 44
; NumVGPRsForWavesPerEU: 37
; Occupancy: 6
; WaveLimiterHint : 1
; COMPUTE_PGM_RSRC2:SCRATCH_EN: 0
; COMPUTE_PGM_RSRC2:USER_SGPR: 6
; COMPUTE_PGM_RSRC2:TRAP_HANDLER: 0
; COMPUTE_PGM_RSRC2:TGID_X_EN: 1
; COMPUTE_PGM_RSRC2:TGID_Y_EN: 0
; COMPUTE_PGM_RSRC2:TGID_Z_EN: 0
; COMPUTE_PGM_RSRC2:TIDIG_COMP_CNT: 2
	.section	.text._Z16sort_keys_kernelI22helper_blocked_stripediLj512ELj4ELj10EEvPKT0_PS1_,"axG",@progbits,_Z16sort_keys_kernelI22helper_blocked_stripediLj512ELj4ELj10EEvPKT0_PS1_,comdat
	.protected	_Z16sort_keys_kernelI22helper_blocked_stripediLj512ELj4ELj10EEvPKT0_PS1_ ; -- Begin function _Z16sort_keys_kernelI22helper_blocked_stripediLj512ELj4ELj10EEvPKT0_PS1_
	.globl	_Z16sort_keys_kernelI22helper_blocked_stripediLj512ELj4ELj10EEvPKT0_PS1_
	.p2align	8
	.type	_Z16sort_keys_kernelI22helper_blocked_stripediLj512ELj4ELj10EEvPKT0_PS1_,@function
_Z16sort_keys_kernelI22helper_blocked_stripediLj512ELj4ELj10EEvPKT0_PS1_: ; @_Z16sort_keys_kernelI22helper_blocked_stripediLj512ELj4ELj10EEvPKT0_PS1_
; %bb.0:
	s_load_dwordx4 s[40:43], s[4:5], 0x0
	s_load_dword s8, s[4:5], 0x1c
	s_lshl_b32 s44, s6, 11
	s_mov_b32 s45, 0
	s_lshl_b64 s[46:47], s[44:45], 2
	s_waitcnt lgkmcnt(0)
	s_add_u32 s0, s40, s46
	s_addc_u32 s1, s41, s47
	v_lshlrev_b32_e32 v13, 4, v0
	global_load_dwordx4 v[3:6], v13, s[0:1]
	s_lshr_b32 s9, s8, 16
	v_mbcnt_lo_u32_b32 v7, -1, 0
	s_and_b32 s8, s8, 0xffff
	v_mad_u32_u24 v1, v2, s9, v1
	v_mbcnt_hi_u32_b32 v7, -1, v7
	v_mad_u64_u32 v[1:2], s[8:9], v1, s8, v[0:1]
	v_and_b32_e32 v2, 15, v7
	v_cmp_eq_u32_e64 s[8:9], 0, v2
	v_cmp_lt_u32_e64 s[10:11], 1, v2
	v_cmp_lt_u32_e64 s[12:13], 3, v2
	;; [unrolled: 1-line block ×3, first 2 shown]
	v_and_b32_e32 v2, 16, v7
	v_and_b32_e32 v9, 3, v7
	v_cmp_eq_u32_e64 s[16:17], 0, v2
	v_or_b32_e32 v2, 63, v0
	v_cmp_eq_u32_e64 s[0:1], 3, v9
	v_cmp_eq_u32_e64 s[2:3], 2, v9
	v_cmp_eq_u32_e64 s[4:5], 1, v9
	v_cmp_eq_u32_e64 s[6:7], 0, v9
	v_and_b32_e32 v9, 64, v7
	v_cmp_eq_u32_e64 s[20:21], v0, v2
	v_subrev_co_u32_e64 v2, s[26:27], 1, v7
	v_cmp_lt_i32_e32 vcc, v2, v9
	v_cndmask_b32_e32 v2, v2, v7, vcc
	v_lshrrev_b32_e32 v8, 2, v7
	v_lshlrev_b32_e32 v18, 2, v2
	v_lshrrev_b32_e32 v2, 4, v0
	v_or_b32_e32 v10, v8, v9
	v_add_u32_e32 v8, 48, v8
	v_and_b32_e32 v19, 28, v2
	v_and_b32_e32 v2, 7, v7
	v_and_or_b32 v8, v8, 63, v9
	v_cmp_eq_u32_e64 s[30:31], 0, v2
	v_cmp_lt_u32_e64 s[34:35], 1, v2
	v_cmp_lt_u32_e64 s[36:37], 3, v2
	v_and_b32_e32 v2, 0x1c00, v13
	s_mov_b32 s44, s45
	s_mov_b32 s38, s45
	v_lshlrev_b32_e32 v14, 2, v10
	v_lshlrev_b32_e32 v17, 2, v8
	v_cmp_lt_u32_e64 s[18:19], 31, v7
	v_lshl_or_b32 v22, v7, 2, v2
	v_lshrrev_b32_e32 v1, 4, v1
	s_mov_b32 s39, s45
	v_mov_b32_e32 v7, s44
	v_mov_b32_e32 v9, s38
	v_add_u32_e32 v15, 64, v14
	v_or_b32_e32 v16, 0x80, v14
	v_cmp_gt_u32_e64 s[22:23], 8, v0
	v_cmp_lt_u32_e64 s[24:25], 63, v0
	v_cmp_eq_u32_e64 s[28:29], 0, v0
	v_mul_i32_i24_e32 v20, -12, v0
	v_add_u32_e32 v21, -4, v19
	v_and_b32_e32 v23, 0xffffffc, v1
	v_mov_b32_e32 v8, s45
	v_mov_b32_e32 v10, s39
	;; [unrolled: 1-line block ×4, first 2 shown]
	s_branch .LBB236_2
.LBB236_1:                              ;   in Loop: Header=BB236_2 Depth=1
	v_lshlrev_b32_e32 v1, 2, v31
	s_barrier
	ds_write_b32 v1, v27
	v_lshlrev_b32_e32 v1, 2, v29
	ds_write_b32 v1, v26
	v_lshlrev_b32_e32 v1, 2, v28
	;; [unrolled: 2-line block ×3, first 2 shown]
	v_add_u32_e32 v3, v13, v20
	ds_write_b32 v1, v5
	s_waitcnt lgkmcnt(0)
	s_barrier
	ds_read2st64_b32 v[1:2], v3 offset1:8
	ds_read2st64_b32 v[5:6], v3 offset0:16 offset1:24
	s_add_i32 s45, s45, 1
	s_cmp_eq_u32 s45, 10
	s_waitcnt lgkmcnt(1)
	v_xor_b32_e32 v3, 0x80000000, v1
	v_xor_b32_e32 v4, 0x80000000, v2
	s_waitcnt lgkmcnt(0)
	v_xor_b32_e32 v5, 0x80000000, v5
	v_xor_b32_e32 v6, 0x80000000, v6
	s_cbranch_scc1 .LBB236_20
.LBB236_2:                              ; =>This Loop Header: Depth=1
                                        ;     Child Loop BB236_4 Depth 2
	s_waitcnt vmcnt(0)
	v_xor_b32_e32 v3, 0x80000000, v3
	ds_bpermute_b32 v1, v14, v3
	v_xor_b32_e32 v4, 0x80000000, v4
	v_xor_b32_e32 v5, 0x80000000, v5
	ds_bpermute_b32 v2, v14, v4
	v_xor_b32_e32 v6, 0x80000000, v6
	ds_bpermute_b32 v12, v14, v5
	ds_bpermute_b32 v25, v14, v6
	ds_bpermute_b32 v26, v15, v3
	s_waitcnt lgkmcnt(4)
	v_cndmask_b32_e64 v1, 0, v1, s[6:7]
	ds_bpermute_b32 v27, v15, v4
	s_waitcnt lgkmcnt(4)
	v_cndmask_b32_e64 v1, v1, v2, s[4:5]
	s_waitcnt lgkmcnt(3)
	v_cndmask_b32_e64 v1, v1, v12, s[2:3]
	ds_bpermute_b32 v12, v15, v5
	s_waitcnt lgkmcnt(3)
	v_cndmask_b32_e64 v1, v1, v25, s[0:1]
	s_waitcnt lgkmcnt(2)
	v_cndmask_b32_e64 v2, 0, v26, s[6:7]
	ds_bpermute_b32 v25, v15, v6
	ds_bpermute_b32 v26, v16, v3
	s_waitcnt lgkmcnt(3)
	v_cndmask_b32_e64 v2, v2, v27, s[4:5]
	ds_bpermute_b32 v27, v16, v4
	ds_bpermute_b32 v28, v16, v5
	s_waitcnt lgkmcnt(4)
	v_cndmask_b32_e64 v2, v2, v12, s[2:3]
	s_waitcnt lgkmcnt(3)
	v_cndmask_b32_e64 v2, v2, v25, s[0:1]
	;; [unrolled: 2-line block ×3, first 2 shown]
	ds_bpermute_b32 v25, v16, v6
	ds_bpermute_b32 v26, v17, v3
	;; [unrolled: 1-line block ×4, first 2 shown]
	s_waitcnt lgkmcnt(5)
	v_cndmask_b32_e64 v12, v12, v27, s[4:5]
	ds_bpermute_b32 v6, v17, v6
	s_waitcnt lgkmcnt(5)
	v_cndmask_b32_e64 v12, v12, v28, s[2:3]
	s_waitcnt lgkmcnt(4)
	v_cndmask_b32_e64 v3, v12, v25, s[0:1]
	;; [unrolled: 2-line block ×6, first 2 shown]
	v_mov_b32_e32 v25, v11
	s_barrier
	s_branch .LBB236_4
.LBB236_3:                              ;   in Loop: Header=BB236_4 Depth=2
	s_andn2_b64 vcc, exec, s[38:39]
	s_cbranch_vccz .LBB236_1
.LBB236_4:                              ;   Parent Loop BB236_2 Depth=1
                                        ; =>  This Inner Loop Header: Depth=2
	v_mov_b32_e32 v27, v1
	v_lshrrev_b32_e32 v1, v25, v27
	v_mov_b32_e32 v26, v2
	v_and_b32_e32 v2, 1, v1
	v_mov_b32_e32 v5, v4
	v_add_co_u32_e32 v4, vcc, -1, v2
	v_addc_co_u32_e64 v12, s[38:39], 0, -1, vcc
	v_cmp_ne_u32_e32 vcc, 0, v2
	v_xor_b32_e32 v2, vcc_hi, v12
	v_lshlrev_b32_e32 v12, 30, v1
	v_xor_b32_e32 v4, vcc_lo, v4
	v_cmp_gt_i64_e32 vcc, 0, v[11:12]
	v_not_b32_e32 v12, v12
	v_ashrrev_i32_e32 v12, 31, v12
	v_and_b32_e32 v4, exec_lo, v4
	v_xor_b32_e32 v28, vcc_hi, v12
	v_xor_b32_e32 v12, vcc_lo, v12
	v_and_b32_e32 v4, v4, v12
	v_lshlrev_b32_e32 v12, 29, v1
	v_cmp_gt_i64_e32 vcc, 0, v[11:12]
	v_not_b32_e32 v12, v12
	v_and_b32_e32 v2, exec_hi, v2
	v_ashrrev_i32_e32 v12, 31, v12
	v_and_b32_e32 v2, v2, v28
	v_xor_b32_e32 v28, vcc_hi, v12
	v_xor_b32_e32 v12, vcc_lo, v12
	v_and_b32_e32 v4, v4, v12
	v_lshlrev_b32_e32 v12, 28, v1
	v_cmp_gt_i64_e32 vcc, 0, v[11:12]
	v_not_b32_e32 v12, v12
	v_ashrrev_i32_e32 v12, 31, v12
	v_and_b32_e32 v2, v2, v28
	v_xor_b32_e32 v28, vcc_hi, v12
	v_xor_b32_e32 v12, vcc_lo, v12
	v_and_b32_e32 v4, v4, v12
	v_lshlrev_b32_e32 v12, 27, v1
	v_cmp_gt_i64_e32 vcc, 0, v[11:12]
	v_not_b32_e32 v12, v12
	;; [unrolled: 8-line block ×4, first 2 shown]
	v_ashrrev_i32_e32 v12, 31, v12
	v_and_b32_e32 v2, v2, v28
	v_xor_b32_e32 v28, vcc_hi, v12
	v_xor_b32_e32 v12, vcc_lo, v12
	v_and_b32_e32 v4, v4, v12
	v_lshlrev_b32_e32 v12, 24, v1
	v_mov_b32_e32 v6, v3
	v_lshlrev_b32_sdwa v3, v24, v1 dst_sel:DWORD dst_unused:UNUSED_PAD src0_sel:DWORD src1_sel:BYTE_0
	v_cmp_gt_i64_e32 vcc, 0, v[11:12]
	v_not_b32_e32 v1, v12
	v_ashrrev_i32_e32 v1, 31, v1
	v_xor_b32_e32 v12, vcc_hi, v1
	v_xor_b32_e32 v1, vcc_lo, v1
	v_and_b32_e32 v2, v2, v28
	v_and_b32_e32 v1, v4, v1
	;; [unrolled: 1-line block ×3, first 2 shown]
	v_mbcnt_lo_u32_b32 v4, v1, 0
	v_mbcnt_hi_u32_b32 v28, v2, v4
	v_cmp_ne_u64_e32 vcc, 0, v[1:2]
	v_cmp_eq_u32_e64 s[38:39], 0, v28
	s_and_b64 s[40:41], vcc, s[38:39]
	v_add_u32_e32 v29, v23, v3
	ds_write2_b64 v13, v[7:8], v[9:10] offset0:4 offset1:5
	s_waitcnt lgkmcnt(0)
	s_barrier
	; wave barrier
	s_and_saveexec_b64 s[38:39], s[40:41]
; %bb.5:                                ;   in Loop: Header=BB236_4 Depth=2
	v_bcnt_u32_b32 v1, v1, 0
	v_bcnt_u32_b32 v1, v2, v1
	ds_write_b32 v29, v1 offset:32
; %bb.6:                                ;   in Loop: Header=BB236_4 Depth=2
	s_or_b64 exec, exec, s[38:39]
	v_lshrrev_b32_e32 v1, v25, v26
	v_lshlrev_b32_sdwa v2, v24, v1 dst_sel:DWORD dst_unused:UNUSED_PAD src0_sel:DWORD src1_sel:BYTE_0
	v_add_u32_e32 v31, v23, v2
	v_and_b32_e32 v2, 1, v1
	v_add_co_u32_e32 v3, vcc, -1, v2
	v_addc_co_u32_e64 v4, s[38:39], 0, -1, vcc
	v_cmp_ne_u32_e32 vcc, 0, v2
	v_lshlrev_b32_e32 v12, 30, v1
	v_xor_b32_e32 v2, vcc_hi, v4
	v_xor_b32_e32 v3, vcc_lo, v3
	v_cmp_gt_i64_e32 vcc, 0, v[11:12]
	v_not_b32_e32 v4, v12
	v_ashrrev_i32_e32 v4, 31, v4
	v_and_b32_e32 v2, exec_hi, v2
	v_xor_b32_e32 v12, vcc_hi, v4
	v_and_b32_e32 v3, exec_lo, v3
	v_xor_b32_e32 v4, vcc_lo, v4
	v_and_b32_e32 v2, v2, v12
	v_lshlrev_b32_e32 v12, 29, v1
	v_and_b32_e32 v3, v3, v4
	v_cmp_gt_i64_e32 vcc, 0, v[11:12]
	v_not_b32_e32 v4, v12
	v_ashrrev_i32_e32 v4, 31, v4
	v_xor_b32_e32 v12, vcc_hi, v4
	v_xor_b32_e32 v4, vcc_lo, v4
	v_and_b32_e32 v2, v2, v12
	v_lshlrev_b32_e32 v12, 28, v1
	v_and_b32_e32 v3, v3, v4
	v_cmp_gt_i64_e32 vcc, 0, v[11:12]
	v_not_b32_e32 v4, v12
	v_ashrrev_i32_e32 v4, 31, v4
	v_xor_b32_e32 v12, vcc_hi, v4
	;; [unrolled: 8-line block ×5, first 2 shown]
	v_and_b32_e32 v2, v2, v12
	v_lshlrev_b32_e32 v12, 24, v1
	v_xor_b32_e32 v4, vcc_lo, v4
	v_cmp_gt_i64_e32 vcc, 0, v[11:12]
	v_not_b32_e32 v1, v12
	v_ashrrev_i32_e32 v1, 31, v1
	v_and_b32_e32 v3, v3, v4
	v_xor_b32_e32 v4, vcc_hi, v1
	v_xor_b32_e32 v1, vcc_lo, v1
	; wave barrier
	ds_read_b32 v30, v31 offset:32
	v_and_b32_e32 v1, v3, v1
	v_and_b32_e32 v2, v2, v4
	v_mbcnt_lo_u32_b32 v3, v1, 0
	v_mbcnt_hi_u32_b32 v32, v2, v3
	v_cmp_ne_u64_e32 vcc, 0, v[1:2]
	v_cmp_eq_u32_e64 s[38:39], 0, v32
	s_and_b64 s[40:41], vcc, s[38:39]
	; wave barrier
	s_and_saveexec_b64 s[38:39], s[40:41]
	s_cbranch_execz .LBB236_8
; %bb.7:                                ;   in Loop: Header=BB236_4 Depth=2
	v_bcnt_u32_b32 v1, v1, 0
	v_bcnt_u32_b32 v1, v2, v1
	s_waitcnt lgkmcnt(0)
	v_add_u32_e32 v1, v30, v1
	ds_write_b32 v31, v1 offset:32
.LBB236_8:                              ;   in Loop: Header=BB236_4 Depth=2
	s_or_b64 exec, exec, s[38:39]
	v_lshrrev_b32_e32 v1, v25, v6
	v_lshlrev_b32_sdwa v2, v24, v1 dst_sel:DWORD dst_unused:UNUSED_PAD src0_sel:DWORD src1_sel:BYTE_0
	v_add_u32_e32 v34, v23, v2
	v_and_b32_e32 v2, 1, v1
	v_add_co_u32_e32 v3, vcc, -1, v2
	v_addc_co_u32_e64 v4, s[38:39], 0, -1, vcc
	v_cmp_ne_u32_e32 vcc, 0, v2
	v_lshlrev_b32_e32 v12, 30, v1
	v_xor_b32_e32 v2, vcc_hi, v4
	v_xor_b32_e32 v3, vcc_lo, v3
	v_cmp_gt_i64_e32 vcc, 0, v[11:12]
	v_not_b32_e32 v4, v12
	v_ashrrev_i32_e32 v4, 31, v4
	v_and_b32_e32 v2, exec_hi, v2
	v_xor_b32_e32 v12, vcc_hi, v4
	v_and_b32_e32 v3, exec_lo, v3
	v_xor_b32_e32 v4, vcc_lo, v4
	v_and_b32_e32 v2, v2, v12
	v_lshlrev_b32_e32 v12, 29, v1
	v_and_b32_e32 v3, v3, v4
	v_cmp_gt_i64_e32 vcc, 0, v[11:12]
	v_not_b32_e32 v4, v12
	v_ashrrev_i32_e32 v4, 31, v4
	v_xor_b32_e32 v12, vcc_hi, v4
	v_xor_b32_e32 v4, vcc_lo, v4
	v_and_b32_e32 v2, v2, v12
	v_lshlrev_b32_e32 v12, 28, v1
	v_and_b32_e32 v3, v3, v4
	v_cmp_gt_i64_e32 vcc, 0, v[11:12]
	v_not_b32_e32 v4, v12
	v_ashrrev_i32_e32 v4, 31, v4
	v_xor_b32_e32 v12, vcc_hi, v4
	;; [unrolled: 8-line block ×5, first 2 shown]
	v_and_b32_e32 v2, v2, v12
	v_lshlrev_b32_e32 v12, 24, v1
	v_xor_b32_e32 v4, vcc_lo, v4
	v_cmp_gt_i64_e32 vcc, 0, v[11:12]
	v_not_b32_e32 v1, v12
	v_ashrrev_i32_e32 v1, 31, v1
	v_and_b32_e32 v3, v3, v4
	v_xor_b32_e32 v4, vcc_hi, v1
	v_xor_b32_e32 v1, vcc_lo, v1
	; wave barrier
	ds_read_b32 v33, v34 offset:32
	v_and_b32_e32 v1, v3, v1
	v_and_b32_e32 v2, v2, v4
	v_mbcnt_lo_u32_b32 v3, v1, 0
	v_mbcnt_hi_u32_b32 v35, v2, v3
	v_cmp_ne_u64_e32 vcc, 0, v[1:2]
	v_cmp_eq_u32_e64 s[38:39], 0, v35
	s_and_b64 s[40:41], vcc, s[38:39]
	; wave barrier
	s_and_saveexec_b64 s[38:39], s[40:41]
	s_cbranch_execz .LBB236_10
; %bb.9:                                ;   in Loop: Header=BB236_4 Depth=2
	v_bcnt_u32_b32 v1, v1, 0
	v_bcnt_u32_b32 v1, v2, v1
	s_waitcnt lgkmcnt(0)
	v_add_u32_e32 v1, v33, v1
	ds_write_b32 v34, v1 offset:32
.LBB236_10:                             ;   in Loop: Header=BB236_4 Depth=2
	s_or_b64 exec, exec, s[38:39]
	v_lshrrev_b32_e32 v1, v25, v5
	v_lshlrev_b32_sdwa v2, v24, v1 dst_sel:DWORD dst_unused:UNUSED_PAD src0_sel:DWORD src1_sel:BYTE_0
	v_add_u32_e32 v37, v23, v2
	v_and_b32_e32 v2, 1, v1
	v_add_co_u32_e32 v3, vcc, -1, v2
	v_addc_co_u32_e64 v4, s[38:39], 0, -1, vcc
	v_cmp_ne_u32_e32 vcc, 0, v2
	v_lshlrev_b32_e32 v12, 30, v1
	v_xor_b32_e32 v2, vcc_hi, v4
	v_xor_b32_e32 v3, vcc_lo, v3
	v_cmp_gt_i64_e32 vcc, 0, v[11:12]
	v_not_b32_e32 v4, v12
	v_ashrrev_i32_e32 v4, 31, v4
	v_and_b32_e32 v2, exec_hi, v2
	v_xor_b32_e32 v12, vcc_hi, v4
	v_and_b32_e32 v3, exec_lo, v3
	v_xor_b32_e32 v4, vcc_lo, v4
	v_and_b32_e32 v2, v2, v12
	v_lshlrev_b32_e32 v12, 29, v1
	v_and_b32_e32 v3, v3, v4
	v_cmp_gt_i64_e32 vcc, 0, v[11:12]
	v_not_b32_e32 v4, v12
	v_ashrrev_i32_e32 v4, 31, v4
	v_xor_b32_e32 v12, vcc_hi, v4
	v_xor_b32_e32 v4, vcc_lo, v4
	v_and_b32_e32 v2, v2, v12
	v_lshlrev_b32_e32 v12, 28, v1
	v_and_b32_e32 v3, v3, v4
	v_cmp_gt_i64_e32 vcc, 0, v[11:12]
	v_not_b32_e32 v4, v12
	v_ashrrev_i32_e32 v4, 31, v4
	v_xor_b32_e32 v12, vcc_hi, v4
	;; [unrolled: 8-line block ×5, first 2 shown]
	v_and_b32_e32 v2, v2, v12
	v_lshlrev_b32_e32 v12, 24, v1
	v_xor_b32_e32 v4, vcc_lo, v4
	v_cmp_gt_i64_e32 vcc, 0, v[11:12]
	v_not_b32_e32 v1, v12
	v_ashrrev_i32_e32 v1, 31, v1
	v_and_b32_e32 v3, v3, v4
	v_xor_b32_e32 v4, vcc_hi, v1
	v_xor_b32_e32 v1, vcc_lo, v1
	; wave barrier
	ds_read_b32 v36, v37 offset:32
	v_and_b32_e32 v1, v3, v1
	v_and_b32_e32 v2, v2, v4
	v_mbcnt_lo_u32_b32 v3, v1, 0
	v_mbcnt_hi_u32_b32 v12, v2, v3
	v_cmp_ne_u64_e32 vcc, 0, v[1:2]
	v_cmp_eq_u32_e64 s[38:39], 0, v12
	s_and_b64 s[40:41], vcc, s[38:39]
	; wave barrier
	s_and_saveexec_b64 s[38:39], s[40:41]
	s_cbranch_execz .LBB236_12
; %bb.11:                               ;   in Loop: Header=BB236_4 Depth=2
	v_bcnt_u32_b32 v1, v1, 0
	v_bcnt_u32_b32 v1, v2, v1
	s_waitcnt lgkmcnt(0)
	v_add_u32_e32 v1, v36, v1
	ds_write_b32 v37, v1 offset:32
.LBB236_12:                             ;   in Loop: Header=BB236_4 Depth=2
	s_or_b64 exec, exec, s[38:39]
	; wave barrier
	s_waitcnt lgkmcnt(0)
	s_barrier
	ds_read2_b64 v[1:4], v13 offset0:4 offset1:5
	s_waitcnt lgkmcnt(0)
	v_add_u32_e32 v38, v2, v1
	v_add3_u32 v4, v38, v3, v4
	s_nop 1
	v_mov_b32_dpp v38, v4 row_shr:1 row_mask:0xf bank_mask:0xf
	v_cndmask_b32_e64 v38, v38, 0, s[8:9]
	v_add_u32_e32 v4, v38, v4
	s_nop 1
	v_mov_b32_dpp v38, v4 row_shr:2 row_mask:0xf bank_mask:0xf
	v_cndmask_b32_e64 v38, 0, v38, s[10:11]
	v_add_u32_e32 v4, v4, v38
	s_nop 1
	v_mov_b32_dpp v38, v4 row_shr:4 row_mask:0xf bank_mask:0xf
	v_cndmask_b32_e64 v38, 0, v38, s[12:13]
	v_add_u32_e32 v4, v4, v38
	s_nop 1
	v_mov_b32_dpp v38, v4 row_shr:8 row_mask:0xf bank_mask:0xf
	v_cndmask_b32_e64 v38, 0, v38, s[14:15]
	v_add_u32_e32 v4, v4, v38
	s_nop 1
	v_mov_b32_dpp v38, v4 row_bcast:15 row_mask:0xf bank_mask:0xf
	v_cndmask_b32_e64 v38, v38, 0, s[16:17]
	v_add_u32_e32 v4, v4, v38
	s_nop 1
	v_mov_b32_dpp v38, v4 row_bcast:31 row_mask:0xf bank_mask:0xf
	v_cndmask_b32_e64 v38, 0, v38, s[18:19]
	v_add_u32_e32 v4, v4, v38
	s_and_saveexec_b64 s[38:39], s[20:21]
; %bb.13:                               ;   in Loop: Header=BB236_4 Depth=2
	ds_write_b32 v19, v4
; %bb.14:                               ;   in Loop: Header=BB236_4 Depth=2
	s_or_b64 exec, exec, s[38:39]
	s_waitcnt lgkmcnt(0)
	s_barrier
	s_and_saveexec_b64 s[38:39], s[22:23]
	s_cbranch_execz .LBB236_16
; %bb.15:                               ;   in Loop: Header=BB236_4 Depth=2
	v_add_u32_e32 v38, v13, v20
	ds_read_b32 v39, v38
	s_waitcnt lgkmcnt(0)
	s_nop 0
	v_mov_b32_dpp v40, v39 row_shr:1 row_mask:0xf bank_mask:0xf
	v_cndmask_b32_e64 v40, v40, 0, s[30:31]
	v_add_u32_e32 v39, v40, v39
	s_nop 1
	v_mov_b32_dpp v40, v39 row_shr:2 row_mask:0xf bank_mask:0xf
	v_cndmask_b32_e64 v40, 0, v40, s[34:35]
	v_add_u32_e32 v39, v39, v40
	;; [unrolled: 4-line block ×3, first 2 shown]
	ds_write_b32 v38, v39
.LBB236_16:                             ;   in Loop: Header=BB236_4 Depth=2
	s_or_b64 exec, exec, s[38:39]
	v_mov_b32_e32 v38, 0
	s_waitcnt lgkmcnt(0)
	s_barrier
	s_and_saveexec_b64 s[38:39], s[24:25]
; %bb.17:                               ;   in Loop: Header=BB236_4 Depth=2
	ds_read_b32 v38, v21
; %bb.18:                               ;   in Loop: Header=BB236_4 Depth=2
	s_or_b64 exec, exec, s[38:39]
	s_waitcnt lgkmcnt(0)
	v_add_u32_e32 v4, v38, v4
	ds_bpermute_b32 v4, v18, v4
	v_cmp_lt_u32_e32 vcc, 23, v25
	s_and_b64 vcc, exec, vcc
	s_mov_b64 s[38:39], -1
	s_waitcnt lgkmcnt(0)
	v_cndmask_b32_e64 v4, v4, v38, s[26:27]
	v_cndmask_b32_e64 v38, v4, 0, s[28:29]
	v_add_u32_e32 v39, v38, v1
	v_add_u32_e32 v1, v39, v2
	;; [unrolled: 1-line block ×3, first 2 shown]
	ds_write2_b64 v13, v[38:39], v[1:2] offset0:4 offset1:5
	s_waitcnt lgkmcnt(0)
	s_barrier
	ds_read_b32 v1, v29 offset:32
	ds_read_b32 v2, v31 offset:32
	;; [unrolled: 1-line block ×4, first 2 shown]
	s_waitcnt lgkmcnt(3)
	v_add_u32_e32 v31, v1, v28
	s_waitcnt lgkmcnt(2)
	v_add3_u32 v29, v32, v30, v2
	s_waitcnt lgkmcnt(1)
	v_add3_u32 v28, v35, v33, v3
	;; [unrolled: 2-line block ×3, first 2 shown]
                                        ; implicit-def: $vgpr4
                                        ; implicit-def: $vgpr2
	s_cbranch_vccnz .LBB236_3
; %bb.19:                               ;   in Loop: Header=BB236_4 Depth=2
	v_lshlrev_b32_e32 v1, 2, v31
	s_barrier
	ds_write_b32 v1, v27
	v_lshlrev_b32_e32 v1, 2, v29
	ds_write_b32 v1, v26
	v_lshlrev_b32_e32 v1, 2, v28
	;; [unrolled: 2-line block ×3, first 2 shown]
	ds_write_b32 v1, v5
	s_waitcnt lgkmcnt(0)
	s_barrier
	ds_read2st64_b32 v[1:2], v22 offset1:1
	ds_read2st64_b32 v[3:4], v22 offset0:2 offset1:3
	v_add_u32_e32 v25, 8, v25
	s_mov_b64 s[38:39], 0
	s_waitcnt lgkmcnt(0)
	s_barrier
	s_branch .LBB236_3
.LBB236_20:
	s_add_u32 s0, s42, s46
	s_addc_u32 s1, s43, s47
	v_lshlrev_b32_e32 v0, 2, v0
	v_mov_b32_e32 v1, s1
	v_add_co_u32_e32 v2, vcc, s0, v0
	v_addc_co_u32_e32 v1, vcc, 0, v1, vcc
	global_store_dword v0, v3, s[0:1]
	global_store_dword v0, v4, s[0:1] offset:2048
	v_add_co_u32_e32 v0, vcc, 0x1000, v2
	v_addc_co_u32_e32 v1, vcc, 0, v1, vcc
	global_store_dword v[0:1], v5, off
	global_store_dword v[0:1], v6, off offset:2048
	s_endpgm
	.section	.rodata,"a",@progbits
	.p2align	6, 0x0
	.amdhsa_kernel _Z16sort_keys_kernelI22helper_blocked_stripediLj512ELj4ELj10EEvPKT0_PS1_
		.amdhsa_group_segment_fixed_size 8224
		.amdhsa_private_segment_fixed_size 0
		.amdhsa_kernarg_size 272
		.amdhsa_user_sgpr_count 6
		.amdhsa_user_sgpr_private_segment_buffer 1
		.amdhsa_user_sgpr_dispatch_ptr 0
		.amdhsa_user_sgpr_queue_ptr 0
		.amdhsa_user_sgpr_kernarg_segment_ptr 1
		.amdhsa_user_sgpr_dispatch_id 0
		.amdhsa_user_sgpr_flat_scratch_init 0
		.amdhsa_user_sgpr_private_segment_size 0
		.amdhsa_uses_dynamic_stack 0
		.amdhsa_system_sgpr_private_segment_wavefront_offset 0
		.amdhsa_system_sgpr_workgroup_id_x 1
		.amdhsa_system_sgpr_workgroup_id_y 0
		.amdhsa_system_sgpr_workgroup_id_z 0
		.amdhsa_system_sgpr_workgroup_info 0
		.amdhsa_system_vgpr_workitem_id 2
		.amdhsa_next_free_vgpr 41
		.amdhsa_next_free_sgpr 48
		.amdhsa_reserve_vcc 1
		.amdhsa_reserve_flat_scratch 0
		.amdhsa_float_round_mode_32 0
		.amdhsa_float_round_mode_16_64 0
		.amdhsa_float_denorm_mode_32 3
		.amdhsa_float_denorm_mode_16_64 3
		.amdhsa_dx10_clamp 1
		.amdhsa_ieee_mode 1
		.amdhsa_fp16_overflow 0
		.amdhsa_exception_fp_ieee_invalid_op 0
		.amdhsa_exception_fp_denorm_src 0
		.amdhsa_exception_fp_ieee_div_zero 0
		.amdhsa_exception_fp_ieee_overflow 0
		.amdhsa_exception_fp_ieee_underflow 0
		.amdhsa_exception_fp_ieee_inexact 0
		.amdhsa_exception_int_div_zero 0
	.end_amdhsa_kernel
	.section	.text._Z16sort_keys_kernelI22helper_blocked_stripediLj512ELj4ELj10EEvPKT0_PS1_,"axG",@progbits,_Z16sort_keys_kernelI22helper_blocked_stripediLj512ELj4ELj10EEvPKT0_PS1_,comdat
.Lfunc_end236:
	.size	_Z16sort_keys_kernelI22helper_blocked_stripediLj512ELj4ELj10EEvPKT0_PS1_, .Lfunc_end236-_Z16sort_keys_kernelI22helper_blocked_stripediLj512ELj4ELj10EEvPKT0_PS1_
                                        ; -- End function
	.set _Z16sort_keys_kernelI22helper_blocked_stripediLj512ELj4ELj10EEvPKT0_PS1_.num_vgpr, 41
	.set _Z16sort_keys_kernelI22helper_blocked_stripediLj512ELj4ELj10EEvPKT0_PS1_.num_agpr, 0
	.set _Z16sort_keys_kernelI22helper_blocked_stripediLj512ELj4ELj10EEvPKT0_PS1_.numbered_sgpr, 48
	.set _Z16sort_keys_kernelI22helper_blocked_stripediLj512ELj4ELj10EEvPKT0_PS1_.num_named_barrier, 0
	.set _Z16sort_keys_kernelI22helper_blocked_stripediLj512ELj4ELj10EEvPKT0_PS1_.private_seg_size, 0
	.set _Z16sort_keys_kernelI22helper_blocked_stripediLj512ELj4ELj10EEvPKT0_PS1_.uses_vcc, 1
	.set _Z16sort_keys_kernelI22helper_blocked_stripediLj512ELj4ELj10EEvPKT0_PS1_.uses_flat_scratch, 0
	.set _Z16sort_keys_kernelI22helper_blocked_stripediLj512ELj4ELj10EEvPKT0_PS1_.has_dyn_sized_stack, 0
	.set _Z16sort_keys_kernelI22helper_blocked_stripediLj512ELj4ELj10EEvPKT0_PS1_.has_recursion, 0
	.set _Z16sort_keys_kernelI22helper_blocked_stripediLj512ELj4ELj10EEvPKT0_PS1_.has_indirect_call, 0
	.section	.AMDGPU.csdata,"",@progbits
; Kernel info:
; codeLenInByte = 3020
; TotalNumSgprs: 52
; NumVgprs: 41
; ScratchSize: 0
; MemoryBound: 0
; FloatMode: 240
; IeeeMode: 1
; LDSByteSize: 8224 bytes/workgroup (compile time only)
; SGPRBlocks: 6
; VGPRBlocks: 10
; NumSGPRsForWavesPerEU: 52
; NumVGPRsForWavesPerEU: 41
; Occupancy: 5
; WaveLimiterHint : 1
; COMPUTE_PGM_RSRC2:SCRATCH_EN: 0
; COMPUTE_PGM_RSRC2:USER_SGPR: 6
; COMPUTE_PGM_RSRC2:TRAP_HANDLER: 0
; COMPUTE_PGM_RSRC2:TGID_X_EN: 1
; COMPUTE_PGM_RSRC2:TGID_Y_EN: 0
; COMPUTE_PGM_RSRC2:TGID_Z_EN: 0
; COMPUTE_PGM_RSRC2:TIDIG_COMP_CNT: 2
	.section	.text._Z17sort_pairs_kernelI22helper_blocked_stripediLj512ELj4ELj10EEvPKT0_PS1_,"axG",@progbits,_Z17sort_pairs_kernelI22helper_blocked_stripediLj512ELj4ELj10EEvPKT0_PS1_,comdat
	.protected	_Z17sort_pairs_kernelI22helper_blocked_stripediLj512ELj4ELj10EEvPKT0_PS1_ ; -- Begin function _Z17sort_pairs_kernelI22helper_blocked_stripediLj512ELj4ELj10EEvPKT0_PS1_
	.globl	_Z17sort_pairs_kernelI22helper_blocked_stripediLj512ELj4ELj10EEvPKT0_PS1_
	.p2align	8
	.type	_Z17sort_pairs_kernelI22helper_blocked_stripediLj512ELj4ELj10EEvPKT0_PS1_,@function
_Z17sort_pairs_kernelI22helper_blocked_stripediLj512ELj4ELj10EEvPKT0_PS1_: ; @_Z17sort_pairs_kernelI22helper_blocked_stripediLj512ELj4ELj10EEvPKT0_PS1_
; %bb.0:
	s_load_dwordx4 s[40:43], s[4:5], 0x0
	s_load_dword s33, s[4:5], 0x1c
	s_lshl_b32 s46, s6, 11
	s_mov_b32 s47, 0
	s_lshl_b64 s[44:45], s[46:47], 2
	s_waitcnt lgkmcnt(0)
	s_add_u32 s0, s40, s44
	s_addc_u32 s1, s41, s45
	v_lshlrev_b32_e32 v16, 4, v0
	global_load_dwordx4 v[3:6], v16, s[0:1]
	s_lshr_b32 s38, s33, 16
	s_and_b32 s33, s33, 0xffff
	v_mad_u32_u24 v1, v2, s38, v1
	v_mbcnt_lo_u32_b32 v7, -1, 0
	v_mad_u64_u32 v[1:2], s[38:39], v1, s33, v[0:1]
	v_mbcnt_hi_u32_b32 v9, -1, v7
	v_or_b32_e32 v7, 63, v0
	v_lshrrev_b32_e32 v8, 4, v0
	s_mov_b32 s12, s47
	s_mov_b32 s13, s47
	v_lshrrev_b32_e32 v10, 2, v9
	v_and_b32_e32 v11, 3, v9
	v_and_b32_e32 v12, 64, v9
	;; [unrolled: 1-line block ×3, first 2 shown]
	v_cmp_eq_u32_e64 s[8:9], v0, v7
	v_subrev_co_u32_e64 v15, s[10:11], 1, v9
	v_and_b32_e32 v19, 28, v8
	v_mov_b32_e32 v7, s12
	v_and_b32_e32 v14, 16, v9
	v_and_b32_e32 v21, 0x1c00, v16
	s_mov_b32 s46, s47
	v_mov_b32_e32 v8, s13
	v_cmp_eq_u32_e64 s[12:13], 3, v11
	v_cmp_eq_u32_e64 s[14:15], 2, v11
	;; [unrolled: 1-line block ×5, first 2 shown]
	v_cmp_lt_u32_e64 s[22:23], 1, v13
	v_cmp_lt_u32_e64 s[24:25], 3, v13
	;; [unrolled: 1-line block ×3, first 2 shown]
	v_or_b32_e32 v11, v10, v12
	v_add_u32_e32 v13, 48, v10
	v_cmp_lt_i32_e32 vcc, v15, v12
	v_cmp_lt_u32_e64 s[6:7], 31, v9
	v_and_b32_e32 v20, 7, v9
	v_cmp_eq_u32_e64 s[28:29], 0, v14
	v_cndmask_b32_e32 v14, v15, v9, vcc
	v_lshl_or_b32 v21, v9, 2, v21
	v_mov_b32_e32 v9, s46
	v_lshlrev_b32_e32 v22, 2, v11
	v_and_or_b32 v11, v13, 63, v12
	v_lshrrev_b32_e32 v1, 4, v1
	v_mov_b32_e32 v17, 5
	v_cmp_gt_u32_e64 s[0:1], 8, v0
	v_cmp_lt_u32_e64 s[2:3], 63, v0
	v_cmp_eq_u32_e64 s[4:5], 0, v0
	v_mul_i32_i24_e32 v18, -12, v0
	v_cmp_eq_u32_e64 s[30:31], 0, v20
	v_cmp_lt_u32_e64 s[34:35], 1, v20
	v_cmp_lt_u32_e64 s[36:37], 3, v20
	v_add_u32_e32 v20, -4, v19
	v_mov_b32_e32 v10, s47
	v_lshlrev_b32_e32 v23, 2, v14
	v_lshlrev_b32_e32 v24, 2, v11
	v_add_u32_e32 v25, 64, v22
	v_or_b32_e32 v26, 0x80, v22
	v_and_b32_e32 v27, 0xffffffc, v1
	v_mov_b32_e32 v11, 0
	s_waitcnt vmcnt(0)
	v_add_u32_e32 v14, 1, v3
	v_add_u32_e32 v15, 1, v4
	;; [unrolled: 1-line block ×4, first 2 shown]
	s_branch .LBB237_2
.LBB237_1:                              ;   in Loop: Header=BB237_2 Depth=1
	v_lshlrev_b32_e32 v3, 2, v41
	v_lshlrev_b32_e32 v4, 2, v38
	v_lshlrev_b32_e32 v12, 2, v36
	v_lshlrev_b32_e32 v13, 2, v35
	s_barrier
	ds_write_b32 v3, v34
	ds_write_b32 v4, v33
	;; [unrolled: 1-line block ×4, first 2 shown]
	v_add_u32_e32 v30, v16, v18
	s_waitcnt lgkmcnt(0)
	s_barrier
	ds_read2st64_b32 v[1:2], v30 offset1:8
	ds_read2st64_b32 v[5:6], v30 offset0:16 offset1:24
	s_waitcnt lgkmcnt(0)
	s_barrier
	ds_write_b32 v3, v29
	ds_write_b32 v4, v28
	;; [unrolled: 1-line block ×4, first 2 shown]
	s_waitcnt lgkmcnt(0)
	s_barrier
	ds_read2st64_b32 v[14:15], v30 offset1:8
	ds_read2st64_b32 v[12:13], v30 offset0:16 offset1:24
	s_add_i32 s47, s47, 1
	v_xor_b32_e32 v3, 0x80000000, v1
	v_xor_b32_e32 v4, 0x80000000, v2
	;; [unrolled: 1-line block ×3, first 2 shown]
	s_cmp_eq_u32 s47, 10
	v_xor_b32_e32 v6, 0x80000000, v6
	s_cbranch_scc1 .LBB237_20
.LBB237_2:                              ; =>This Loop Header: Depth=1
                                        ;     Child Loop BB237_4 Depth 2
	v_xor_b32_e32 v28, 0x80000000, v3
	v_xor_b32_e32 v4, 0x80000000, v4
	ds_bpermute_b32 v1, v22, v28
	ds_bpermute_b32 v2, v22, v4
	v_xor_b32_e32 v5, 0x80000000, v5
	v_xor_b32_e32 v6, 0x80000000, v6
	ds_bpermute_b32 v3, v22, v6
	s_waitcnt lgkmcnt(2)
	v_cndmask_b32_e64 v1, 0, v1, s[18:19]
	s_waitcnt lgkmcnt(1)
	v_cndmask_b32_e64 v1, v1, v2, s[16:17]
	ds_bpermute_b32 v2, v22, v5
	ds_bpermute_b32 v29, v25, v28
	;; [unrolled: 1-line block ×5, first 2 shown]
	s_waitcnt lgkmcnt(4)
	v_cndmask_b32_e64 v1, v1, v2, s[14:15]
	v_cndmask_b32_e64 v1, v1, v3, s[12:13]
	s_waitcnt lgkmcnt(3)
	v_cndmask_b32_e64 v2, 0, v29, s[18:19]
	ds_bpermute_b32 v3, v25, v6
	ds_bpermute_b32 v29, v26, v28
	;; [unrolled: 1-line block ×3, first 2 shown]
	s_waitcnt lgkmcnt(5)
	v_cndmask_b32_e64 v2, v2, v30, s[16:17]
	ds_bpermute_b32 v30, v26, v4
	ds_bpermute_b32 v4, v24, v4
	s_waitcnt lgkmcnt(6)
	v_cndmask_b32_e64 v2, v2, v31, s[14:15]
	ds_bpermute_b32 v31, v26, v5
	ds_bpermute_b32 v5, v24, v5
	;; [unrolled: 1-line block ×3, first 2 shown]
	s_waitcnt lgkmcnt(7)
	v_cndmask_b32_e64 v2, v2, v3, s[12:13]
	s_waitcnt lgkmcnt(6)
	v_cndmask_b32_e64 v3, 0, v29, s[18:19]
	ds_bpermute_b32 v29, v22, v14
	s_waitcnt lgkmcnt(6)
	v_cndmask_b32_e64 v28, 0, v28, s[18:19]
	s_waitcnt lgkmcnt(4)
	v_cndmask_b32_e64 v4, v28, v4, s[16:17]
	;; [unrolled: 2-line block ×4, first 2 shown]
	ds_bpermute_b32 v6, v22, v15
	v_cndmask_b32_e64 v3, v3, v30, s[16:17]
	ds_bpermute_b32 v28, v22, v12
	ds_bpermute_b32 v30, v25, v14
	s_waitcnt lgkmcnt(3)
	v_cndmask_b32_e64 v5, 0, v29, s[18:19]
	ds_bpermute_b32 v29, v22, v13
	v_cndmask_b32_e64 v3, v3, v31, s[14:15]
	ds_bpermute_b32 v31, v25, v15
	s_waitcnt lgkmcnt(4)
	v_cndmask_b32_e64 v5, v5, v6, s[16:17]
	s_waitcnt lgkmcnt(3)
	v_cndmask_b32_e64 v5, v5, v28, s[14:15]
	;; [unrolled: 2-line block ×3, first 2 shown]
	ds_bpermute_b32 v28, v25, v12
	ds_bpermute_b32 v30, v26, v14
	s_waitcnt lgkmcnt(3)
	v_cndmask_b32_e64 v5, v5, v29, s[12:13]
	ds_bpermute_b32 v29, v25, v13
	ds_bpermute_b32 v14, v24, v14
	s_waitcnt lgkmcnt(4)
	v_cndmask_b32_e64 v6, v6, v31, s[16:17]
	ds_bpermute_b32 v31, v26, v15
	ds_bpermute_b32 v15, v24, v15
	v_cndmask_b32_e64 v3, v3, v32, s[12:13]
	ds_bpermute_b32 v32, v26, v12
	s_waitcnt lgkmcnt(6)
	v_cndmask_b32_e64 v6, v6, v28, s[14:15]
	s_waitcnt lgkmcnt(5)
	v_cndmask_b32_e64 v28, 0, v30, s[18:19]
	ds_bpermute_b32 v30, v24, v12
	s_waitcnt lgkmcnt(5)
	v_cndmask_b32_e64 v6, v6, v29, s[12:13]
	ds_bpermute_b32 v29, v26, v13
	ds_bpermute_b32 v13, v24, v13
	s_waitcnt lgkmcnt(6)
	v_cndmask_b32_e64 v14, 0, v14, s[18:19]
	s_waitcnt lgkmcnt(5)
	v_cndmask_b32_e64 v28, v28, v31, s[16:17]
	;; [unrolled: 2-line block ×7, first 2 shown]
	v_mov_b32_e32 v31, v11
	s_barrier
	s_branch .LBB237_4
.LBB237_3:                              ;   in Loop: Header=BB237_4 Depth=2
	s_andn2_b64 vcc, exec, s[38:39]
	s_cbranch_vccz .LBB237_1
.LBB237_4:                              ;   Parent Loop BB237_2 Depth=1
                                        ; =>  This Inner Loop Header: Depth=2
	v_mov_b32_e32 v34, v1
	v_lshrrev_b32_e32 v1, v31, v34
	v_mov_b32_e32 v33, v2
	v_and_b32_e32 v2, 1, v1
	v_mov_b32_e32 v30, v4
	v_add_co_u32_e32 v4, vcc, -1, v2
	v_mov_b32_e32 v15, v12
	v_mov_b32_e32 v29, v5
	v_addc_co_u32_e64 v5, s[38:39], 0, -1, vcc
	v_cmp_ne_u32_e32 vcc, 0, v2
	v_lshlrev_b32_e32 v12, 30, v1
	v_xor_b32_e32 v2, vcc_hi, v5
	v_xor_b32_e32 v4, vcc_lo, v4
	v_cmp_gt_i64_e32 vcc, 0, v[11:12]
	v_not_b32_e32 v5, v12
	v_ashrrev_i32_e32 v5, 31, v5
	v_mov_b32_e32 v28, v6
	v_and_b32_e32 v4, exec_lo, v4
	v_xor_b32_e32 v6, vcc_hi, v5
	v_xor_b32_e32 v5, vcc_lo, v5
	v_lshlrev_b32_e32 v12, 29, v1
	v_and_b32_e32 v4, v4, v5
	v_cmp_gt_i64_e32 vcc, 0, v[11:12]
	v_not_b32_e32 v5, v12
	v_and_b32_e32 v2, exec_hi, v2
	v_ashrrev_i32_e32 v5, 31, v5
	v_and_b32_e32 v2, v2, v6
	v_xor_b32_e32 v6, vcc_hi, v5
	v_xor_b32_e32 v5, vcc_lo, v5
	v_lshlrev_b32_e32 v12, 28, v1
	v_and_b32_e32 v4, v4, v5
	v_cmp_gt_i64_e32 vcc, 0, v[11:12]
	v_not_b32_e32 v5, v12
	v_ashrrev_i32_e32 v5, 31, v5
	v_and_b32_e32 v2, v2, v6
	v_xor_b32_e32 v6, vcc_hi, v5
	v_xor_b32_e32 v5, vcc_lo, v5
	v_lshlrev_b32_e32 v12, 27, v1
	v_and_b32_e32 v4, v4, v5
	v_cmp_gt_i64_e32 vcc, 0, v[11:12]
	v_not_b32_e32 v5, v12
	;; [unrolled: 8-line block ×4, first 2 shown]
	v_ashrrev_i32_e32 v5, 31, v5
	v_lshlrev_b32_e32 v12, 24, v1
	v_mov_b32_e32 v32, v3
	v_lshlrev_b32_sdwa v3, v17, v1 dst_sel:DWORD dst_unused:UNUSED_PAD src0_sel:DWORD src1_sel:BYTE_0
	v_and_b32_e32 v2, v2, v6
	v_xor_b32_e32 v6, vcc_hi, v5
	v_xor_b32_e32 v5, vcc_lo, v5
	v_cmp_gt_i64_e32 vcc, 0, v[11:12]
	v_not_b32_e32 v1, v12
	v_ashrrev_i32_e32 v1, 31, v1
	v_and_b32_e32 v4, v4, v5
	v_xor_b32_e32 v5, vcc_hi, v1
	v_xor_b32_e32 v1, vcc_lo, v1
	v_and_b32_e32 v2, v2, v6
	v_and_b32_e32 v1, v4, v1
	;; [unrolled: 1-line block ×3, first 2 shown]
	v_mbcnt_lo_u32_b32 v4, v1, 0
	v_mbcnt_hi_u32_b32 v5, v2, v4
	v_cmp_ne_u64_e32 vcc, 0, v[1:2]
	v_cmp_eq_u32_e64 s[38:39], 0, v5
	v_mov_b32_e32 v14, v13
	s_and_b64 s[40:41], vcc, s[38:39]
	v_add_u32_e32 v6, v27, v3
	ds_write2_b64 v16, v[9:10], v[7:8] offset0:4 offset1:5
	s_waitcnt lgkmcnt(0)
	s_barrier
	; wave barrier
	s_and_saveexec_b64 s[38:39], s[40:41]
; %bb.5:                                ;   in Loop: Header=BB237_4 Depth=2
	v_bcnt_u32_b32 v1, v1, 0
	v_bcnt_u32_b32 v1, v2, v1
	ds_write_b32 v6, v1 offset:32
; %bb.6:                                ;   in Loop: Header=BB237_4 Depth=2
	s_or_b64 exec, exec, s[38:39]
	v_lshrrev_b32_e32 v1, v31, v33
	v_lshlrev_b32_sdwa v2, v17, v1 dst_sel:DWORD dst_unused:UNUSED_PAD src0_sel:DWORD src1_sel:BYTE_0
	v_add_u32_e32 v35, v27, v2
	v_and_b32_e32 v2, 1, v1
	v_add_co_u32_e32 v3, vcc, -1, v2
	v_addc_co_u32_e64 v4, s[38:39], 0, -1, vcc
	v_cmp_ne_u32_e32 vcc, 0, v2
	v_lshlrev_b32_e32 v12, 30, v1
	v_xor_b32_e32 v2, vcc_hi, v4
	v_xor_b32_e32 v3, vcc_lo, v3
	v_cmp_gt_i64_e32 vcc, 0, v[11:12]
	v_not_b32_e32 v4, v12
	v_ashrrev_i32_e32 v4, 31, v4
	v_and_b32_e32 v2, exec_hi, v2
	v_xor_b32_e32 v12, vcc_hi, v4
	v_and_b32_e32 v3, exec_lo, v3
	v_xor_b32_e32 v4, vcc_lo, v4
	v_and_b32_e32 v2, v2, v12
	v_lshlrev_b32_e32 v12, 29, v1
	v_and_b32_e32 v3, v3, v4
	v_cmp_gt_i64_e32 vcc, 0, v[11:12]
	v_not_b32_e32 v4, v12
	v_ashrrev_i32_e32 v4, 31, v4
	v_xor_b32_e32 v12, vcc_hi, v4
	v_xor_b32_e32 v4, vcc_lo, v4
	v_and_b32_e32 v2, v2, v12
	v_lshlrev_b32_e32 v12, 28, v1
	v_and_b32_e32 v3, v3, v4
	v_cmp_gt_i64_e32 vcc, 0, v[11:12]
	v_not_b32_e32 v4, v12
	v_ashrrev_i32_e32 v4, 31, v4
	v_xor_b32_e32 v12, vcc_hi, v4
	v_xor_b32_e32 v4, vcc_lo, v4
	v_and_b32_e32 v2, v2, v12
	v_lshlrev_b32_e32 v12, 27, v1
	v_and_b32_e32 v3, v3, v4
	v_cmp_gt_i64_e32 vcc, 0, v[11:12]
	v_not_b32_e32 v4, v12
	v_ashrrev_i32_e32 v4, 31, v4
	v_xor_b32_e32 v12, vcc_hi, v4
	v_xor_b32_e32 v4, vcc_lo, v4
	v_and_b32_e32 v2, v2, v12
	v_lshlrev_b32_e32 v12, 26, v1
	v_and_b32_e32 v3, v3, v4
	v_cmp_gt_i64_e32 vcc, 0, v[11:12]
	v_not_b32_e32 v4, v12
	v_ashrrev_i32_e32 v4, 31, v4
	v_xor_b32_e32 v12, vcc_hi, v4
	v_xor_b32_e32 v4, vcc_lo, v4
	v_and_b32_e32 v2, v2, v12
	v_lshlrev_b32_e32 v12, 25, v1
	v_and_b32_e32 v3, v3, v4
	v_cmp_gt_i64_e32 vcc, 0, v[11:12]
	v_not_b32_e32 v4, v12
	v_ashrrev_i32_e32 v4, 31, v4
	v_xor_b32_e32 v12, vcc_hi, v4
	v_and_b32_e32 v2, v2, v12
	v_lshlrev_b32_e32 v12, 24, v1
	v_xor_b32_e32 v4, vcc_lo, v4
	v_cmp_gt_i64_e32 vcc, 0, v[11:12]
	v_not_b32_e32 v1, v12
	v_ashrrev_i32_e32 v1, 31, v1
	v_and_b32_e32 v3, v3, v4
	v_xor_b32_e32 v4, vcc_hi, v1
	v_xor_b32_e32 v1, vcc_lo, v1
	; wave barrier
	ds_read_b32 v13, v35 offset:32
	v_and_b32_e32 v1, v3, v1
	v_and_b32_e32 v2, v2, v4
	v_mbcnt_lo_u32_b32 v3, v1, 0
	v_mbcnt_hi_u32_b32 v36, v2, v3
	v_cmp_ne_u64_e32 vcc, 0, v[1:2]
	v_cmp_eq_u32_e64 s[38:39], 0, v36
	s_and_b64 s[40:41], vcc, s[38:39]
	; wave barrier
	s_and_saveexec_b64 s[38:39], s[40:41]
	s_cbranch_execz .LBB237_8
; %bb.7:                                ;   in Loop: Header=BB237_4 Depth=2
	v_bcnt_u32_b32 v1, v1, 0
	v_bcnt_u32_b32 v1, v2, v1
	s_waitcnt lgkmcnt(0)
	v_add_u32_e32 v1, v13, v1
	ds_write_b32 v35, v1 offset:32
.LBB237_8:                              ;   in Loop: Header=BB237_4 Depth=2
	s_or_b64 exec, exec, s[38:39]
	v_lshrrev_b32_e32 v1, v31, v32
	v_lshlrev_b32_sdwa v2, v17, v1 dst_sel:DWORD dst_unused:UNUSED_PAD src0_sel:DWORD src1_sel:BYTE_0
	v_add_u32_e32 v38, v27, v2
	v_and_b32_e32 v2, 1, v1
	v_add_co_u32_e32 v3, vcc, -1, v2
	v_addc_co_u32_e64 v4, s[38:39], 0, -1, vcc
	v_cmp_ne_u32_e32 vcc, 0, v2
	v_lshlrev_b32_e32 v12, 30, v1
	v_xor_b32_e32 v2, vcc_hi, v4
	v_xor_b32_e32 v3, vcc_lo, v3
	v_cmp_gt_i64_e32 vcc, 0, v[11:12]
	v_not_b32_e32 v4, v12
	v_ashrrev_i32_e32 v4, 31, v4
	v_and_b32_e32 v2, exec_hi, v2
	v_xor_b32_e32 v12, vcc_hi, v4
	v_and_b32_e32 v3, exec_lo, v3
	v_xor_b32_e32 v4, vcc_lo, v4
	v_and_b32_e32 v2, v2, v12
	v_lshlrev_b32_e32 v12, 29, v1
	v_and_b32_e32 v3, v3, v4
	v_cmp_gt_i64_e32 vcc, 0, v[11:12]
	v_not_b32_e32 v4, v12
	v_ashrrev_i32_e32 v4, 31, v4
	v_xor_b32_e32 v12, vcc_hi, v4
	v_xor_b32_e32 v4, vcc_lo, v4
	v_and_b32_e32 v2, v2, v12
	v_lshlrev_b32_e32 v12, 28, v1
	v_and_b32_e32 v3, v3, v4
	v_cmp_gt_i64_e32 vcc, 0, v[11:12]
	v_not_b32_e32 v4, v12
	v_ashrrev_i32_e32 v4, 31, v4
	v_xor_b32_e32 v12, vcc_hi, v4
	;; [unrolled: 8-line block ×5, first 2 shown]
	v_and_b32_e32 v2, v2, v12
	v_lshlrev_b32_e32 v12, 24, v1
	v_xor_b32_e32 v4, vcc_lo, v4
	v_cmp_gt_i64_e32 vcc, 0, v[11:12]
	v_not_b32_e32 v1, v12
	v_ashrrev_i32_e32 v1, 31, v1
	v_and_b32_e32 v3, v3, v4
	v_xor_b32_e32 v4, vcc_hi, v1
	v_xor_b32_e32 v1, vcc_lo, v1
	; wave barrier
	ds_read_b32 v37, v38 offset:32
	v_and_b32_e32 v1, v3, v1
	v_and_b32_e32 v2, v2, v4
	v_mbcnt_lo_u32_b32 v3, v1, 0
	v_mbcnt_hi_u32_b32 v39, v2, v3
	v_cmp_ne_u64_e32 vcc, 0, v[1:2]
	v_cmp_eq_u32_e64 s[38:39], 0, v39
	s_and_b64 s[40:41], vcc, s[38:39]
	; wave barrier
	s_and_saveexec_b64 s[38:39], s[40:41]
	s_cbranch_execz .LBB237_10
; %bb.9:                                ;   in Loop: Header=BB237_4 Depth=2
	v_bcnt_u32_b32 v1, v1, 0
	v_bcnt_u32_b32 v1, v2, v1
	s_waitcnt lgkmcnt(0)
	v_add_u32_e32 v1, v37, v1
	ds_write_b32 v38, v1 offset:32
.LBB237_10:                             ;   in Loop: Header=BB237_4 Depth=2
	s_or_b64 exec, exec, s[38:39]
	v_lshrrev_b32_e32 v1, v31, v30
	v_lshlrev_b32_sdwa v2, v17, v1 dst_sel:DWORD dst_unused:UNUSED_PAD src0_sel:DWORD src1_sel:BYTE_0
	v_add_u32_e32 v41, v27, v2
	v_and_b32_e32 v2, 1, v1
	v_add_co_u32_e32 v3, vcc, -1, v2
	v_addc_co_u32_e64 v4, s[38:39], 0, -1, vcc
	v_cmp_ne_u32_e32 vcc, 0, v2
	v_lshlrev_b32_e32 v12, 30, v1
	v_xor_b32_e32 v2, vcc_hi, v4
	v_xor_b32_e32 v3, vcc_lo, v3
	v_cmp_gt_i64_e32 vcc, 0, v[11:12]
	v_not_b32_e32 v4, v12
	v_ashrrev_i32_e32 v4, 31, v4
	v_and_b32_e32 v2, exec_hi, v2
	v_xor_b32_e32 v12, vcc_hi, v4
	v_and_b32_e32 v3, exec_lo, v3
	v_xor_b32_e32 v4, vcc_lo, v4
	v_and_b32_e32 v2, v2, v12
	v_lshlrev_b32_e32 v12, 29, v1
	v_and_b32_e32 v3, v3, v4
	v_cmp_gt_i64_e32 vcc, 0, v[11:12]
	v_not_b32_e32 v4, v12
	v_ashrrev_i32_e32 v4, 31, v4
	v_xor_b32_e32 v12, vcc_hi, v4
	v_xor_b32_e32 v4, vcc_lo, v4
	v_and_b32_e32 v2, v2, v12
	v_lshlrev_b32_e32 v12, 28, v1
	v_and_b32_e32 v3, v3, v4
	v_cmp_gt_i64_e32 vcc, 0, v[11:12]
	v_not_b32_e32 v4, v12
	v_ashrrev_i32_e32 v4, 31, v4
	v_xor_b32_e32 v12, vcc_hi, v4
	;; [unrolled: 8-line block ×5, first 2 shown]
	v_and_b32_e32 v2, v2, v12
	v_lshlrev_b32_e32 v12, 24, v1
	v_xor_b32_e32 v4, vcc_lo, v4
	v_cmp_gt_i64_e32 vcc, 0, v[11:12]
	v_not_b32_e32 v1, v12
	v_ashrrev_i32_e32 v1, 31, v1
	v_and_b32_e32 v3, v3, v4
	v_xor_b32_e32 v4, vcc_hi, v1
	v_xor_b32_e32 v1, vcc_lo, v1
	; wave barrier
	ds_read_b32 v40, v41 offset:32
	v_and_b32_e32 v1, v3, v1
	v_and_b32_e32 v2, v2, v4
	v_mbcnt_lo_u32_b32 v3, v1, 0
	v_mbcnt_hi_u32_b32 v12, v2, v3
	v_cmp_ne_u64_e32 vcc, 0, v[1:2]
	v_cmp_eq_u32_e64 s[38:39], 0, v12
	s_and_b64 s[40:41], vcc, s[38:39]
	; wave barrier
	s_and_saveexec_b64 s[38:39], s[40:41]
	s_cbranch_execz .LBB237_12
; %bb.11:                               ;   in Loop: Header=BB237_4 Depth=2
	v_bcnt_u32_b32 v1, v1, 0
	v_bcnt_u32_b32 v1, v2, v1
	s_waitcnt lgkmcnt(0)
	v_add_u32_e32 v1, v40, v1
	ds_write_b32 v41, v1 offset:32
.LBB237_12:                             ;   in Loop: Header=BB237_4 Depth=2
	s_or_b64 exec, exec, s[38:39]
	; wave barrier
	s_waitcnt lgkmcnt(0)
	s_barrier
	ds_read2_b64 v[1:4], v16 offset0:4 offset1:5
	s_waitcnt lgkmcnt(0)
	v_add_u32_e32 v42, v2, v1
	v_add3_u32 v4, v42, v3, v4
	s_nop 1
	v_mov_b32_dpp v42, v4 row_shr:1 row_mask:0xf bank_mask:0xf
	v_cndmask_b32_e64 v42, v42, 0, s[20:21]
	v_add_u32_e32 v4, v42, v4
	s_nop 1
	v_mov_b32_dpp v42, v4 row_shr:2 row_mask:0xf bank_mask:0xf
	v_cndmask_b32_e64 v42, 0, v42, s[22:23]
	v_add_u32_e32 v4, v4, v42
	;; [unrolled: 4-line block ×4, first 2 shown]
	s_nop 1
	v_mov_b32_dpp v42, v4 row_bcast:15 row_mask:0xf bank_mask:0xf
	v_cndmask_b32_e64 v42, v42, 0, s[28:29]
	v_add_u32_e32 v4, v4, v42
	s_nop 1
	v_mov_b32_dpp v42, v4 row_bcast:31 row_mask:0xf bank_mask:0xf
	v_cndmask_b32_e64 v42, 0, v42, s[6:7]
	v_add_u32_e32 v4, v4, v42
	s_and_saveexec_b64 s[38:39], s[8:9]
; %bb.13:                               ;   in Loop: Header=BB237_4 Depth=2
	ds_write_b32 v19, v4
; %bb.14:                               ;   in Loop: Header=BB237_4 Depth=2
	s_or_b64 exec, exec, s[38:39]
	s_waitcnt lgkmcnt(0)
	s_barrier
	s_and_saveexec_b64 s[38:39], s[0:1]
	s_cbranch_execz .LBB237_16
; %bb.15:                               ;   in Loop: Header=BB237_4 Depth=2
	v_add_u32_e32 v42, v16, v18
	ds_read_b32 v43, v42
	s_waitcnt lgkmcnt(0)
	s_nop 0
	v_mov_b32_dpp v44, v43 row_shr:1 row_mask:0xf bank_mask:0xf
	v_cndmask_b32_e64 v44, v44, 0, s[30:31]
	v_add_u32_e32 v43, v44, v43
	s_nop 1
	v_mov_b32_dpp v44, v43 row_shr:2 row_mask:0xf bank_mask:0xf
	v_cndmask_b32_e64 v44, 0, v44, s[34:35]
	v_add_u32_e32 v43, v43, v44
	;; [unrolled: 4-line block ×3, first 2 shown]
	ds_write_b32 v42, v43
.LBB237_16:                             ;   in Loop: Header=BB237_4 Depth=2
	s_or_b64 exec, exec, s[38:39]
	v_mov_b32_e32 v42, 0
	s_waitcnt lgkmcnt(0)
	s_barrier
	s_and_saveexec_b64 s[38:39], s[2:3]
; %bb.17:                               ;   in Loop: Header=BB237_4 Depth=2
	ds_read_b32 v42, v20
; %bb.18:                               ;   in Loop: Header=BB237_4 Depth=2
	s_or_b64 exec, exec, s[38:39]
	s_waitcnt lgkmcnt(0)
	v_add_u32_e32 v4, v42, v4
	ds_bpermute_b32 v4, v23, v4
	v_cmp_lt_u32_e32 vcc, 23, v31
	s_and_b64 vcc, exec, vcc
	s_mov_b64 s[38:39], -1
	s_waitcnt lgkmcnt(0)
	v_cndmask_b32_e64 v4, v4, v42, s[10:11]
	v_cndmask_b32_e64 v42, v4, 0, s[4:5]
	v_add_u32_e32 v43, v42, v1
	v_add_u32_e32 v1, v43, v2
	;; [unrolled: 1-line block ×3, first 2 shown]
	ds_write2_b64 v16, v[42:43], v[1:2] offset0:4 offset1:5
	s_waitcnt lgkmcnt(0)
	s_barrier
	ds_read_b32 v1, v6 offset:32
	ds_read_b32 v2, v35 offset:32
	;; [unrolled: 1-line block ×4, first 2 shown]
	s_waitcnt lgkmcnt(3)
	v_add_u32_e32 v41, v1, v5
	s_waitcnt lgkmcnt(2)
	v_add3_u32 v38, v36, v13, v2
	s_waitcnt lgkmcnt(1)
	v_add3_u32 v36, v39, v37, v3
	;; [unrolled: 2-line block ×3, first 2 shown]
                                        ; implicit-def: $vgpr4
                                        ; implicit-def: $vgpr2
                                        ; implicit-def: $vgpr13
                                        ; implicit-def: $vgpr6
	s_cbranch_vccnz .LBB237_3
; %bb.19:                               ;   in Loop: Header=BB237_4 Depth=2
	v_lshlrev_b32_e32 v5, 2, v41
	v_lshlrev_b32_e32 v6, 2, v38
	;; [unrolled: 1-line block ×4, first 2 shown]
	s_barrier
	ds_write_b32 v5, v34
	ds_write_b32 v6, v33
	;; [unrolled: 1-line block ×4, first 2 shown]
	s_waitcnt lgkmcnt(0)
	s_barrier
	ds_read2st64_b32 v[1:2], v21 offset1:1
	ds_read2st64_b32 v[3:4], v21 offset0:2 offset1:3
	s_waitcnt lgkmcnt(0)
	s_barrier
	ds_write_b32 v5, v29
	ds_write_b32 v6, v28
	;; [unrolled: 1-line block ×4, first 2 shown]
	s_waitcnt lgkmcnt(0)
	s_barrier
	ds_read2st64_b32 v[5:6], v21 offset1:1
	ds_read2st64_b32 v[12:13], v21 offset0:2 offset1:3
	v_add_u32_e32 v31, 8, v31
	s_mov_b64 s[38:39], 0
	s_waitcnt lgkmcnt(0)
	s_barrier
	s_branch .LBB237_3
.LBB237_20:
	s_add_u32 s0, s42, s44
	s_addc_u32 s1, s43, s45
	v_lshlrev_b32_e32 v0, 2, v0
	s_waitcnt lgkmcnt(1)
	v_add_u32_e32 v1, v3, v14
	v_add_u32_e32 v2, v4, v15
	s_waitcnt lgkmcnt(0)
	v_add_u32_e32 v3, v5, v12
	v_add_u32_e32 v4, v6, v13
	v_mov_b32_e32 v5, s1
	v_add_co_u32_e32 v6, vcc, s0, v0
	v_addc_co_u32_e32 v5, vcc, 0, v5, vcc
	global_store_dword v0, v1, s[0:1]
	global_store_dword v0, v2, s[0:1] offset:2048
	v_add_co_u32_e32 v0, vcc, 0x1000, v6
	v_addc_co_u32_e32 v1, vcc, 0, v5, vcc
	global_store_dword v[0:1], v3, off
	global_store_dword v[0:1], v4, off offset:2048
	s_endpgm
	.section	.rodata,"a",@progbits
	.p2align	6, 0x0
	.amdhsa_kernel _Z17sort_pairs_kernelI22helper_blocked_stripediLj512ELj4ELj10EEvPKT0_PS1_
		.amdhsa_group_segment_fixed_size 8224
		.amdhsa_private_segment_fixed_size 0
		.amdhsa_kernarg_size 272
		.amdhsa_user_sgpr_count 6
		.amdhsa_user_sgpr_private_segment_buffer 1
		.amdhsa_user_sgpr_dispatch_ptr 0
		.amdhsa_user_sgpr_queue_ptr 0
		.amdhsa_user_sgpr_kernarg_segment_ptr 1
		.amdhsa_user_sgpr_dispatch_id 0
		.amdhsa_user_sgpr_flat_scratch_init 0
		.amdhsa_user_sgpr_private_segment_size 0
		.amdhsa_uses_dynamic_stack 0
		.amdhsa_system_sgpr_private_segment_wavefront_offset 0
		.amdhsa_system_sgpr_workgroup_id_x 1
		.amdhsa_system_sgpr_workgroup_id_y 0
		.amdhsa_system_sgpr_workgroup_id_z 0
		.amdhsa_system_sgpr_workgroup_info 0
		.amdhsa_system_vgpr_workitem_id 2
		.amdhsa_next_free_vgpr 45
		.amdhsa_next_free_sgpr 48
		.amdhsa_reserve_vcc 1
		.amdhsa_reserve_flat_scratch 0
		.amdhsa_float_round_mode_32 0
		.amdhsa_float_round_mode_16_64 0
		.amdhsa_float_denorm_mode_32 3
		.amdhsa_float_denorm_mode_16_64 3
		.amdhsa_dx10_clamp 1
		.amdhsa_ieee_mode 1
		.amdhsa_fp16_overflow 0
		.amdhsa_exception_fp_ieee_invalid_op 0
		.amdhsa_exception_fp_denorm_src 0
		.amdhsa_exception_fp_ieee_div_zero 0
		.amdhsa_exception_fp_ieee_overflow 0
		.amdhsa_exception_fp_ieee_underflow 0
		.amdhsa_exception_fp_ieee_inexact 0
		.amdhsa_exception_int_div_zero 0
	.end_amdhsa_kernel
	.section	.text._Z17sort_pairs_kernelI22helper_blocked_stripediLj512ELj4ELj10EEvPKT0_PS1_,"axG",@progbits,_Z17sort_pairs_kernelI22helper_blocked_stripediLj512ELj4ELj10EEvPKT0_PS1_,comdat
.Lfunc_end237:
	.size	_Z17sort_pairs_kernelI22helper_blocked_stripediLj512ELj4ELj10EEvPKT0_PS1_, .Lfunc_end237-_Z17sort_pairs_kernelI22helper_blocked_stripediLj512ELj4ELj10EEvPKT0_PS1_
                                        ; -- End function
	.set _Z17sort_pairs_kernelI22helper_blocked_stripediLj512ELj4ELj10EEvPKT0_PS1_.num_vgpr, 45
	.set _Z17sort_pairs_kernelI22helper_blocked_stripediLj512ELj4ELj10EEvPKT0_PS1_.num_agpr, 0
	.set _Z17sort_pairs_kernelI22helper_blocked_stripediLj512ELj4ELj10EEvPKT0_PS1_.numbered_sgpr, 48
	.set _Z17sort_pairs_kernelI22helper_blocked_stripediLj512ELj4ELj10EEvPKT0_PS1_.num_named_barrier, 0
	.set _Z17sort_pairs_kernelI22helper_blocked_stripediLj512ELj4ELj10EEvPKT0_PS1_.private_seg_size, 0
	.set _Z17sort_pairs_kernelI22helper_blocked_stripediLj512ELj4ELj10EEvPKT0_PS1_.uses_vcc, 1
	.set _Z17sort_pairs_kernelI22helper_blocked_stripediLj512ELj4ELj10EEvPKT0_PS1_.uses_flat_scratch, 0
	.set _Z17sort_pairs_kernelI22helper_blocked_stripediLj512ELj4ELj10EEvPKT0_PS1_.has_dyn_sized_stack, 0
	.set _Z17sort_pairs_kernelI22helper_blocked_stripediLj512ELj4ELj10EEvPKT0_PS1_.has_recursion, 0
	.set _Z17sort_pairs_kernelI22helper_blocked_stripediLj512ELj4ELj10EEvPKT0_PS1_.has_indirect_call, 0
	.section	.AMDGPU.csdata,"",@progbits
; Kernel info:
; codeLenInByte = 3500
; TotalNumSgprs: 52
; NumVgprs: 45
; ScratchSize: 0
; MemoryBound: 0
; FloatMode: 240
; IeeeMode: 1
; LDSByteSize: 8224 bytes/workgroup (compile time only)
; SGPRBlocks: 6
; VGPRBlocks: 11
; NumSGPRsForWavesPerEU: 52
; NumVGPRsForWavesPerEU: 45
; Occupancy: 5
; WaveLimiterHint : 1
; COMPUTE_PGM_RSRC2:SCRATCH_EN: 0
; COMPUTE_PGM_RSRC2:USER_SGPR: 6
; COMPUTE_PGM_RSRC2:TRAP_HANDLER: 0
; COMPUTE_PGM_RSRC2:TGID_X_EN: 1
; COMPUTE_PGM_RSRC2:TGID_Y_EN: 0
; COMPUTE_PGM_RSRC2:TGID_Z_EN: 0
; COMPUTE_PGM_RSRC2:TIDIG_COMP_CNT: 2
	.section	.text._Z16sort_keys_kernelI22helper_blocked_stripediLj512ELj8ELj10EEvPKT0_PS1_,"axG",@progbits,_Z16sort_keys_kernelI22helper_blocked_stripediLj512ELj8ELj10EEvPKT0_PS1_,comdat
	.protected	_Z16sort_keys_kernelI22helper_blocked_stripediLj512ELj8ELj10EEvPKT0_PS1_ ; -- Begin function _Z16sort_keys_kernelI22helper_blocked_stripediLj512ELj8ELj10EEvPKT0_PS1_
	.globl	_Z16sort_keys_kernelI22helper_blocked_stripediLj512ELj8ELj10EEvPKT0_PS1_
	.p2align	8
	.type	_Z16sort_keys_kernelI22helper_blocked_stripediLj512ELj8ELj10EEvPKT0_PS1_,@function
_Z16sort_keys_kernelI22helper_blocked_stripediLj512ELj8ELj10EEvPKT0_PS1_: ; @_Z16sort_keys_kernelI22helper_blocked_stripediLj512ELj8ELj10EEvPKT0_PS1_
; %bb.0:
	s_load_dwordx4 s[28:31], s[4:5], 0x0
	s_load_dword s2, s[4:5], 0x1c
	s_lshl_b32 s34, s6, 12
	s_mov_b32 s35, 0
	s_lshl_b64 s[36:37], s[34:35], 2
	s_waitcnt lgkmcnt(0)
	s_add_u32 s0, s28, s36
	s_addc_u32 s1, s29, s37
	v_lshlrev_b32_e32 v11, 5, v0
	global_load_dwordx4 v[7:10], v11, s[0:1]
	global_load_dwordx4 v[3:6], v11, s[0:1] offset:16
	s_lshr_b32 s0, s2, 16
	v_mbcnt_lo_u32_b32 v12, -1, 0
	s_and_b32 s1, s2, 0xffff
	v_mad_u32_u24 v1, v2, s0, v1
	v_mbcnt_hi_u32_b32 v12, -1, v12
	v_mad_u64_u32 v[1:2], s[0:1], v1, s1, v[0:1]
	v_and_b32_e32 v2, 15, v12
	v_and_b32_e32 v13, 0x1c0, v0
	v_cmp_eq_u32_e64 s[0:1], 0, v2
	v_cmp_lt_u32_e64 s[2:3], 1, v2
	v_cmp_lt_u32_e64 s[4:5], 3, v2
	;; [unrolled: 1-line block ×3, first 2 shown]
	v_and_b32_e32 v2, 16, v12
	v_and_b32_e32 v11, 0x3800, v11
	v_cmp_eq_u32_e64 s[8:9], 0, v2
	v_or_b32_e32 v2, 63, v13
	v_lshl_or_b32 v18, v12, 2, v11
	v_cmp_eq_u32_e64 s[12:13], v0, v2
	v_subrev_co_u32_e64 v2, s[18:19], 1, v12
	v_and_b32_e32 v11, 64, v12
	v_cmp_lt_i32_e32 vcc, v2, v11
	v_cndmask_b32_e32 v2, v2, v12, vcc
	v_lshlrev_b32_e32 v20, 2, v2
	v_lshrrev_b32_e32 v2, 4, v0
	s_mov_b32 s34, s35
	s_mov_b32 s28, s35
	v_add_lshl_u32 v17, v12, v13, 5
	v_cmp_lt_u32_e64 s[10:11], 31, v12
	v_and_b32_e32 v21, 28, v2
	v_and_b32_e32 v2, 7, v12
	v_lshrrev_b32_e32 v1, 4, v1
	s_mov_b32 s29, s35
	v_mov_b32_e32 v11, s34
	v_mov_b32_e32 v13, s28
	v_lshlrev_b32_e32 v19, 4, v0
	v_cmp_gt_u32_e64 s[14:15], 8, v0
	v_cmp_lt_u32_e64 s[16:17], 63, v0
	v_cmp_eq_u32_e64 s[20:21], 0, v0
	v_mul_i32_i24_e32 v22, -12, v0
	v_cmp_eq_u32_e64 s[22:23], 0, v2
	v_cmp_lt_u32_e64 s[24:25], 1, v2
	v_cmp_lt_u32_e64 s[26:27], 3, v2
	v_add_u32_e32 v23, -4, v21
	v_and_b32_e32 v24, 0xffffffc, v1
	v_mov_b32_e32 v12, s35
	v_mov_b32_e32 v14, s29
	;; [unrolled: 1-line block ×4, first 2 shown]
	s_branch .LBB238_2
.LBB238_1:                              ;   in Loop: Header=BB238_2 Depth=1
	v_lshlrev_b32_e32 v1, 2, v44
	s_barrier
	ds_write_b32 v1, v32
	v_lshlrev_b32_e32 v1, 2, v41
	ds_write_b32 v1, v31
	v_lshlrev_b32_e32 v1, 2, v38
	;; [unrolled: 2-line block ×7, first 2 shown]
	v_add_u32_e32 v7, v19, v22
	ds_write_b32 v1, v9
	s_waitcnt lgkmcnt(0)
	s_barrier
	ds_read2st64_b32 v[1:2], v7 offset1:8
	ds_read2st64_b32 v[3:4], v7 offset0:16 offset1:24
	ds_read2st64_b32 v[5:6], v7 offset0:32 offset1:40
	;; [unrolled: 1-line block ×3, first 2 shown]
	s_add_i32 s35, s35, 1
	s_waitcnt lgkmcnt(3)
	v_xor_b32_e32 v7, 0x80000000, v1
	v_xor_b32_e32 v8, 0x80000000, v2
	s_waitcnt lgkmcnt(2)
	v_xor_b32_e32 v9, 0x80000000, v3
	v_xor_b32_e32 v10, 0x80000000, v4
	;; [unrolled: 3-line block ×3, first 2 shown]
	s_waitcnt lgkmcnt(0)
	v_xor_b32_e32 v5, 0x80000000, v26
	s_cmp_eq_u32 s35, 10
	v_xor_b32_e32 v6, 0x80000000, v27
	s_cbranch_scc1 .LBB238_28
.LBB238_2:                              ; =>This Loop Header: Depth=1
                                        ;     Child Loop BB238_4 Depth 2
	s_waitcnt vmcnt(1)
	v_xor_b32_e32 v1, 0x80000000, v7
	v_xor_b32_e32 v2, 0x80000000, v8
	;; [unrolled: 1-line block ×4, first 2 shown]
	s_waitcnt vmcnt(0)
	v_xor_b32_e32 v3, 0x80000000, v3
	v_xor_b32_e32 v4, 0x80000000, v4
	;; [unrolled: 1-line block ×4, first 2 shown]
	ds_write2_b64 v17, v[1:2], v[7:8] offset1:1
	ds_write2_b64 v17, v[3:4], v[5:6] offset0:2 offset1:3
	; wave barrier
	ds_read2st64_b32 v[1:2], v18 offset1:1
	ds_read2st64_b32 v[3:4], v18 offset0:2 offset1:3
	ds_read2st64_b32 v[5:6], v18 offset0:4 offset1:5
	;; [unrolled: 1-line block ×3, first 2 shown]
	v_mov_b32_e32 v28, v15
	s_waitcnt lgkmcnt(0)
	s_barrier
	; wave barrier
	s_barrier
	s_branch .LBB238_4
.LBB238_3:                              ;   in Loop: Header=BB238_4 Depth=2
	s_andn2_b64 vcc, exec, s[28:29]
	s_cbranch_vccz .LBB238_1
.LBB238_4:                              ;   Parent Loop BB238_2 Depth=1
                                        ; =>  This Inner Loop Header: Depth=2
	v_mov_b32_e32 v32, v1
	v_lshrrev_b32_e32 v1, v28, v32
	v_mov_b32_e32 v31, v2
	v_and_b32_e32 v2, 1, v1
	v_mov_b32_e32 v29, v4
	v_add_co_u32_e32 v4, vcc, -1, v2
	v_mov_b32_e32 v27, v5
	v_addc_co_u32_e64 v5, s[28:29], 0, -1, vcc
	v_cmp_ne_u32_e32 vcc, 0, v2
	v_lshlrev_b32_e32 v16, 30, v1
	v_xor_b32_e32 v2, vcc_hi, v5
	v_xor_b32_e32 v4, vcc_lo, v4
	v_cmp_gt_i64_e32 vcc, 0, v[15:16]
	v_not_b32_e32 v5, v16
	v_ashrrev_i32_e32 v5, 31, v5
	v_mov_b32_e32 v26, v6
	v_and_b32_e32 v4, exec_lo, v4
	v_xor_b32_e32 v6, vcc_hi, v5
	v_xor_b32_e32 v5, vcc_lo, v5
	v_lshlrev_b32_e32 v16, 29, v1
	v_and_b32_e32 v4, v4, v5
	v_cmp_gt_i64_e32 vcc, 0, v[15:16]
	v_not_b32_e32 v5, v16
	v_and_b32_e32 v2, exec_hi, v2
	v_ashrrev_i32_e32 v5, 31, v5
	v_and_b32_e32 v2, v2, v6
	v_xor_b32_e32 v6, vcc_hi, v5
	v_xor_b32_e32 v5, vcc_lo, v5
	v_lshlrev_b32_e32 v16, 28, v1
	v_and_b32_e32 v4, v4, v5
	v_cmp_gt_i64_e32 vcc, 0, v[15:16]
	v_not_b32_e32 v5, v16
	v_ashrrev_i32_e32 v5, 31, v5
	v_and_b32_e32 v2, v2, v6
	v_xor_b32_e32 v6, vcc_hi, v5
	v_xor_b32_e32 v5, vcc_lo, v5
	v_lshlrev_b32_e32 v16, 27, v1
	v_and_b32_e32 v4, v4, v5
	v_cmp_gt_i64_e32 vcc, 0, v[15:16]
	v_not_b32_e32 v5, v16
	;; [unrolled: 8-line block ×4, first 2 shown]
	v_ashrrev_i32_e32 v5, 31, v5
	v_lshlrev_b32_e32 v16, 24, v1
	v_mov_b32_e32 v30, v3
	v_lshlrev_b32_sdwa v3, v25, v1 dst_sel:DWORD dst_unused:UNUSED_PAD src0_sel:DWORD src1_sel:BYTE_0
	v_and_b32_e32 v2, v2, v6
	v_xor_b32_e32 v6, vcc_hi, v5
	v_xor_b32_e32 v5, vcc_lo, v5
	v_cmp_gt_i64_e32 vcc, 0, v[15:16]
	v_not_b32_e32 v1, v16
	v_ashrrev_i32_e32 v1, 31, v1
	v_and_b32_e32 v4, v4, v5
	v_xor_b32_e32 v5, vcc_hi, v1
	v_xor_b32_e32 v1, vcc_lo, v1
	v_and_b32_e32 v2, v2, v6
	v_and_b32_e32 v1, v4, v1
	;; [unrolled: 1-line block ×3, first 2 shown]
	v_mbcnt_lo_u32_b32 v4, v1, 0
	v_mbcnt_hi_u32_b32 v5, v2, v4
	v_cmp_ne_u64_e32 vcc, 0, v[1:2]
	v_cmp_eq_u32_e64 s[28:29], 0, v5
	v_mov_b32_e32 v9, v8
	v_mov_b32_e32 v10, v7
	s_and_b64 s[38:39], vcc, s[28:29]
	v_add_u32_e32 v6, v24, v3
	ds_write2_b64 v19, v[11:12], v[13:14] offset0:4 offset1:5
	s_waitcnt lgkmcnt(0)
	s_barrier
	; wave barrier
	s_and_saveexec_b64 s[28:29], s[38:39]
; %bb.5:                                ;   in Loop: Header=BB238_4 Depth=2
	v_bcnt_u32_b32 v1, v1, 0
	v_bcnt_u32_b32 v1, v2, v1
	ds_write_b32 v6, v1 offset:32
; %bb.6:                                ;   in Loop: Header=BB238_4 Depth=2
	s_or_b64 exec, exec, s[28:29]
	v_lshrrev_b32_e32 v1, v28, v31
	v_lshlrev_b32_sdwa v2, v25, v1 dst_sel:DWORD dst_unused:UNUSED_PAD src0_sel:DWORD src1_sel:BYTE_0
	v_add_u32_e32 v8, v24, v2
	v_and_b32_e32 v2, 1, v1
	v_add_co_u32_e32 v3, vcc, -1, v2
	v_addc_co_u32_e64 v4, s[28:29], 0, -1, vcc
	v_cmp_ne_u32_e32 vcc, 0, v2
	v_lshlrev_b32_e32 v16, 30, v1
	v_xor_b32_e32 v2, vcc_hi, v4
	v_xor_b32_e32 v3, vcc_lo, v3
	v_cmp_gt_i64_e32 vcc, 0, v[15:16]
	v_not_b32_e32 v4, v16
	v_ashrrev_i32_e32 v4, 31, v4
	v_and_b32_e32 v2, exec_hi, v2
	v_xor_b32_e32 v16, vcc_hi, v4
	v_and_b32_e32 v3, exec_lo, v3
	v_xor_b32_e32 v4, vcc_lo, v4
	v_and_b32_e32 v2, v2, v16
	v_lshlrev_b32_e32 v16, 29, v1
	v_and_b32_e32 v3, v3, v4
	v_cmp_gt_i64_e32 vcc, 0, v[15:16]
	v_not_b32_e32 v4, v16
	v_ashrrev_i32_e32 v4, 31, v4
	v_xor_b32_e32 v16, vcc_hi, v4
	v_xor_b32_e32 v4, vcc_lo, v4
	v_and_b32_e32 v2, v2, v16
	v_lshlrev_b32_e32 v16, 28, v1
	v_and_b32_e32 v3, v3, v4
	v_cmp_gt_i64_e32 vcc, 0, v[15:16]
	v_not_b32_e32 v4, v16
	v_ashrrev_i32_e32 v4, 31, v4
	v_xor_b32_e32 v16, vcc_hi, v4
	;; [unrolled: 8-line block ×5, first 2 shown]
	v_and_b32_e32 v2, v2, v16
	v_lshlrev_b32_e32 v16, 24, v1
	v_xor_b32_e32 v4, vcc_lo, v4
	v_cmp_gt_i64_e32 vcc, 0, v[15:16]
	v_not_b32_e32 v1, v16
	v_ashrrev_i32_e32 v1, 31, v1
	v_and_b32_e32 v3, v3, v4
	v_xor_b32_e32 v4, vcc_hi, v1
	v_xor_b32_e32 v1, vcc_lo, v1
	; wave barrier
	ds_read_b32 v7, v8 offset:32
	v_and_b32_e32 v1, v3, v1
	v_and_b32_e32 v2, v2, v4
	v_mbcnt_lo_u32_b32 v3, v1, 0
	v_mbcnt_hi_u32_b32 v33, v2, v3
	v_cmp_ne_u64_e32 vcc, 0, v[1:2]
	v_cmp_eq_u32_e64 s[28:29], 0, v33
	s_and_b64 s[38:39], vcc, s[28:29]
	; wave barrier
	s_and_saveexec_b64 s[28:29], s[38:39]
	s_cbranch_execz .LBB238_8
; %bb.7:                                ;   in Loop: Header=BB238_4 Depth=2
	v_bcnt_u32_b32 v1, v1, 0
	v_bcnt_u32_b32 v1, v2, v1
	s_waitcnt lgkmcnt(0)
	v_add_u32_e32 v1, v7, v1
	ds_write_b32 v8, v1 offset:32
.LBB238_8:                              ;   in Loop: Header=BB238_4 Depth=2
	s_or_b64 exec, exec, s[28:29]
	v_lshrrev_b32_e32 v1, v28, v30
	v_lshlrev_b32_sdwa v2, v25, v1 dst_sel:DWORD dst_unused:UNUSED_PAD src0_sel:DWORD src1_sel:BYTE_0
	v_add_u32_e32 v35, v24, v2
	v_and_b32_e32 v2, 1, v1
	v_add_co_u32_e32 v3, vcc, -1, v2
	v_addc_co_u32_e64 v4, s[28:29], 0, -1, vcc
	v_cmp_ne_u32_e32 vcc, 0, v2
	v_lshlrev_b32_e32 v16, 30, v1
	v_xor_b32_e32 v2, vcc_hi, v4
	v_xor_b32_e32 v3, vcc_lo, v3
	v_cmp_gt_i64_e32 vcc, 0, v[15:16]
	v_not_b32_e32 v4, v16
	v_ashrrev_i32_e32 v4, 31, v4
	v_and_b32_e32 v2, exec_hi, v2
	v_xor_b32_e32 v16, vcc_hi, v4
	v_and_b32_e32 v3, exec_lo, v3
	v_xor_b32_e32 v4, vcc_lo, v4
	v_and_b32_e32 v2, v2, v16
	v_lshlrev_b32_e32 v16, 29, v1
	v_and_b32_e32 v3, v3, v4
	v_cmp_gt_i64_e32 vcc, 0, v[15:16]
	v_not_b32_e32 v4, v16
	v_ashrrev_i32_e32 v4, 31, v4
	v_xor_b32_e32 v16, vcc_hi, v4
	v_xor_b32_e32 v4, vcc_lo, v4
	v_and_b32_e32 v2, v2, v16
	v_lshlrev_b32_e32 v16, 28, v1
	v_and_b32_e32 v3, v3, v4
	v_cmp_gt_i64_e32 vcc, 0, v[15:16]
	v_not_b32_e32 v4, v16
	v_ashrrev_i32_e32 v4, 31, v4
	v_xor_b32_e32 v16, vcc_hi, v4
	;; [unrolled: 8-line block ×5, first 2 shown]
	v_and_b32_e32 v2, v2, v16
	v_lshlrev_b32_e32 v16, 24, v1
	v_xor_b32_e32 v4, vcc_lo, v4
	v_cmp_gt_i64_e32 vcc, 0, v[15:16]
	v_not_b32_e32 v1, v16
	v_ashrrev_i32_e32 v1, 31, v1
	v_and_b32_e32 v3, v3, v4
	v_xor_b32_e32 v4, vcc_hi, v1
	v_xor_b32_e32 v1, vcc_lo, v1
	; wave barrier
	ds_read_b32 v34, v35 offset:32
	v_and_b32_e32 v1, v3, v1
	v_and_b32_e32 v2, v2, v4
	v_mbcnt_lo_u32_b32 v3, v1, 0
	v_mbcnt_hi_u32_b32 v36, v2, v3
	v_cmp_ne_u64_e32 vcc, 0, v[1:2]
	v_cmp_eq_u32_e64 s[28:29], 0, v36
	s_and_b64 s[38:39], vcc, s[28:29]
	; wave barrier
	s_and_saveexec_b64 s[28:29], s[38:39]
	s_cbranch_execz .LBB238_10
; %bb.9:                                ;   in Loop: Header=BB238_4 Depth=2
	v_bcnt_u32_b32 v1, v1, 0
	v_bcnt_u32_b32 v1, v2, v1
	s_waitcnt lgkmcnt(0)
	v_add_u32_e32 v1, v34, v1
	ds_write_b32 v35, v1 offset:32
.LBB238_10:                             ;   in Loop: Header=BB238_4 Depth=2
	s_or_b64 exec, exec, s[28:29]
	v_lshrrev_b32_e32 v1, v28, v29
	v_lshlrev_b32_sdwa v2, v25, v1 dst_sel:DWORD dst_unused:UNUSED_PAD src0_sel:DWORD src1_sel:BYTE_0
	v_add_u32_e32 v38, v24, v2
	v_and_b32_e32 v2, 1, v1
	v_add_co_u32_e32 v3, vcc, -1, v2
	v_addc_co_u32_e64 v4, s[28:29], 0, -1, vcc
	v_cmp_ne_u32_e32 vcc, 0, v2
	v_lshlrev_b32_e32 v16, 30, v1
	v_xor_b32_e32 v2, vcc_hi, v4
	v_xor_b32_e32 v3, vcc_lo, v3
	v_cmp_gt_i64_e32 vcc, 0, v[15:16]
	v_not_b32_e32 v4, v16
	v_ashrrev_i32_e32 v4, 31, v4
	v_and_b32_e32 v2, exec_hi, v2
	v_xor_b32_e32 v16, vcc_hi, v4
	v_and_b32_e32 v3, exec_lo, v3
	v_xor_b32_e32 v4, vcc_lo, v4
	v_and_b32_e32 v2, v2, v16
	v_lshlrev_b32_e32 v16, 29, v1
	v_and_b32_e32 v3, v3, v4
	v_cmp_gt_i64_e32 vcc, 0, v[15:16]
	v_not_b32_e32 v4, v16
	v_ashrrev_i32_e32 v4, 31, v4
	v_xor_b32_e32 v16, vcc_hi, v4
	v_xor_b32_e32 v4, vcc_lo, v4
	v_and_b32_e32 v2, v2, v16
	v_lshlrev_b32_e32 v16, 28, v1
	v_and_b32_e32 v3, v3, v4
	v_cmp_gt_i64_e32 vcc, 0, v[15:16]
	v_not_b32_e32 v4, v16
	v_ashrrev_i32_e32 v4, 31, v4
	v_xor_b32_e32 v16, vcc_hi, v4
	;; [unrolled: 8-line block ×5, first 2 shown]
	v_and_b32_e32 v2, v2, v16
	v_lshlrev_b32_e32 v16, 24, v1
	v_xor_b32_e32 v4, vcc_lo, v4
	v_cmp_gt_i64_e32 vcc, 0, v[15:16]
	v_not_b32_e32 v1, v16
	v_ashrrev_i32_e32 v1, 31, v1
	v_and_b32_e32 v3, v3, v4
	v_xor_b32_e32 v4, vcc_hi, v1
	v_xor_b32_e32 v1, vcc_lo, v1
	; wave barrier
	ds_read_b32 v37, v38 offset:32
	v_and_b32_e32 v1, v3, v1
	v_and_b32_e32 v2, v2, v4
	v_mbcnt_lo_u32_b32 v3, v1, 0
	v_mbcnt_hi_u32_b32 v39, v2, v3
	v_cmp_ne_u64_e32 vcc, 0, v[1:2]
	v_cmp_eq_u32_e64 s[28:29], 0, v39
	s_and_b64 s[38:39], vcc, s[28:29]
	; wave barrier
	s_and_saveexec_b64 s[28:29], s[38:39]
	s_cbranch_execz .LBB238_12
; %bb.11:                               ;   in Loop: Header=BB238_4 Depth=2
	v_bcnt_u32_b32 v1, v1, 0
	v_bcnt_u32_b32 v1, v2, v1
	s_waitcnt lgkmcnt(0)
	v_add_u32_e32 v1, v37, v1
	ds_write_b32 v38, v1 offset:32
.LBB238_12:                             ;   in Loop: Header=BB238_4 Depth=2
	s_or_b64 exec, exec, s[28:29]
	v_lshrrev_b32_e32 v1, v28, v27
	v_lshlrev_b32_sdwa v2, v25, v1 dst_sel:DWORD dst_unused:UNUSED_PAD src0_sel:DWORD src1_sel:BYTE_0
	v_add_u32_e32 v41, v24, v2
	v_and_b32_e32 v2, 1, v1
	v_add_co_u32_e32 v3, vcc, -1, v2
	v_addc_co_u32_e64 v4, s[28:29], 0, -1, vcc
	v_cmp_ne_u32_e32 vcc, 0, v2
	v_lshlrev_b32_e32 v16, 30, v1
	v_xor_b32_e32 v2, vcc_hi, v4
	v_xor_b32_e32 v3, vcc_lo, v3
	v_cmp_gt_i64_e32 vcc, 0, v[15:16]
	v_not_b32_e32 v4, v16
	v_ashrrev_i32_e32 v4, 31, v4
	v_and_b32_e32 v2, exec_hi, v2
	v_xor_b32_e32 v16, vcc_hi, v4
	v_and_b32_e32 v3, exec_lo, v3
	v_xor_b32_e32 v4, vcc_lo, v4
	v_and_b32_e32 v2, v2, v16
	v_lshlrev_b32_e32 v16, 29, v1
	v_and_b32_e32 v3, v3, v4
	v_cmp_gt_i64_e32 vcc, 0, v[15:16]
	v_not_b32_e32 v4, v16
	v_ashrrev_i32_e32 v4, 31, v4
	v_xor_b32_e32 v16, vcc_hi, v4
	v_xor_b32_e32 v4, vcc_lo, v4
	v_and_b32_e32 v2, v2, v16
	v_lshlrev_b32_e32 v16, 28, v1
	v_and_b32_e32 v3, v3, v4
	v_cmp_gt_i64_e32 vcc, 0, v[15:16]
	v_not_b32_e32 v4, v16
	v_ashrrev_i32_e32 v4, 31, v4
	v_xor_b32_e32 v16, vcc_hi, v4
	;; [unrolled: 8-line block ×5, first 2 shown]
	v_and_b32_e32 v2, v2, v16
	v_lshlrev_b32_e32 v16, 24, v1
	v_xor_b32_e32 v4, vcc_lo, v4
	v_cmp_gt_i64_e32 vcc, 0, v[15:16]
	v_not_b32_e32 v1, v16
	v_ashrrev_i32_e32 v1, 31, v1
	v_and_b32_e32 v3, v3, v4
	v_xor_b32_e32 v4, vcc_hi, v1
	v_xor_b32_e32 v1, vcc_lo, v1
	; wave barrier
	ds_read_b32 v40, v41 offset:32
	v_and_b32_e32 v1, v3, v1
	v_and_b32_e32 v2, v2, v4
	v_mbcnt_lo_u32_b32 v3, v1, 0
	v_mbcnt_hi_u32_b32 v42, v2, v3
	v_cmp_ne_u64_e32 vcc, 0, v[1:2]
	v_cmp_eq_u32_e64 s[28:29], 0, v42
	s_and_b64 s[38:39], vcc, s[28:29]
	; wave barrier
	s_and_saveexec_b64 s[28:29], s[38:39]
	s_cbranch_execz .LBB238_14
; %bb.13:                               ;   in Loop: Header=BB238_4 Depth=2
	v_bcnt_u32_b32 v1, v1, 0
	v_bcnt_u32_b32 v1, v2, v1
	s_waitcnt lgkmcnt(0)
	v_add_u32_e32 v1, v40, v1
	ds_write_b32 v41, v1 offset:32
.LBB238_14:                             ;   in Loop: Header=BB238_4 Depth=2
	s_or_b64 exec, exec, s[28:29]
	v_lshrrev_b32_e32 v1, v28, v26
	v_lshlrev_b32_sdwa v2, v25, v1 dst_sel:DWORD dst_unused:UNUSED_PAD src0_sel:DWORD src1_sel:BYTE_0
	v_add_u32_e32 v44, v24, v2
	v_and_b32_e32 v2, 1, v1
	v_add_co_u32_e32 v3, vcc, -1, v2
	v_addc_co_u32_e64 v4, s[28:29], 0, -1, vcc
	v_cmp_ne_u32_e32 vcc, 0, v2
	v_lshlrev_b32_e32 v16, 30, v1
	v_xor_b32_e32 v2, vcc_hi, v4
	v_xor_b32_e32 v3, vcc_lo, v3
	v_cmp_gt_i64_e32 vcc, 0, v[15:16]
	v_not_b32_e32 v4, v16
	v_ashrrev_i32_e32 v4, 31, v4
	v_and_b32_e32 v2, exec_hi, v2
	v_xor_b32_e32 v16, vcc_hi, v4
	v_and_b32_e32 v3, exec_lo, v3
	v_xor_b32_e32 v4, vcc_lo, v4
	v_and_b32_e32 v2, v2, v16
	v_lshlrev_b32_e32 v16, 29, v1
	v_and_b32_e32 v3, v3, v4
	v_cmp_gt_i64_e32 vcc, 0, v[15:16]
	v_not_b32_e32 v4, v16
	v_ashrrev_i32_e32 v4, 31, v4
	v_xor_b32_e32 v16, vcc_hi, v4
	v_xor_b32_e32 v4, vcc_lo, v4
	v_and_b32_e32 v2, v2, v16
	v_lshlrev_b32_e32 v16, 28, v1
	v_and_b32_e32 v3, v3, v4
	v_cmp_gt_i64_e32 vcc, 0, v[15:16]
	v_not_b32_e32 v4, v16
	v_ashrrev_i32_e32 v4, 31, v4
	v_xor_b32_e32 v16, vcc_hi, v4
	;; [unrolled: 8-line block ×5, first 2 shown]
	v_and_b32_e32 v2, v2, v16
	v_lshlrev_b32_e32 v16, 24, v1
	v_xor_b32_e32 v4, vcc_lo, v4
	v_cmp_gt_i64_e32 vcc, 0, v[15:16]
	v_not_b32_e32 v1, v16
	v_ashrrev_i32_e32 v1, 31, v1
	v_and_b32_e32 v3, v3, v4
	v_xor_b32_e32 v4, vcc_hi, v1
	v_xor_b32_e32 v1, vcc_lo, v1
	; wave barrier
	ds_read_b32 v43, v44 offset:32
	v_and_b32_e32 v1, v3, v1
	v_and_b32_e32 v2, v2, v4
	v_mbcnt_lo_u32_b32 v3, v1, 0
	v_mbcnt_hi_u32_b32 v45, v2, v3
	v_cmp_ne_u64_e32 vcc, 0, v[1:2]
	v_cmp_eq_u32_e64 s[28:29], 0, v45
	s_and_b64 s[38:39], vcc, s[28:29]
	; wave barrier
	s_and_saveexec_b64 s[28:29], s[38:39]
	s_cbranch_execz .LBB238_16
; %bb.15:                               ;   in Loop: Header=BB238_4 Depth=2
	v_bcnt_u32_b32 v1, v1, 0
	v_bcnt_u32_b32 v1, v2, v1
	s_waitcnt lgkmcnt(0)
	v_add_u32_e32 v1, v43, v1
	ds_write_b32 v44, v1 offset:32
.LBB238_16:                             ;   in Loop: Header=BB238_4 Depth=2
	s_or_b64 exec, exec, s[28:29]
	v_lshrrev_b32_e32 v1, v28, v10
	v_lshlrev_b32_sdwa v2, v25, v1 dst_sel:DWORD dst_unused:UNUSED_PAD src0_sel:DWORD src1_sel:BYTE_0
	v_add_u32_e32 v47, v24, v2
	v_and_b32_e32 v2, 1, v1
	v_add_co_u32_e32 v3, vcc, -1, v2
	v_addc_co_u32_e64 v4, s[28:29], 0, -1, vcc
	v_cmp_ne_u32_e32 vcc, 0, v2
	v_lshlrev_b32_e32 v16, 30, v1
	v_xor_b32_e32 v2, vcc_hi, v4
	v_xor_b32_e32 v3, vcc_lo, v3
	v_cmp_gt_i64_e32 vcc, 0, v[15:16]
	v_not_b32_e32 v4, v16
	v_ashrrev_i32_e32 v4, 31, v4
	v_and_b32_e32 v2, exec_hi, v2
	v_xor_b32_e32 v16, vcc_hi, v4
	v_and_b32_e32 v3, exec_lo, v3
	v_xor_b32_e32 v4, vcc_lo, v4
	v_and_b32_e32 v2, v2, v16
	v_lshlrev_b32_e32 v16, 29, v1
	v_and_b32_e32 v3, v3, v4
	v_cmp_gt_i64_e32 vcc, 0, v[15:16]
	v_not_b32_e32 v4, v16
	v_ashrrev_i32_e32 v4, 31, v4
	v_xor_b32_e32 v16, vcc_hi, v4
	v_xor_b32_e32 v4, vcc_lo, v4
	v_and_b32_e32 v2, v2, v16
	v_lshlrev_b32_e32 v16, 28, v1
	v_and_b32_e32 v3, v3, v4
	v_cmp_gt_i64_e32 vcc, 0, v[15:16]
	v_not_b32_e32 v4, v16
	v_ashrrev_i32_e32 v4, 31, v4
	v_xor_b32_e32 v16, vcc_hi, v4
	;; [unrolled: 8-line block ×5, first 2 shown]
	v_and_b32_e32 v2, v2, v16
	v_lshlrev_b32_e32 v16, 24, v1
	v_xor_b32_e32 v4, vcc_lo, v4
	v_cmp_gt_i64_e32 vcc, 0, v[15:16]
	v_not_b32_e32 v1, v16
	v_ashrrev_i32_e32 v1, 31, v1
	v_and_b32_e32 v3, v3, v4
	v_xor_b32_e32 v4, vcc_hi, v1
	v_xor_b32_e32 v1, vcc_lo, v1
	; wave barrier
	ds_read_b32 v46, v47 offset:32
	v_and_b32_e32 v1, v3, v1
	v_and_b32_e32 v2, v2, v4
	v_mbcnt_lo_u32_b32 v3, v1, 0
	v_mbcnt_hi_u32_b32 v48, v2, v3
	v_cmp_ne_u64_e32 vcc, 0, v[1:2]
	v_cmp_eq_u32_e64 s[28:29], 0, v48
	s_and_b64 s[38:39], vcc, s[28:29]
	; wave barrier
	s_and_saveexec_b64 s[28:29], s[38:39]
	s_cbranch_execz .LBB238_18
; %bb.17:                               ;   in Loop: Header=BB238_4 Depth=2
	v_bcnt_u32_b32 v1, v1, 0
	v_bcnt_u32_b32 v1, v2, v1
	s_waitcnt lgkmcnt(0)
	v_add_u32_e32 v1, v46, v1
	ds_write_b32 v47, v1 offset:32
.LBB238_18:                             ;   in Loop: Header=BB238_4 Depth=2
	s_or_b64 exec, exec, s[28:29]
	v_lshrrev_b32_e32 v1, v28, v9
	v_lshlrev_b32_sdwa v2, v25, v1 dst_sel:DWORD dst_unused:UNUSED_PAD src0_sel:DWORD src1_sel:BYTE_0
	v_add_u32_e32 v50, v24, v2
	v_and_b32_e32 v2, 1, v1
	v_add_co_u32_e32 v3, vcc, -1, v2
	v_addc_co_u32_e64 v4, s[28:29], 0, -1, vcc
	v_cmp_ne_u32_e32 vcc, 0, v2
	v_lshlrev_b32_e32 v16, 30, v1
	v_xor_b32_e32 v2, vcc_hi, v4
	v_xor_b32_e32 v3, vcc_lo, v3
	v_cmp_gt_i64_e32 vcc, 0, v[15:16]
	v_not_b32_e32 v4, v16
	v_ashrrev_i32_e32 v4, 31, v4
	v_and_b32_e32 v2, exec_hi, v2
	v_xor_b32_e32 v16, vcc_hi, v4
	v_and_b32_e32 v3, exec_lo, v3
	v_xor_b32_e32 v4, vcc_lo, v4
	v_and_b32_e32 v2, v2, v16
	v_lshlrev_b32_e32 v16, 29, v1
	v_and_b32_e32 v3, v3, v4
	v_cmp_gt_i64_e32 vcc, 0, v[15:16]
	v_not_b32_e32 v4, v16
	v_ashrrev_i32_e32 v4, 31, v4
	v_xor_b32_e32 v16, vcc_hi, v4
	v_xor_b32_e32 v4, vcc_lo, v4
	v_and_b32_e32 v2, v2, v16
	v_lshlrev_b32_e32 v16, 28, v1
	v_and_b32_e32 v3, v3, v4
	v_cmp_gt_i64_e32 vcc, 0, v[15:16]
	v_not_b32_e32 v4, v16
	v_ashrrev_i32_e32 v4, 31, v4
	v_xor_b32_e32 v16, vcc_hi, v4
	;; [unrolled: 8-line block ×5, first 2 shown]
	v_and_b32_e32 v2, v2, v16
	v_lshlrev_b32_e32 v16, 24, v1
	v_xor_b32_e32 v4, vcc_lo, v4
	v_cmp_gt_i64_e32 vcc, 0, v[15:16]
	v_not_b32_e32 v1, v16
	v_ashrrev_i32_e32 v1, 31, v1
	v_and_b32_e32 v3, v3, v4
	v_xor_b32_e32 v4, vcc_hi, v1
	v_xor_b32_e32 v1, vcc_lo, v1
	; wave barrier
	ds_read_b32 v49, v50 offset:32
	v_and_b32_e32 v1, v3, v1
	v_and_b32_e32 v2, v2, v4
	v_mbcnt_lo_u32_b32 v3, v1, 0
	v_mbcnt_hi_u32_b32 v16, v2, v3
	v_cmp_ne_u64_e32 vcc, 0, v[1:2]
	v_cmp_eq_u32_e64 s[28:29], 0, v16
	s_and_b64 s[38:39], vcc, s[28:29]
	; wave barrier
	s_and_saveexec_b64 s[28:29], s[38:39]
	s_cbranch_execz .LBB238_20
; %bb.19:                               ;   in Loop: Header=BB238_4 Depth=2
	v_bcnt_u32_b32 v1, v1, 0
	v_bcnt_u32_b32 v1, v2, v1
	s_waitcnt lgkmcnt(0)
	v_add_u32_e32 v1, v49, v1
	ds_write_b32 v50, v1 offset:32
.LBB238_20:                             ;   in Loop: Header=BB238_4 Depth=2
	s_or_b64 exec, exec, s[28:29]
	; wave barrier
	s_waitcnt lgkmcnt(0)
	s_barrier
	ds_read2_b64 v[1:4], v19 offset0:4 offset1:5
	s_waitcnt lgkmcnt(0)
	v_add_u32_e32 v51, v2, v1
	v_add3_u32 v4, v51, v3, v4
	s_nop 1
	v_mov_b32_dpp v51, v4 row_shr:1 row_mask:0xf bank_mask:0xf
	v_cndmask_b32_e64 v51, v51, 0, s[0:1]
	v_add_u32_e32 v4, v51, v4
	s_nop 1
	v_mov_b32_dpp v51, v4 row_shr:2 row_mask:0xf bank_mask:0xf
	v_cndmask_b32_e64 v51, 0, v51, s[2:3]
	v_add_u32_e32 v4, v4, v51
	;; [unrolled: 4-line block ×4, first 2 shown]
	s_nop 1
	v_mov_b32_dpp v51, v4 row_bcast:15 row_mask:0xf bank_mask:0xf
	v_cndmask_b32_e64 v51, v51, 0, s[8:9]
	v_add_u32_e32 v4, v4, v51
	s_nop 1
	v_mov_b32_dpp v51, v4 row_bcast:31 row_mask:0xf bank_mask:0xf
	v_cndmask_b32_e64 v51, 0, v51, s[10:11]
	v_add_u32_e32 v4, v4, v51
	s_and_saveexec_b64 s[28:29], s[12:13]
; %bb.21:                               ;   in Loop: Header=BB238_4 Depth=2
	ds_write_b32 v21, v4
; %bb.22:                               ;   in Loop: Header=BB238_4 Depth=2
	s_or_b64 exec, exec, s[28:29]
	s_waitcnt lgkmcnt(0)
	s_barrier
	s_and_saveexec_b64 s[28:29], s[14:15]
	s_cbranch_execz .LBB238_24
; %bb.23:                               ;   in Loop: Header=BB238_4 Depth=2
	v_add_u32_e32 v51, v19, v22
	ds_read_b32 v52, v51
	s_waitcnt lgkmcnt(0)
	s_nop 0
	v_mov_b32_dpp v53, v52 row_shr:1 row_mask:0xf bank_mask:0xf
	v_cndmask_b32_e64 v53, v53, 0, s[22:23]
	v_add_u32_e32 v52, v53, v52
	s_nop 1
	v_mov_b32_dpp v53, v52 row_shr:2 row_mask:0xf bank_mask:0xf
	v_cndmask_b32_e64 v53, 0, v53, s[24:25]
	v_add_u32_e32 v52, v52, v53
	;; [unrolled: 4-line block ×3, first 2 shown]
	ds_write_b32 v51, v52
.LBB238_24:                             ;   in Loop: Header=BB238_4 Depth=2
	s_or_b64 exec, exec, s[28:29]
	v_mov_b32_e32 v51, 0
	s_waitcnt lgkmcnt(0)
	s_barrier
	s_and_saveexec_b64 s[28:29], s[16:17]
; %bb.25:                               ;   in Loop: Header=BB238_4 Depth=2
	ds_read_b32 v51, v23
; %bb.26:                               ;   in Loop: Header=BB238_4 Depth=2
	s_or_b64 exec, exec, s[28:29]
	s_waitcnt lgkmcnt(0)
	v_add_u32_e32 v4, v51, v4
	ds_bpermute_b32 v4, v20, v4
	v_cmp_lt_u32_e32 vcc, 23, v28
	s_and_b64 vcc, exec, vcc
	s_mov_b64 s[28:29], -1
	s_waitcnt lgkmcnt(0)
	v_cndmask_b32_e64 v4, v4, v51, s[18:19]
	v_cndmask_b32_e64 v51, v4, 0, s[20:21]
	v_add_u32_e32 v52, v51, v1
	v_add_u32_e32 v1, v52, v2
	;; [unrolled: 1-line block ×3, first 2 shown]
	ds_write2_b64 v19, v[51:52], v[1:2] offset0:4 offset1:5
	s_waitcnt lgkmcnt(0)
	s_barrier
	ds_read_b32 v1, v6 offset:32
	ds_read_b32 v2, v8 offset:32
	;; [unrolled: 1-line block ×8, first 2 shown]
	s_waitcnt lgkmcnt(7)
	v_add_u32_e32 v44, v1, v5
	s_waitcnt lgkmcnt(6)
	v_add3_u32 v41, v33, v7, v2
	s_waitcnt lgkmcnt(5)
	v_add3_u32 v38, v36, v34, v3
	;; [unrolled: 2-line block ×7, first 2 shown]
                                        ; implicit-def: $vgpr8
                                        ; implicit-def: $vgpr6
                                        ; implicit-def: $vgpr4
                                        ; implicit-def: $vgpr2
	s_cbranch_vccnz .LBB238_3
; %bb.27:                               ;   in Loop: Header=BB238_4 Depth=2
	v_lshlrev_b32_e32 v1, 2, v44
	s_barrier
	ds_write_b32 v1, v32
	v_lshlrev_b32_e32 v1, 2, v41
	ds_write_b32 v1, v31
	v_lshlrev_b32_e32 v1, 2, v38
	ds_write_b32 v1, v30
	v_lshlrev_b32_e32 v1, 2, v36
	ds_write_b32 v1, v29
	v_lshlrev_b32_e32 v1, 2, v35
	ds_write_b32 v1, v27
	v_lshlrev_b32_e32 v1, 2, v34
	ds_write_b32 v1, v26
	v_lshlrev_b32_e32 v1, 2, v33
	ds_write_b32 v1, v10
	v_lshlrev_b32_e32 v1, 2, v16
	ds_write_b32 v1, v9
	s_waitcnt lgkmcnt(0)
	s_barrier
	ds_read2st64_b32 v[1:2], v18 offset1:1
	ds_read2st64_b32 v[3:4], v18 offset0:2 offset1:3
	ds_read2st64_b32 v[5:6], v18 offset0:4 offset1:5
	;; [unrolled: 1-line block ×3, first 2 shown]
	v_add_u32_e32 v28, 8, v28
	s_mov_b64 s[28:29], 0
	s_waitcnt lgkmcnt(0)
	s_barrier
	s_branch .LBB238_3
.LBB238_28:
	s_add_u32 s0, s30, s36
	s_addc_u32 s1, s31, s37
	v_lshlrev_b32_e32 v0, 2, v0
	v_mov_b32_e32 v1, s1
	v_add_co_u32_e32 v2, vcc, s0, v0
	v_addc_co_u32_e32 v11, vcc, 0, v1, vcc
	global_store_dword v0, v7, s[0:1]
	global_store_dword v0, v8, s[0:1] offset:2048
	v_add_co_u32_e32 v0, vcc, 0x1000, v2
	v_addc_co_u32_e32 v1, vcc, 0, v11, vcc
	global_store_dword v[0:1], v9, off
	global_store_dword v[0:1], v10, off offset:2048
	v_add_co_u32_e32 v0, vcc, 0x2000, v2
	v_addc_co_u32_e32 v1, vcc, 0, v11, vcc
	global_store_dword v[0:1], v3, off
	global_store_dword v[0:1], v4, off offset:2048
	;; [unrolled: 4-line block ×3, first 2 shown]
	s_endpgm
	.section	.rodata,"a",@progbits
	.p2align	6, 0x0
	.amdhsa_kernel _Z16sort_keys_kernelI22helper_blocked_stripediLj512ELj8ELj10EEvPKT0_PS1_
		.amdhsa_group_segment_fixed_size 16384
		.amdhsa_private_segment_fixed_size 0
		.amdhsa_kernarg_size 272
		.amdhsa_user_sgpr_count 6
		.amdhsa_user_sgpr_private_segment_buffer 1
		.amdhsa_user_sgpr_dispatch_ptr 0
		.amdhsa_user_sgpr_queue_ptr 0
		.amdhsa_user_sgpr_kernarg_segment_ptr 1
		.amdhsa_user_sgpr_dispatch_id 0
		.amdhsa_user_sgpr_flat_scratch_init 0
		.amdhsa_user_sgpr_private_segment_size 0
		.amdhsa_uses_dynamic_stack 0
		.amdhsa_system_sgpr_private_segment_wavefront_offset 0
		.amdhsa_system_sgpr_workgroup_id_x 1
		.amdhsa_system_sgpr_workgroup_id_y 0
		.amdhsa_system_sgpr_workgroup_id_z 0
		.amdhsa_system_sgpr_workgroup_info 0
		.amdhsa_system_vgpr_workitem_id 2
		.amdhsa_next_free_vgpr 54
		.amdhsa_next_free_sgpr 61
		.amdhsa_reserve_vcc 1
		.amdhsa_reserve_flat_scratch 0
		.amdhsa_float_round_mode_32 0
		.amdhsa_float_round_mode_16_64 0
		.amdhsa_float_denorm_mode_32 3
		.amdhsa_float_denorm_mode_16_64 3
		.amdhsa_dx10_clamp 1
		.amdhsa_ieee_mode 1
		.amdhsa_fp16_overflow 0
		.amdhsa_exception_fp_ieee_invalid_op 0
		.amdhsa_exception_fp_denorm_src 0
		.amdhsa_exception_fp_ieee_div_zero 0
		.amdhsa_exception_fp_ieee_overflow 0
		.amdhsa_exception_fp_ieee_underflow 0
		.amdhsa_exception_fp_ieee_inexact 0
		.amdhsa_exception_int_div_zero 0
	.end_amdhsa_kernel
	.section	.text._Z16sort_keys_kernelI22helper_blocked_stripediLj512ELj8ELj10EEvPKT0_PS1_,"axG",@progbits,_Z16sort_keys_kernelI22helper_blocked_stripediLj512ELj8ELj10EEvPKT0_PS1_,comdat
.Lfunc_end238:
	.size	_Z16sort_keys_kernelI22helper_blocked_stripediLj512ELj8ELj10EEvPKT0_PS1_, .Lfunc_end238-_Z16sort_keys_kernelI22helper_blocked_stripediLj512ELj8ELj10EEvPKT0_PS1_
                                        ; -- End function
	.set _Z16sort_keys_kernelI22helper_blocked_stripediLj512ELj8ELj10EEvPKT0_PS1_.num_vgpr, 54
	.set _Z16sort_keys_kernelI22helper_blocked_stripediLj512ELj8ELj10EEvPKT0_PS1_.num_agpr, 0
	.set _Z16sort_keys_kernelI22helper_blocked_stripediLj512ELj8ELj10EEvPKT0_PS1_.numbered_sgpr, 40
	.set _Z16sort_keys_kernelI22helper_blocked_stripediLj512ELj8ELj10EEvPKT0_PS1_.num_named_barrier, 0
	.set _Z16sort_keys_kernelI22helper_blocked_stripediLj512ELj8ELj10EEvPKT0_PS1_.private_seg_size, 0
	.set _Z16sort_keys_kernelI22helper_blocked_stripediLj512ELj8ELj10EEvPKT0_PS1_.uses_vcc, 1
	.set _Z16sort_keys_kernelI22helper_blocked_stripediLj512ELj8ELj10EEvPKT0_PS1_.uses_flat_scratch, 0
	.set _Z16sort_keys_kernelI22helper_blocked_stripediLj512ELj8ELj10EEvPKT0_PS1_.has_dyn_sized_stack, 0
	.set _Z16sort_keys_kernelI22helper_blocked_stripediLj512ELj8ELj10EEvPKT0_PS1_.has_recursion, 0
	.set _Z16sort_keys_kernelI22helper_blocked_stripediLj512ELj8ELj10EEvPKT0_PS1_.has_indirect_call, 0
	.section	.AMDGPU.csdata,"",@progbits
; Kernel info:
; codeLenInByte = 4504
; TotalNumSgprs: 44
; NumVgprs: 54
; ScratchSize: 0
; MemoryBound: 0
; FloatMode: 240
; IeeeMode: 1
; LDSByteSize: 16384 bytes/workgroup (compile time only)
; SGPRBlocks: 8
; VGPRBlocks: 13
; NumSGPRsForWavesPerEU: 65
; NumVGPRsForWavesPerEU: 54
; Occupancy: 4
; WaveLimiterHint : 1
; COMPUTE_PGM_RSRC2:SCRATCH_EN: 0
; COMPUTE_PGM_RSRC2:USER_SGPR: 6
; COMPUTE_PGM_RSRC2:TRAP_HANDLER: 0
; COMPUTE_PGM_RSRC2:TGID_X_EN: 1
; COMPUTE_PGM_RSRC2:TGID_Y_EN: 0
; COMPUTE_PGM_RSRC2:TGID_Z_EN: 0
; COMPUTE_PGM_RSRC2:TIDIG_COMP_CNT: 2
	.section	.text._Z17sort_pairs_kernelI22helper_blocked_stripediLj512ELj8ELj10EEvPKT0_PS1_,"axG",@progbits,_Z17sort_pairs_kernelI22helper_blocked_stripediLj512ELj8ELj10EEvPKT0_PS1_,comdat
	.protected	_Z17sort_pairs_kernelI22helper_blocked_stripediLj512ELj8ELj10EEvPKT0_PS1_ ; -- Begin function _Z17sort_pairs_kernelI22helper_blocked_stripediLj512ELj8ELj10EEvPKT0_PS1_
	.globl	_Z17sort_pairs_kernelI22helper_blocked_stripediLj512ELj8ELj10EEvPKT0_PS1_
	.p2align	8
	.type	_Z17sort_pairs_kernelI22helper_blocked_stripediLj512ELj8ELj10EEvPKT0_PS1_,@function
_Z17sort_pairs_kernelI22helper_blocked_stripediLj512ELj8ELj10EEvPKT0_PS1_: ; @_Z17sort_pairs_kernelI22helper_blocked_stripediLj512ELj8ELj10EEvPKT0_PS1_
; %bb.0:
	s_load_dwordx4 s[28:31], s[4:5], 0x0
	s_load_dword s33, s[4:5], 0x1c
	s_lshl_b32 s36, s6, 12
	s_mov_b32 s37, 0
	s_lshl_b64 s[34:35], s[36:37], 2
	s_waitcnt lgkmcnt(0)
	s_add_u32 s0, s28, s34
	s_addc_u32 s1, s29, s35
	v_lshlrev_b32_e32 v11, 5, v0
	global_load_dwordx4 v[7:10], v11, s[0:1]
	global_load_dwordx4 v[3:6], v11, s[0:1] offset:16
	s_lshr_b32 s28, s33, 16
	s_and_b32 s29, s33, 0xffff
	v_mad_u32_u24 v1, v2, s28, v1
	v_mbcnt_lo_u32_b32 v12, -1, 0
	v_mad_u64_u32 v[1:2], s[28:29], v1, s29, v[0:1]
	v_mbcnt_hi_u32_b32 v13, -1, v12
	v_lshrrev_b32_e32 v14, 4, v0
	v_subrev_co_u32_e64 v19, s[8:9], 1, v13
	v_and_b32_e32 v20, 64, v13
	v_and_b32_e32 v12, 0x1c0, v0
	s_mov_b32 s11, s37
	v_and_b32_e32 v15, 0x3800, v11
	v_and_b32_e32 v29, 28, v14
	;; [unrolled: 1-line block ×3, first 2 shown]
	s_mov_b32 s36, s37
	v_cmp_lt_i32_e32 vcc, v19, v20
	s_mov_b32 s10, s37
	v_add_lshl_u32 v28, v13, v12, 5
	v_and_b32_e32 v16, 15, v13
	v_and_b32_e32 v17, 16, v13
	v_cmp_lt_u32_e64 s[6:7], 31, v13
	v_or_b32_e32 v18, 63, v12
	v_mov_b32_e32 v12, s11
	v_lshl_or_b32 v30, v13, 2, v15
	v_cndmask_b32_e32 v15, v19, v13, vcc
	v_cmp_eq_u32_e64 s[22:23], 0, v14
	v_cmp_lt_u32_e64 s[24:25], 1, v14
	v_cmp_lt_u32_e64 s[26:27], 3, v14
	v_mov_b32_e32 v13, s36
	v_lshrrev_b32_e32 v1, 4, v1
	v_mov_b32_e32 v25, 5
	v_lshlrev_b32_e32 v26, 4, v0
	v_cmp_gt_u32_e64 s[0:1], 8, v0
	v_cmp_lt_u32_e64 s[2:3], 63, v0
	v_cmp_eq_u32_e64 s[4:5], 0, v0
	v_mul_i32_i24_e32 v27, -12, v0
	v_mov_b32_e32 v11, s10
	v_cmp_eq_u32_e64 s[10:11], 0, v16
	v_cmp_lt_u32_e64 s[12:13], 1, v16
	v_cmp_lt_u32_e64 s[14:15], 3, v16
	;; [unrolled: 1-line block ×3, first 2 shown]
	v_cmp_eq_u32_e64 s[18:19], 0, v17
	v_cmp_eq_u32_e64 s[20:21], v0, v18
	v_add_u32_e32 v31, -4, v29
	v_mov_b32_e32 v14, s37
	v_lshlrev_b32_e32 v32, 2, v15
	v_and_b32_e32 v33, 0xffffffc, v1
	v_mov_b32_e32 v15, 0
	s_waitcnt vmcnt(1)
	v_add_u32_e32 v18, 1, v7
	v_add_u32_e32 v19, 1, v8
	v_add_u32_e32 v22, 1, v9
	v_add_u32_e32 v23, 1, v10
	s_waitcnt vmcnt(0)
	v_add_u32_e32 v16, 1, v3
	v_add_u32_e32 v17, 1, v4
	;; [unrolled: 1-line block ×4, first 2 shown]
	s_branch .LBB239_2
.LBB239_1:                              ;   in Loop: Header=BB239_2 Depth=1
	v_lshlrev_b32_e32 v7, 2, v60
	v_lshlrev_b32_e32 v8, 2, v59
	;; [unrolled: 1-line block ×8, first 2 shown]
	v_add_u32_e32 v20, v26, v27
	s_barrier
	ds_write_b32 v7, v35
	ds_write_b32 v8, v50
	;; [unrolled: 1-line block ×8, first 2 shown]
	s_waitcnt lgkmcnt(0)
	s_barrier
	ds_read2st64_b32 v[1:2], v20 offset1:8
	ds_read2st64_b32 v[3:4], v20 offset0:16 offset1:24
	ds_read2st64_b32 v[5:6], v20 offset0:32 offset1:40
	;; [unrolled: 1-line block ×3, first 2 shown]
	s_waitcnt lgkmcnt(0)
	s_barrier
	ds_write_b32 v7, v44
	ds_write_b32 v8, v42
	;; [unrolled: 1-line block ×8, first 2 shown]
	s_waitcnt lgkmcnt(0)
	s_barrier
	ds_read2st64_b32 v[18:19], v20 offset1:8
	ds_read2st64_b32 v[22:23], v20 offset0:16 offset1:24
	ds_read2st64_b32 v[16:17], v20 offset0:32 offset1:40
	;; [unrolled: 1-line block ×3, first 2 shown]
	s_add_i32 s37, s37, 1
	v_xor_b32_e32 v7, 0x80000000, v1
	v_xor_b32_e32 v8, 0x80000000, v2
	;; [unrolled: 1-line block ×7, first 2 shown]
	s_cmp_eq_u32 s37, 10
	v_xor_b32_e32 v6, 0x80000000, v35
	s_cbranch_scc1 .LBB239_28
.LBB239_2:                              ; =>This Loop Header: Depth=1
                                        ;     Child Loop BB239_4 Depth 2
	v_xor_b32_e32 v1, 0x80000000, v7
	v_xor_b32_e32 v2, 0x80000000, v8
	;; [unrolled: 1-line block ×8, first 2 shown]
	ds_write2_b64 v28, v[1:2], v[7:8] offset1:1
	ds_write2_b64 v28, v[3:4], v[5:6] offset0:2 offset1:3
	; wave barrier
	ds_read2st64_b32 v[1:2], v30 offset1:1
	ds_read2st64_b32 v[3:4], v30 offset0:2 offset1:3
	ds_read2st64_b32 v[5:6], v30 offset0:4 offset1:5
	;; [unrolled: 1-line block ×3, first 2 shown]
	; wave barrier
	s_waitcnt lgkmcnt(8)
	ds_write2_b64 v28, v[18:19], v[22:23] offset1:1
	s_waitcnt lgkmcnt(7)
	ds_write2_b64 v28, v[16:17], v[20:21] offset0:2 offset1:3
	; wave barrier
	ds_read2st64_b32 v[9:10], v30 offset1:1
	ds_read2st64_b32 v[17:18], v30 offset0:2 offset1:3
	ds_read2st64_b32 v[19:20], v30 offset0:4 offset1:5
	;; [unrolled: 1-line block ×3, first 2 shown]
	v_mov_b32_e32 v34, v15
	s_waitcnt lgkmcnt(0)
	s_barrier
	s_branch .LBB239_4
.LBB239_3:                              ;   in Loop: Header=BB239_4 Depth=2
	s_andn2_b64 vcc, exec, s[28:29]
	s_cbranch_vccz .LBB239_1
.LBB239_4:                              ;   Parent Loop BB239_2 Depth=1
                                        ; =>  This Inner Loop Header: Depth=2
	v_mov_b32_e32 v35, v1
	v_lshrrev_b32_e32 v1, v34, v35
	v_and_b32_e32 v16, 1, v1
	v_add_co_u32_e64 v23, s[28:29], -1, v16
	v_cmp_ne_u32_e32 vcc, 0, v16
	v_addc_co_u32_e64 v16, s[28:29], 0, -1, s[28:29]
	v_xor_b32_e32 v16, vcc_hi, v16
	v_and_b32_e32 v24, exec_hi, v16
	v_lshlrev_b32_e32 v16, 30, v1
	v_cmp_gt_i64_e64 s[28:29], 0, v[15:16]
	v_not_b32_e32 v16, v16
	v_ashrrev_i32_e32 v16, 31, v16
	v_xor_b32_e32 v23, vcc_lo, v23
	v_xor_b32_e32 v36, s29, v16
	v_and_b32_e32 v23, exec_lo, v23
	v_xor_b32_e32 v16, s28, v16
	v_and_b32_e32 v23, v23, v16
	v_lshlrev_b32_e32 v16, 29, v1
	v_cmp_gt_i64_e32 vcc, 0, v[15:16]
	v_not_b32_e32 v16, v16
	v_ashrrev_i32_e32 v16, 31, v16
	v_and_b32_e32 v24, v24, v36
	v_xor_b32_e32 v36, vcc_hi, v16
	v_xor_b32_e32 v16, vcc_lo, v16
	v_and_b32_e32 v23, v23, v16
	v_lshlrev_b32_e32 v16, 28, v1
	v_cmp_gt_i64_e32 vcc, 0, v[15:16]
	v_not_b32_e32 v16, v16
	v_ashrrev_i32_e32 v16, 31, v16
	v_and_b32_e32 v24, v24, v36
	v_xor_b32_e32 v36, vcc_hi, v16
	v_xor_b32_e32 v16, vcc_lo, v16
	;; [unrolled: 8-line block ×6, first 2 shown]
	v_and_b32_e32 v23, v23, v16
	v_and_b32_e32 v24, v24, v36
	v_mov_b32_e32 v50, v2
	v_mbcnt_lo_u32_b32 v2, v23, 0
	v_mov_b32_e32 v47, v5
	v_mbcnt_hi_u32_b32 v5, v24, v2
	v_cmp_ne_u64_e32 vcc, 0, v[23:24]
	v_lshlrev_b32_sdwa v1, v25, v1 dst_sel:DWORD dst_unused:UNUSED_PAD src0_sel:DWORD src1_sel:BYTE_0
	v_cmp_eq_u32_e64 s[28:29], 0, v5
	v_mov_b32_e32 v43, v8
	v_mov_b32_e32 v45, v7
	;; [unrolled: 1-line block ×13, first 2 shown]
	s_and_b64 s[38:39], vcc, s[28:29]
	v_add_u32_e32 v6, v33, v1
	ds_write2_b64 v26, v[13:14], v[11:12] offset0:4 offset1:5
	s_waitcnt lgkmcnt(0)
	s_barrier
	; wave barrier
	s_and_saveexec_b64 s[28:29], s[38:39]
; %bb.5:                                ;   in Loop: Header=BB239_4 Depth=2
	v_bcnt_u32_b32 v1, v23, 0
	v_bcnt_u32_b32 v1, v24, v1
	ds_write_b32 v6, v1 offset:32
; %bb.6:                                ;   in Loop: Header=BB239_4 Depth=2
	s_or_b64 exec, exec, s[28:29]
	v_lshrrev_b32_e32 v1, v34, v50
	v_lshlrev_b32_sdwa v2, v25, v1 dst_sel:DWORD dst_unused:UNUSED_PAD src0_sel:DWORD src1_sel:BYTE_0
	v_add_u32_e32 v8, v33, v2
	v_and_b32_e32 v2, 1, v1
	v_add_co_u32_e32 v3, vcc, -1, v2
	v_addc_co_u32_e64 v4, s[28:29], 0, -1, vcc
	v_cmp_ne_u32_e32 vcc, 0, v2
	v_lshlrev_b32_e32 v16, 30, v1
	v_xor_b32_e32 v2, vcc_hi, v4
	v_xor_b32_e32 v3, vcc_lo, v3
	v_cmp_gt_i64_e32 vcc, 0, v[15:16]
	v_not_b32_e32 v4, v16
	v_ashrrev_i32_e32 v4, 31, v4
	v_and_b32_e32 v3, exec_lo, v3
	v_xor_b32_e32 v9, vcc_hi, v4
	v_xor_b32_e32 v4, vcc_lo, v4
	v_lshlrev_b32_e32 v16, 29, v1
	v_and_b32_e32 v3, v3, v4
	v_cmp_gt_i64_e32 vcc, 0, v[15:16]
	v_not_b32_e32 v4, v16
	v_and_b32_e32 v2, exec_hi, v2
	v_ashrrev_i32_e32 v4, 31, v4
	v_and_b32_e32 v2, v2, v9
	v_xor_b32_e32 v9, vcc_hi, v4
	v_xor_b32_e32 v4, vcc_lo, v4
	v_lshlrev_b32_e32 v16, 28, v1
	v_and_b32_e32 v3, v3, v4
	v_cmp_gt_i64_e32 vcc, 0, v[15:16]
	v_not_b32_e32 v4, v16
	v_ashrrev_i32_e32 v4, 31, v4
	v_and_b32_e32 v2, v2, v9
	v_xor_b32_e32 v9, vcc_hi, v4
	v_xor_b32_e32 v4, vcc_lo, v4
	v_lshlrev_b32_e32 v16, 27, v1
	v_and_b32_e32 v3, v3, v4
	v_cmp_gt_i64_e32 vcc, 0, v[15:16]
	v_not_b32_e32 v4, v16
	;; [unrolled: 8-line block ×4, first 2 shown]
	v_ashrrev_i32_e32 v4, 31, v4
	v_lshlrev_b32_e32 v16, 24, v1
	v_and_b32_e32 v2, v2, v9
	v_xor_b32_e32 v9, vcc_hi, v4
	v_xor_b32_e32 v4, vcc_lo, v4
	v_cmp_gt_i64_e32 vcc, 0, v[15:16]
	v_not_b32_e32 v1, v16
	v_ashrrev_i32_e32 v1, 31, v1
	v_and_b32_e32 v3, v3, v4
	v_xor_b32_e32 v4, vcc_hi, v1
	v_xor_b32_e32 v1, vcc_lo, v1
	; wave barrier
	ds_read_b32 v7, v8 offset:32
	v_and_b32_e32 v2, v2, v9
	v_and_b32_e32 v1, v3, v1
	;; [unrolled: 1-line block ×3, first 2 shown]
	v_mbcnt_lo_u32_b32 v3, v1, 0
	v_mbcnt_hi_u32_b32 v9, v2, v3
	v_cmp_ne_u64_e32 vcc, 0, v[1:2]
	v_cmp_eq_u32_e64 s[28:29], 0, v9
	s_and_b64 s[38:39], vcc, s[28:29]
	; wave barrier
	s_and_saveexec_b64 s[28:29], s[38:39]
	s_cbranch_execz .LBB239_8
; %bb.7:                                ;   in Loop: Header=BB239_4 Depth=2
	v_bcnt_u32_b32 v1, v1, 0
	v_bcnt_u32_b32 v1, v2, v1
	s_waitcnt lgkmcnt(0)
	v_add_u32_e32 v1, v7, v1
	ds_write_b32 v8, v1 offset:32
.LBB239_8:                              ;   in Loop: Header=BB239_4 Depth=2
	s_or_b64 exec, exec, s[28:29]
	v_lshrrev_b32_e32 v1, v34, v49
	v_lshlrev_b32_sdwa v2, v25, v1 dst_sel:DWORD dst_unused:UNUSED_PAD src0_sel:DWORD src1_sel:BYTE_0
	v_add_u32_e32 v17, v33, v2
	v_and_b32_e32 v2, 1, v1
	v_add_co_u32_e32 v3, vcc, -1, v2
	v_addc_co_u32_e64 v4, s[28:29], 0, -1, vcc
	v_cmp_ne_u32_e32 vcc, 0, v2
	v_lshlrev_b32_e32 v16, 30, v1
	v_xor_b32_e32 v2, vcc_hi, v4
	v_xor_b32_e32 v3, vcc_lo, v3
	v_cmp_gt_i64_e32 vcc, 0, v[15:16]
	v_not_b32_e32 v4, v16
	v_ashrrev_i32_e32 v4, 31, v4
	v_and_b32_e32 v2, exec_hi, v2
	v_xor_b32_e32 v16, vcc_hi, v4
	v_and_b32_e32 v3, exec_lo, v3
	v_xor_b32_e32 v4, vcc_lo, v4
	v_and_b32_e32 v2, v2, v16
	v_lshlrev_b32_e32 v16, 29, v1
	v_and_b32_e32 v3, v3, v4
	v_cmp_gt_i64_e32 vcc, 0, v[15:16]
	v_not_b32_e32 v4, v16
	v_ashrrev_i32_e32 v4, 31, v4
	v_xor_b32_e32 v16, vcc_hi, v4
	v_xor_b32_e32 v4, vcc_lo, v4
	v_and_b32_e32 v2, v2, v16
	v_lshlrev_b32_e32 v16, 28, v1
	v_and_b32_e32 v3, v3, v4
	v_cmp_gt_i64_e32 vcc, 0, v[15:16]
	v_not_b32_e32 v4, v16
	v_ashrrev_i32_e32 v4, 31, v4
	v_xor_b32_e32 v16, vcc_hi, v4
	;; [unrolled: 8-line block ×5, first 2 shown]
	v_and_b32_e32 v2, v2, v16
	v_lshlrev_b32_e32 v16, 24, v1
	v_xor_b32_e32 v4, vcc_lo, v4
	v_cmp_gt_i64_e32 vcc, 0, v[15:16]
	v_not_b32_e32 v1, v16
	v_ashrrev_i32_e32 v1, 31, v1
	v_and_b32_e32 v3, v3, v4
	v_xor_b32_e32 v4, vcc_hi, v1
	v_xor_b32_e32 v1, vcc_lo, v1
	; wave barrier
	ds_read_b32 v10, v17 offset:32
	v_and_b32_e32 v1, v3, v1
	v_and_b32_e32 v2, v2, v4
	v_mbcnt_lo_u32_b32 v3, v1, 0
	v_mbcnt_hi_u32_b32 v18, v2, v3
	v_cmp_ne_u64_e32 vcc, 0, v[1:2]
	v_cmp_eq_u32_e64 s[28:29], 0, v18
	s_and_b64 s[38:39], vcc, s[28:29]
	; wave barrier
	s_and_saveexec_b64 s[28:29], s[38:39]
	s_cbranch_execz .LBB239_10
; %bb.9:                                ;   in Loop: Header=BB239_4 Depth=2
	v_bcnt_u32_b32 v1, v1, 0
	v_bcnt_u32_b32 v1, v2, v1
	s_waitcnt lgkmcnt(0)
	v_add_u32_e32 v1, v10, v1
	ds_write_b32 v17, v1 offset:32
.LBB239_10:                             ;   in Loop: Header=BB239_4 Depth=2
	s_or_b64 exec, exec, s[28:29]
	v_lshrrev_b32_e32 v1, v34, v48
	v_lshlrev_b32_sdwa v2, v25, v1 dst_sel:DWORD dst_unused:UNUSED_PAD src0_sel:DWORD src1_sel:BYTE_0
	v_add_u32_e32 v20, v33, v2
	v_and_b32_e32 v2, 1, v1
	v_add_co_u32_e32 v3, vcc, -1, v2
	v_addc_co_u32_e64 v4, s[28:29], 0, -1, vcc
	v_cmp_ne_u32_e32 vcc, 0, v2
	v_lshlrev_b32_e32 v16, 30, v1
	v_xor_b32_e32 v2, vcc_hi, v4
	v_xor_b32_e32 v3, vcc_lo, v3
	v_cmp_gt_i64_e32 vcc, 0, v[15:16]
	v_not_b32_e32 v4, v16
	v_ashrrev_i32_e32 v4, 31, v4
	v_and_b32_e32 v2, exec_hi, v2
	v_xor_b32_e32 v16, vcc_hi, v4
	v_and_b32_e32 v3, exec_lo, v3
	v_xor_b32_e32 v4, vcc_lo, v4
	v_and_b32_e32 v2, v2, v16
	v_lshlrev_b32_e32 v16, 29, v1
	v_and_b32_e32 v3, v3, v4
	v_cmp_gt_i64_e32 vcc, 0, v[15:16]
	v_not_b32_e32 v4, v16
	v_ashrrev_i32_e32 v4, 31, v4
	v_xor_b32_e32 v16, vcc_hi, v4
	v_xor_b32_e32 v4, vcc_lo, v4
	v_and_b32_e32 v2, v2, v16
	v_lshlrev_b32_e32 v16, 28, v1
	v_and_b32_e32 v3, v3, v4
	v_cmp_gt_i64_e32 vcc, 0, v[15:16]
	v_not_b32_e32 v4, v16
	v_ashrrev_i32_e32 v4, 31, v4
	v_xor_b32_e32 v16, vcc_hi, v4
	;; [unrolled: 8-line block ×5, first 2 shown]
	v_and_b32_e32 v2, v2, v16
	v_lshlrev_b32_e32 v16, 24, v1
	v_xor_b32_e32 v4, vcc_lo, v4
	v_cmp_gt_i64_e32 vcc, 0, v[15:16]
	v_not_b32_e32 v1, v16
	v_ashrrev_i32_e32 v1, 31, v1
	v_and_b32_e32 v3, v3, v4
	v_xor_b32_e32 v4, vcc_hi, v1
	v_xor_b32_e32 v1, vcc_lo, v1
	; wave barrier
	ds_read_b32 v19, v20 offset:32
	v_and_b32_e32 v1, v3, v1
	v_and_b32_e32 v2, v2, v4
	v_mbcnt_lo_u32_b32 v3, v1, 0
	v_mbcnt_hi_u32_b32 v21, v2, v3
	v_cmp_ne_u64_e32 vcc, 0, v[1:2]
	v_cmp_eq_u32_e64 s[28:29], 0, v21
	s_and_b64 s[38:39], vcc, s[28:29]
	; wave barrier
	s_and_saveexec_b64 s[28:29], s[38:39]
	s_cbranch_execz .LBB239_12
; %bb.11:                               ;   in Loop: Header=BB239_4 Depth=2
	v_bcnt_u32_b32 v1, v1, 0
	v_bcnt_u32_b32 v1, v2, v1
	s_waitcnt lgkmcnt(0)
	v_add_u32_e32 v1, v19, v1
	ds_write_b32 v20, v1 offset:32
.LBB239_12:                             ;   in Loop: Header=BB239_4 Depth=2
	s_or_b64 exec, exec, s[28:29]
	v_lshrrev_b32_e32 v1, v34, v47
	v_lshlrev_b32_sdwa v2, v25, v1 dst_sel:DWORD dst_unused:UNUSED_PAD src0_sel:DWORD src1_sel:BYTE_0
	v_add_u32_e32 v23, v33, v2
	v_and_b32_e32 v2, 1, v1
	v_add_co_u32_e32 v3, vcc, -1, v2
	v_addc_co_u32_e64 v4, s[28:29], 0, -1, vcc
	v_cmp_ne_u32_e32 vcc, 0, v2
	v_lshlrev_b32_e32 v16, 30, v1
	v_xor_b32_e32 v2, vcc_hi, v4
	v_xor_b32_e32 v3, vcc_lo, v3
	v_cmp_gt_i64_e32 vcc, 0, v[15:16]
	v_not_b32_e32 v4, v16
	v_ashrrev_i32_e32 v4, 31, v4
	v_and_b32_e32 v2, exec_hi, v2
	v_xor_b32_e32 v16, vcc_hi, v4
	v_and_b32_e32 v3, exec_lo, v3
	v_xor_b32_e32 v4, vcc_lo, v4
	v_and_b32_e32 v2, v2, v16
	v_lshlrev_b32_e32 v16, 29, v1
	v_and_b32_e32 v3, v3, v4
	v_cmp_gt_i64_e32 vcc, 0, v[15:16]
	v_not_b32_e32 v4, v16
	v_ashrrev_i32_e32 v4, 31, v4
	v_xor_b32_e32 v16, vcc_hi, v4
	v_xor_b32_e32 v4, vcc_lo, v4
	v_and_b32_e32 v2, v2, v16
	v_lshlrev_b32_e32 v16, 28, v1
	v_and_b32_e32 v3, v3, v4
	v_cmp_gt_i64_e32 vcc, 0, v[15:16]
	v_not_b32_e32 v4, v16
	v_ashrrev_i32_e32 v4, 31, v4
	v_xor_b32_e32 v16, vcc_hi, v4
	;; [unrolled: 8-line block ×5, first 2 shown]
	v_and_b32_e32 v2, v2, v16
	v_lshlrev_b32_e32 v16, 24, v1
	v_xor_b32_e32 v4, vcc_lo, v4
	v_cmp_gt_i64_e32 vcc, 0, v[15:16]
	v_not_b32_e32 v1, v16
	v_ashrrev_i32_e32 v1, 31, v1
	v_and_b32_e32 v3, v3, v4
	v_xor_b32_e32 v4, vcc_hi, v1
	v_xor_b32_e32 v1, vcc_lo, v1
	; wave barrier
	ds_read_b32 v22, v23 offset:32
	v_and_b32_e32 v1, v3, v1
	v_and_b32_e32 v2, v2, v4
	v_mbcnt_lo_u32_b32 v3, v1, 0
	v_mbcnt_hi_u32_b32 v24, v2, v3
	v_cmp_ne_u64_e32 vcc, 0, v[1:2]
	v_cmp_eq_u32_e64 s[28:29], 0, v24
	s_and_b64 s[38:39], vcc, s[28:29]
	; wave barrier
	s_and_saveexec_b64 s[28:29], s[38:39]
	s_cbranch_execz .LBB239_14
; %bb.13:                               ;   in Loop: Header=BB239_4 Depth=2
	v_bcnt_u32_b32 v1, v1, 0
	v_bcnt_u32_b32 v1, v2, v1
	s_waitcnt lgkmcnt(0)
	v_add_u32_e32 v1, v22, v1
	ds_write_b32 v23, v1 offset:32
.LBB239_14:                             ;   in Loop: Header=BB239_4 Depth=2
	s_or_b64 exec, exec, s[28:29]
	v_lshrrev_b32_e32 v1, v34, v46
	v_lshlrev_b32_sdwa v2, v25, v1 dst_sel:DWORD dst_unused:UNUSED_PAD src0_sel:DWORD src1_sel:BYTE_0
	v_add_u32_e32 v52, v33, v2
	v_and_b32_e32 v2, 1, v1
	v_add_co_u32_e32 v3, vcc, -1, v2
	v_addc_co_u32_e64 v4, s[28:29], 0, -1, vcc
	v_cmp_ne_u32_e32 vcc, 0, v2
	v_lshlrev_b32_e32 v16, 30, v1
	v_xor_b32_e32 v2, vcc_hi, v4
	v_xor_b32_e32 v3, vcc_lo, v3
	v_cmp_gt_i64_e32 vcc, 0, v[15:16]
	v_not_b32_e32 v4, v16
	v_ashrrev_i32_e32 v4, 31, v4
	v_and_b32_e32 v2, exec_hi, v2
	v_xor_b32_e32 v16, vcc_hi, v4
	v_and_b32_e32 v3, exec_lo, v3
	v_xor_b32_e32 v4, vcc_lo, v4
	v_and_b32_e32 v2, v2, v16
	v_lshlrev_b32_e32 v16, 29, v1
	v_and_b32_e32 v3, v3, v4
	v_cmp_gt_i64_e32 vcc, 0, v[15:16]
	v_not_b32_e32 v4, v16
	v_ashrrev_i32_e32 v4, 31, v4
	v_xor_b32_e32 v16, vcc_hi, v4
	v_xor_b32_e32 v4, vcc_lo, v4
	v_and_b32_e32 v2, v2, v16
	v_lshlrev_b32_e32 v16, 28, v1
	v_and_b32_e32 v3, v3, v4
	v_cmp_gt_i64_e32 vcc, 0, v[15:16]
	v_not_b32_e32 v4, v16
	v_ashrrev_i32_e32 v4, 31, v4
	v_xor_b32_e32 v16, vcc_hi, v4
	v_xor_b32_e32 v4, vcc_lo, v4
	v_and_b32_e32 v2, v2, v16
	v_lshlrev_b32_e32 v16, 27, v1
	v_and_b32_e32 v3, v3, v4
	v_cmp_gt_i64_e32 vcc, 0, v[15:16]
	v_not_b32_e32 v4, v16
	v_ashrrev_i32_e32 v4, 31, v4
	v_xor_b32_e32 v16, vcc_hi, v4
	v_xor_b32_e32 v4, vcc_lo, v4
	v_and_b32_e32 v2, v2, v16
	v_lshlrev_b32_e32 v16, 26, v1
	v_and_b32_e32 v3, v3, v4
	v_cmp_gt_i64_e32 vcc, 0, v[15:16]
	v_not_b32_e32 v4, v16
	v_ashrrev_i32_e32 v4, 31, v4
	v_xor_b32_e32 v16, vcc_hi, v4
	v_xor_b32_e32 v4, vcc_lo, v4
	v_and_b32_e32 v2, v2, v16
	v_lshlrev_b32_e32 v16, 25, v1
	v_and_b32_e32 v3, v3, v4
	v_cmp_gt_i64_e32 vcc, 0, v[15:16]
	v_not_b32_e32 v4, v16
	v_ashrrev_i32_e32 v4, 31, v4
	v_xor_b32_e32 v16, vcc_hi, v4
	v_and_b32_e32 v2, v2, v16
	v_lshlrev_b32_e32 v16, 24, v1
	v_xor_b32_e32 v4, vcc_lo, v4
	v_cmp_gt_i64_e32 vcc, 0, v[15:16]
	v_not_b32_e32 v1, v16
	v_ashrrev_i32_e32 v1, 31, v1
	v_and_b32_e32 v3, v3, v4
	v_xor_b32_e32 v4, vcc_hi, v1
	v_xor_b32_e32 v1, vcc_lo, v1
	; wave barrier
	ds_read_b32 v51, v52 offset:32
	v_and_b32_e32 v1, v3, v1
	v_and_b32_e32 v2, v2, v4
	v_mbcnt_lo_u32_b32 v3, v1, 0
	v_mbcnt_hi_u32_b32 v53, v2, v3
	v_cmp_ne_u64_e32 vcc, 0, v[1:2]
	v_cmp_eq_u32_e64 s[28:29], 0, v53
	s_and_b64 s[38:39], vcc, s[28:29]
	; wave barrier
	s_and_saveexec_b64 s[28:29], s[38:39]
	s_cbranch_execz .LBB239_16
; %bb.15:                               ;   in Loop: Header=BB239_4 Depth=2
	v_bcnt_u32_b32 v1, v1, 0
	v_bcnt_u32_b32 v1, v2, v1
	s_waitcnt lgkmcnt(0)
	v_add_u32_e32 v1, v51, v1
	ds_write_b32 v52, v1 offset:32
.LBB239_16:                             ;   in Loop: Header=BB239_4 Depth=2
	s_or_b64 exec, exec, s[28:29]
	v_lshrrev_b32_e32 v1, v34, v45
	v_lshlrev_b32_sdwa v2, v25, v1 dst_sel:DWORD dst_unused:UNUSED_PAD src0_sel:DWORD src1_sel:BYTE_0
	v_add_u32_e32 v55, v33, v2
	v_and_b32_e32 v2, 1, v1
	v_add_co_u32_e32 v3, vcc, -1, v2
	v_addc_co_u32_e64 v4, s[28:29], 0, -1, vcc
	v_cmp_ne_u32_e32 vcc, 0, v2
	v_lshlrev_b32_e32 v16, 30, v1
	v_xor_b32_e32 v2, vcc_hi, v4
	v_xor_b32_e32 v3, vcc_lo, v3
	v_cmp_gt_i64_e32 vcc, 0, v[15:16]
	v_not_b32_e32 v4, v16
	v_ashrrev_i32_e32 v4, 31, v4
	v_and_b32_e32 v2, exec_hi, v2
	v_xor_b32_e32 v16, vcc_hi, v4
	v_and_b32_e32 v3, exec_lo, v3
	v_xor_b32_e32 v4, vcc_lo, v4
	v_and_b32_e32 v2, v2, v16
	v_lshlrev_b32_e32 v16, 29, v1
	v_and_b32_e32 v3, v3, v4
	v_cmp_gt_i64_e32 vcc, 0, v[15:16]
	v_not_b32_e32 v4, v16
	v_ashrrev_i32_e32 v4, 31, v4
	v_xor_b32_e32 v16, vcc_hi, v4
	v_xor_b32_e32 v4, vcc_lo, v4
	v_and_b32_e32 v2, v2, v16
	v_lshlrev_b32_e32 v16, 28, v1
	v_and_b32_e32 v3, v3, v4
	v_cmp_gt_i64_e32 vcc, 0, v[15:16]
	v_not_b32_e32 v4, v16
	v_ashrrev_i32_e32 v4, 31, v4
	v_xor_b32_e32 v16, vcc_hi, v4
	;; [unrolled: 8-line block ×5, first 2 shown]
	v_and_b32_e32 v2, v2, v16
	v_lshlrev_b32_e32 v16, 24, v1
	v_xor_b32_e32 v4, vcc_lo, v4
	v_cmp_gt_i64_e32 vcc, 0, v[15:16]
	v_not_b32_e32 v1, v16
	v_ashrrev_i32_e32 v1, 31, v1
	v_and_b32_e32 v3, v3, v4
	v_xor_b32_e32 v4, vcc_hi, v1
	v_xor_b32_e32 v1, vcc_lo, v1
	; wave barrier
	ds_read_b32 v54, v55 offset:32
	v_and_b32_e32 v1, v3, v1
	v_and_b32_e32 v2, v2, v4
	v_mbcnt_lo_u32_b32 v3, v1, 0
	v_mbcnt_hi_u32_b32 v56, v2, v3
	v_cmp_ne_u64_e32 vcc, 0, v[1:2]
	v_cmp_eq_u32_e64 s[28:29], 0, v56
	s_and_b64 s[38:39], vcc, s[28:29]
	; wave barrier
	s_and_saveexec_b64 s[28:29], s[38:39]
	s_cbranch_execz .LBB239_18
; %bb.17:                               ;   in Loop: Header=BB239_4 Depth=2
	v_bcnt_u32_b32 v1, v1, 0
	v_bcnt_u32_b32 v1, v2, v1
	s_waitcnt lgkmcnt(0)
	v_add_u32_e32 v1, v54, v1
	ds_write_b32 v55, v1 offset:32
.LBB239_18:                             ;   in Loop: Header=BB239_4 Depth=2
	s_or_b64 exec, exec, s[28:29]
	v_lshrrev_b32_e32 v1, v34, v43
	v_lshlrev_b32_sdwa v2, v25, v1 dst_sel:DWORD dst_unused:UNUSED_PAD src0_sel:DWORD src1_sel:BYTE_0
	v_add_u32_e32 v58, v33, v2
	v_and_b32_e32 v2, 1, v1
	v_add_co_u32_e32 v3, vcc, -1, v2
	v_addc_co_u32_e64 v4, s[28:29], 0, -1, vcc
	v_cmp_ne_u32_e32 vcc, 0, v2
	v_lshlrev_b32_e32 v16, 30, v1
	v_xor_b32_e32 v2, vcc_hi, v4
	v_xor_b32_e32 v3, vcc_lo, v3
	v_cmp_gt_i64_e32 vcc, 0, v[15:16]
	v_not_b32_e32 v4, v16
	v_ashrrev_i32_e32 v4, 31, v4
	v_and_b32_e32 v2, exec_hi, v2
	v_xor_b32_e32 v16, vcc_hi, v4
	v_and_b32_e32 v3, exec_lo, v3
	v_xor_b32_e32 v4, vcc_lo, v4
	v_and_b32_e32 v2, v2, v16
	v_lshlrev_b32_e32 v16, 29, v1
	v_and_b32_e32 v3, v3, v4
	v_cmp_gt_i64_e32 vcc, 0, v[15:16]
	v_not_b32_e32 v4, v16
	v_ashrrev_i32_e32 v4, 31, v4
	v_xor_b32_e32 v16, vcc_hi, v4
	v_xor_b32_e32 v4, vcc_lo, v4
	v_and_b32_e32 v2, v2, v16
	v_lshlrev_b32_e32 v16, 28, v1
	v_and_b32_e32 v3, v3, v4
	v_cmp_gt_i64_e32 vcc, 0, v[15:16]
	v_not_b32_e32 v4, v16
	v_ashrrev_i32_e32 v4, 31, v4
	v_xor_b32_e32 v16, vcc_hi, v4
	;; [unrolled: 8-line block ×5, first 2 shown]
	v_and_b32_e32 v2, v2, v16
	v_lshlrev_b32_e32 v16, 24, v1
	v_xor_b32_e32 v4, vcc_lo, v4
	v_cmp_gt_i64_e32 vcc, 0, v[15:16]
	v_not_b32_e32 v1, v16
	v_ashrrev_i32_e32 v1, 31, v1
	v_and_b32_e32 v3, v3, v4
	v_xor_b32_e32 v4, vcc_hi, v1
	v_xor_b32_e32 v1, vcc_lo, v1
	; wave barrier
	ds_read_b32 v57, v58 offset:32
	v_and_b32_e32 v1, v3, v1
	v_and_b32_e32 v2, v2, v4
	v_mbcnt_lo_u32_b32 v3, v1, 0
	v_mbcnt_hi_u32_b32 v16, v2, v3
	v_cmp_ne_u64_e32 vcc, 0, v[1:2]
	v_cmp_eq_u32_e64 s[28:29], 0, v16
	s_and_b64 s[38:39], vcc, s[28:29]
	; wave barrier
	s_and_saveexec_b64 s[28:29], s[38:39]
	s_cbranch_execz .LBB239_20
; %bb.19:                               ;   in Loop: Header=BB239_4 Depth=2
	v_bcnt_u32_b32 v1, v1, 0
	v_bcnt_u32_b32 v1, v2, v1
	s_waitcnt lgkmcnt(0)
	v_add_u32_e32 v1, v57, v1
	ds_write_b32 v58, v1 offset:32
.LBB239_20:                             ;   in Loop: Header=BB239_4 Depth=2
	s_or_b64 exec, exec, s[28:29]
	; wave barrier
	s_waitcnt lgkmcnt(0)
	s_barrier
	ds_read2_b64 v[1:4], v26 offset0:4 offset1:5
	s_waitcnt lgkmcnt(0)
	v_add_u32_e32 v59, v2, v1
	v_add3_u32 v4, v59, v3, v4
	s_nop 1
	v_mov_b32_dpp v59, v4 row_shr:1 row_mask:0xf bank_mask:0xf
	v_cndmask_b32_e64 v59, v59, 0, s[10:11]
	v_add_u32_e32 v4, v59, v4
	s_nop 1
	v_mov_b32_dpp v59, v4 row_shr:2 row_mask:0xf bank_mask:0xf
	v_cndmask_b32_e64 v59, 0, v59, s[12:13]
	v_add_u32_e32 v4, v4, v59
	;; [unrolled: 4-line block ×4, first 2 shown]
	s_nop 1
	v_mov_b32_dpp v59, v4 row_bcast:15 row_mask:0xf bank_mask:0xf
	v_cndmask_b32_e64 v59, v59, 0, s[18:19]
	v_add_u32_e32 v4, v4, v59
	s_nop 1
	v_mov_b32_dpp v59, v4 row_bcast:31 row_mask:0xf bank_mask:0xf
	v_cndmask_b32_e64 v59, 0, v59, s[6:7]
	v_add_u32_e32 v4, v4, v59
	s_and_saveexec_b64 s[28:29], s[20:21]
; %bb.21:                               ;   in Loop: Header=BB239_4 Depth=2
	ds_write_b32 v29, v4
; %bb.22:                               ;   in Loop: Header=BB239_4 Depth=2
	s_or_b64 exec, exec, s[28:29]
	s_waitcnt lgkmcnt(0)
	s_barrier
	s_and_saveexec_b64 s[28:29], s[0:1]
	s_cbranch_execz .LBB239_24
; %bb.23:                               ;   in Loop: Header=BB239_4 Depth=2
	v_add_u32_e32 v59, v26, v27
	ds_read_b32 v60, v59
	s_waitcnt lgkmcnt(0)
	s_nop 0
	v_mov_b32_dpp v61, v60 row_shr:1 row_mask:0xf bank_mask:0xf
	v_cndmask_b32_e64 v61, v61, 0, s[22:23]
	v_add_u32_e32 v60, v61, v60
	s_nop 1
	v_mov_b32_dpp v61, v60 row_shr:2 row_mask:0xf bank_mask:0xf
	v_cndmask_b32_e64 v61, 0, v61, s[24:25]
	v_add_u32_e32 v60, v60, v61
	s_nop 1
	v_mov_b32_dpp v61, v60 row_shr:4 row_mask:0xf bank_mask:0xf
	v_cndmask_b32_e64 v61, 0, v61, s[26:27]
	v_add_u32_e32 v60, v60, v61
	ds_write_b32 v59, v60
.LBB239_24:                             ;   in Loop: Header=BB239_4 Depth=2
	s_or_b64 exec, exec, s[28:29]
	v_mov_b32_e32 v59, 0
	s_waitcnt lgkmcnt(0)
	s_barrier
	s_and_saveexec_b64 s[28:29], s[2:3]
; %bb.25:                               ;   in Loop: Header=BB239_4 Depth=2
	ds_read_b32 v59, v31
; %bb.26:                               ;   in Loop: Header=BB239_4 Depth=2
	s_or_b64 exec, exec, s[28:29]
	s_waitcnt lgkmcnt(0)
	v_add_u32_e32 v4, v59, v4
	ds_bpermute_b32 v4, v32, v4
	v_cmp_lt_u32_e32 vcc, 23, v34
	s_and_b64 vcc, exec, vcc
	s_mov_b64 s[28:29], -1
	s_waitcnt lgkmcnt(0)
	v_cndmask_b32_e64 v4, v4, v59, s[8:9]
	v_cndmask_b32_e64 v59, v4, 0, s[4:5]
	v_add_u32_e32 v60, v59, v1
	v_add_u32_e32 v1, v60, v2
	;; [unrolled: 1-line block ×3, first 2 shown]
	ds_write2_b64 v26, v[59:60], v[1:2] offset0:4 offset1:5
	s_waitcnt lgkmcnt(0)
	s_barrier
	ds_read_b32 v1, v6 offset:32
	ds_read_b32 v2, v8 offset:32
	;; [unrolled: 1-line block ×8, first 2 shown]
	s_waitcnt lgkmcnt(7)
	v_add_u32_e32 v60, v1, v5
	s_waitcnt lgkmcnt(6)
	v_add3_u32 v59, v9, v7, v2
	s_waitcnt lgkmcnt(5)
	v_add3_u32 v58, v18, v10, v3
	;; [unrolled: 2-line block ×7, first 2 shown]
                                        ; implicit-def: $vgpr8
                                        ; implicit-def: $vgpr6
                                        ; implicit-def: $vgpr4
                                        ; implicit-def: $vgpr2
                                        ; implicit-def: $vgpr22
                                        ; implicit-def: $vgpr20
                                        ; implicit-def: $vgpr18
                                        ; implicit-def: $vgpr10
	s_cbranch_vccnz .LBB239_3
; %bb.27:                               ;   in Loop: Header=BB239_4 Depth=2
	v_lshlrev_b32_e32 v9, 2, v60
	v_lshlrev_b32_e32 v10, 2, v59
	;; [unrolled: 1-line block ×8, first 2 shown]
	s_barrier
	ds_write_b32 v9, v35
	ds_write_b32 v10, v50
	;; [unrolled: 1-line block ×8, first 2 shown]
	s_waitcnt lgkmcnt(0)
	s_barrier
	ds_read2st64_b32 v[1:2], v30 offset1:1
	ds_read2st64_b32 v[3:4], v30 offset0:2 offset1:3
	ds_read2st64_b32 v[5:6], v30 offset0:4 offset1:5
	;; [unrolled: 1-line block ×3, first 2 shown]
	s_waitcnt lgkmcnt(0)
	s_barrier
	ds_write_b32 v9, v44
	ds_write_b32 v10, v42
	;; [unrolled: 1-line block ×8, first 2 shown]
	s_waitcnt lgkmcnt(0)
	s_barrier
	ds_read2st64_b32 v[9:10], v30 offset1:1
	ds_read2st64_b32 v[17:18], v30 offset0:2 offset1:3
	ds_read2st64_b32 v[19:20], v30 offset0:4 offset1:5
	;; [unrolled: 1-line block ×3, first 2 shown]
	v_add_u32_e32 v34, 8, v34
	s_mov_b64 s[28:29], 0
	s_waitcnt lgkmcnt(0)
	s_barrier
	s_branch .LBB239_3
.LBB239_28:
	s_add_u32 s0, s30, s34
	s_addc_u32 s1, s31, s35
	v_lshlrev_b32_e32 v0, 2, v0
	s_waitcnt lgkmcnt(3)
	v_add_u32_e32 v1, v7, v18
	v_add_u32_e32 v2, v8, v19
	s_waitcnt lgkmcnt(2)
	v_add_u32_e32 v7, v9, v22
	v_add_u32_e32 v8, v10, v23
	v_mov_b32_e32 v9, s1
	v_add_co_u32_e32 v10, vcc, s0, v0
	v_addc_co_u32_e32 v9, vcc, 0, v9, vcc
	global_store_dword v0, v1, s[0:1]
	global_store_dword v0, v2, s[0:1] offset:2048
	s_movk_i32 s0, 0x1000
	v_add_co_u32_e32 v0, vcc, s0, v10
	v_addc_co_u32_e32 v1, vcc, 0, v9, vcc
	global_store_dword v[0:1], v7, off
	global_store_dword v[0:1], v8, off offset:2048
	v_add_co_u32_e32 v0, vcc, 0x2000, v10
	s_waitcnt lgkmcnt(1)
	v_add_u32_e32 v3, v3, v16
	v_addc_co_u32_e32 v1, vcc, 0, v9, vcc
	v_add_u32_e32 v4, v4, v17
	global_store_dword v[0:1], v3, off
	global_store_dword v[0:1], v4, off offset:2048
	v_add_co_u32_e32 v0, vcc, 0x3000, v10
	s_waitcnt lgkmcnt(0)
	v_add_u32_e32 v5, v5, v20
	v_addc_co_u32_e32 v1, vcc, 0, v9, vcc
	v_add_u32_e32 v6, v6, v21
	global_store_dword v[0:1], v5, off
	global_store_dword v[0:1], v6, off offset:2048
	s_endpgm
	.section	.rodata,"a",@progbits
	.p2align	6, 0x0
	.amdhsa_kernel _Z17sort_pairs_kernelI22helper_blocked_stripediLj512ELj8ELj10EEvPKT0_PS1_
		.amdhsa_group_segment_fixed_size 16384
		.amdhsa_private_segment_fixed_size 0
		.amdhsa_kernarg_size 272
		.amdhsa_user_sgpr_count 6
		.amdhsa_user_sgpr_private_segment_buffer 1
		.amdhsa_user_sgpr_dispatch_ptr 0
		.amdhsa_user_sgpr_queue_ptr 0
		.amdhsa_user_sgpr_kernarg_segment_ptr 1
		.amdhsa_user_sgpr_dispatch_id 0
		.amdhsa_user_sgpr_flat_scratch_init 0
		.amdhsa_user_sgpr_private_segment_size 0
		.amdhsa_uses_dynamic_stack 0
		.amdhsa_system_sgpr_private_segment_wavefront_offset 0
		.amdhsa_system_sgpr_workgroup_id_x 1
		.amdhsa_system_sgpr_workgroup_id_y 0
		.amdhsa_system_sgpr_workgroup_id_z 0
		.amdhsa_system_sgpr_workgroup_info 0
		.amdhsa_system_vgpr_workitem_id 2
		.amdhsa_next_free_vgpr 62
		.amdhsa_next_free_sgpr 61
		.amdhsa_reserve_vcc 1
		.amdhsa_reserve_flat_scratch 0
		.amdhsa_float_round_mode_32 0
		.amdhsa_float_round_mode_16_64 0
		.amdhsa_float_denorm_mode_32 3
		.amdhsa_float_denorm_mode_16_64 3
		.amdhsa_dx10_clamp 1
		.amdhsa_ieee_mode 1
		.amdhsa_fp16_overflow 0
		.amdhsa_exception_fp_ieee_invalid_op 0
		.amdhsa_exception_fp_denorm_src 0
		.amdhsa_exception_fp_ieee_div_zero 0
		.amdhsa_exception_fp_ieee_overflow 0
		.amdhsa_exception_fp_ieee_underflow 0
		.amdhsa_exception_fp_ieee_inexact 0
		.amdhsa_exception_int_div_zero 0
	.end_amdhsa_kernel
	.section	.text._Z17sort_pairs_kernelI22helper_blocked_stripediLj512ELj8ELj10EEvPKT0_PS1_,"axG",@progbits,_Z17sort_pairs_kernelI22helper_blocked_stripediLj512ELj8ELj10EEvPKT0_PS1_,comdat
.Lfunc_end239:
	.size	_Z17sort_pairs_kernelI22helper_blocked_stripediLj512ELj8ELj10EEvPKT0_PS1_, .Lfunc_end239-_Z17sort_pairs_kernelI22helper_blocked_stripediLj512ELj8ELj10EEvPKT0_PS1_
                                        ; -- End function
	.set _Z17sort_pairs_kernelI22helper_blocked_stripediLj512ELj8ELj10EEvPKT0_PS1_.num_vgpr, 62
	.set _Z17sort_pairs_kernelI22helper_blocked_stripediLj512ELj8ELj10EEvPKT0_PS1_.num_agpr, 0
	.set _Z17sort_pairs_kernelI22helper_blocked_stripediLj512ELj8ELj10EEvPKT0_PS1_.numbered_sgpr, 40
	.set _Z17sort_pairs_kernelI22helper_blocked_stripediLj512ELj8ELj10EEvPKT0_PS1_.num_named_barrier, 0
	.set _Z17sort_pairs_kernelI22helper_blocked_stripediLj512ELj8ELj10EEvPKT0_PS1_.private_seg_size, 0
	.set _Z17sort_pairs_kernelI22helper_blocked_stripediLj512ELj8ELj10EEvPKT0_PS1_.uses_vcc, 1
	.set _Z17sort_pairs_kernelI22helper_blocked_stripediLj512ELj8ELj10EEvPKT0_PS1_.uses_flat_scratch, 0
	.set _Z17sort_pairs_kernelI22helper_blocked_stripediLj512ELj8ELj10EEvPKT0_PS1_.has_dyn_sized_stack, 0
	.set _Z17sort_pairs_kernelI22helper_blocked_stripediLj512ELj8ELj10EEvPKT0_PS1_.has_recursion, 0
	.set _Z17sort_pairs_kernelI22helper_blocked_stripediLj512ELj8ELj10EEvPKT0_PS1_.has_indirect_call, 0
	.section	.AMDGPU.csdata,"",@progbits
; Kernel info:
; codeLenInByte = 4884
; TotalNumSgprs: 44
; NumVgprs: 62
; ScratchSize: 0
; MemoryBound: 0
; FloatMode: 240
; IeeeMode: 1
; LDSByteSize: 16384 bytes/workgroup (compile time only)
; SGPRBlocks: 8
; VGPRBlocks: 15
; NumSGPRsForWavesPerEU: 65
; NumVGPRsForWavesPerEU: 62
; Occupancy: 4
; WaveLimiterHint : 1
; COMPUTE_PGM_RSRC2:SCRATCH_EN: 0
; COMPUTE_PGM_RSRC2:USER_SGPR: 6
; COMPUTE_PGM_RSRC2:TRAP_HANDLER: 0
; COMPUTE_PGM_RSRC2:TGID_X_EN: 1
; COMPUTE_PGM_RSRC2:TGID_Y_EN: 0
; COMPUTE_PGM_RSRC2:TGID_Z_EN: 0
; COMPUTE_PGM_RSRC2:TIDIG_COMP_CNT: 2
	.section	.text._Z16sort_keys_kernelI22helper_blocked_stripedaLj64ELj1ELj10EEvPKT0_PS1_,"axG",@progbits,_Z16sort_keys_kernelI22helper_blocked_stripedaLj64ELj1ELj10EEvPKT0_PS1_,comdat
	.protected	_Z16sort_keys_kernelI22helper_blocked_stripedaLj64ELj1ELj10EEvPKT0_PS1_ ; -- Begin function _Z16sort_keys_kernelI22helper_blocked_stripedaLj64ELj1ELj10EEvPKT0_PS1_
	.globl	_Z16sort_keys_kernelI22helper_blocked_stripedaLj64ELj1ELj10EEvPKT0_PS1_
	.p2align	8
	.type	_Z16sort_keys_kernelI22helper_blocked_stripedaLj64ELj1ELj10EEvPKT0_PS1_,@function
_Z16sort_keys_kernelI22helper_blocked_stripedaLj64ELj1ELj10EEvPKT0_PS1_: ; @_Z16sort_keys_kernelI22helper_blocked_stripedaLj64ELj1ELj10EEvPKT0_PS1_
; %bb.0:
	s_load_dwordx4 s[16:19], s[4:5], 0x0
	s_load_dword s21, s[4:5], 0x1c
	s_lshl_b32 s20, s6, 6
	v_mbcnt_lo_u32_b32 v5, -1, 0
	v_mbcnt_hi_u32_b32 v5, -1, v5
	s_waitcnt lgkmcnt(0)
	s_add_u32 s0, s16, s20
	s_addc_u32 s1, s17, 0
	global_load_ubyte v4, v0, s[0:1]
	s_lshr_b32 s22, s21, 16
	v_subrev_co_u32_e64 v9, s[14:15], 1, v5
	v_and_b32_e32 v10, 64, v5
	s_and_b32 s21, s21, 0xffff
	v_mad_u32_u24 v1, v2, s22, v1
	v_cmp_lt_i32_e64 s[16:17], v9, v10
	v_mad_u32_u24 v1, v1, s21, v0
	v_cmp_eq_u32_e64 s[12:13], 0, v0
	v_and_b32_e32 v7, 15, v5
	v_and_b32_e32 v8, 16, v5
	v_cmp_lt_u32_e64 s[0:1], 31, v5
	v_cndmask_b32_e64 v5, v9, v5, s[16:17]
	v_lshrrev_b32_e32 v1, 4, v1
	v_mov_b32_e32 v3, 0
	v_lshlrev_b32_e32 v6, 4, v0
	v_cmp_eq_u32_e32 vcc, 63, v0
	v_cmp_eq_u32_e64 s[2:3], 0, v7
	v_cmp_lt_u32_e64 s[4:5], 1, v7
	v_cmp_lt_u32_e64 s[6:7], 3, v7
	;; [unrolled: 1-line block ×3, first 2 shown]
	v_cmp_eq_u32_e64 s[10:11], 0, v8
	v_lshlrev_b32_e32 v7, 2, v5
	s_or_b64 s[16:17], s[12:13], s[14:15]
	v_and_b32_e32 v8, 0xffffffc, v1
	s_mov_b32 s21, 10
	s_waitcnt vmcnt(0)
	v_xor_b32_e32 v9, 0xffffff80, v4
	s_branch .LBB240_2
.LBB240_1:                              ;   in Loop: Header=BB240_2 Depth=1
	s_or_b64 exec, exec, s[12:13]
	ds_bpermute_b32 v2, v7, v2
	s_waitcnt lgkmcnt(0)
	; wave barrier
	s_add_i32 s21, s21, -1
	s_cmp_eq_u32 s21, 0
	v_cndmask_b32_e64 v2, v2, 0, s[16:17]
	v_add_u32_e32 v4, v2, v4
	v_add_u32_e32 v5, v4, v5
	;; [unrolled: 1-line block ×3, first 2 shown]
	ds_write2_b32 v6, v2, v4 offset0:1 offset1:2
	ds_write2_b32 v6, v5, v1 offset0:3 offset1:4
	s_waitcnt lgkmcnt(0)
	; wave barrier
	ds_read_b32 v1, v10 offset:4
	s_waitcnt lgkmcnt(0)
	; wave barrier
	v_add_u32_e32 v1, v1, v11
	ds_write_b8 v1, v9
	s_waitcnt lgkmcnt(0)
	; wave barrier
	ds_read_u8 v9, v0
	s_cbranch_scc1 .LBB240_6
.LBB240_2:                              ; =>This Inner Loop Header: Depth=1
	s_waitcnt lgkmcnt(0)
	v_and_b32_e32 v1, 0xff, v9
	v_lshl_add_u32 v10, v1, 2, v8
	v_and_b32_e32 v1, 1, v9
	v_add_co_u32_e64 v2, s[12:13], -1, v1
	v_addc_co_u32_e64 v4, s[12:13], 0, -1, s[12:13]
	v_cmp_ne_u32_e64 s[12:13], 0, v1
	v_xor_b32_e32 v1, s13, v4
	v_lshlrev_b32_e32 v4, 30, v9
	v_xor_b32_e32 v2, s12, v2
	v_cmp_gt_i64_e64 s[12:13], 0, v[3:4]
	v_not_b32_e32 v4, v4
	v_ashrrev_i32_e32 v4, 31, v4
	v_and_b32_e32 v2, exec_lo, v2
	v_xor_b32_e32 v5, s13, v4
	v_xor_b32_e32 v4, s12, v4
	v_and_b32_e32 v2, v2, v4
	v_lshlrev_b32_e32 v4, 29, v9
	v_cmp_gt_i64_e64 s[12:13], 0, v[3:4]
	v_not_b32_e32 v4, v4
	v_and_b32_e32 v1, exec_hi, v1
	v_ashrrev_i32_e32 v4, 31, v4
	v_and_b32_e32 v1, v1, v5
	v_xor_b32_e32 v5, s13, v4
	v_xor_b32_e32 v4, s12, v4
	v_and_b32_e32 v2, v2, v4
	v_lshlrev_b32_e32 v4, 28, v9
	v_cmp_gt_i64_e64 s[12:13], 0, v[3:4]
	v_not_b32_e32 v4, v4
	v_ashrrev_i32_e32 v4, 31, v4
	v_and_b32_e32 v1, v1, v5
	v_xor_b32_e32 v5, s13, v4
	v_xor_b32_e32 v4, s12, v4
	v_and_b32_e32 v2, v2, v4
	v_lshlrev_b32_e32 v4, 27, v9
	v_cmp_gt_i64_e64 s[12:13], 0, v[3:4]
	v_not_b32_e32 v4, v4
	;; [unrolled: 8-line block ×4, first 2 shown]
	v_ashrrev_i32_e32 v4, 31, v4
	v_and_b32_e32 v1, v1, v5
	v_xor_b32_e32 v5, s13, v4
	v_xor_b32_e32 v4, s12, v4
	v_and_b32_e32 v1, v1, v5
	v_and_b32_e32 v5, v2, v4
	v_lshlrev_b32_e32 v4, 24, v9
	v_cmp_gt_i64_e64 s[12:13], 0, v[3:4]
	v_not_b32_e32 v2, v4
	v_ashrrev_i32_e32 v2, 31, v2
	v_xor_b32_e32 v4, s13, v2
	v_xor_b32_e32 v11, s12, v2
	v_and_b32_e32 v2, v1, v4
	v_and_b32_e32 v1, v5, v11
	v_mbcnt_lo_u32_b32 v4, v1, 0
	v_mbcnt_hi_u32_b32 v11, v2, v4
	v_cmp_ne_u64_e64 s[12:13], 0, v[1:2]
	v_cmp_eq_u32_e64 s[14:15], 0, v11
	s_and_b64 s[14:15], s[12:13], s[14:15]
	ds_write2_b32 v6, v3, v3 offset0:1 offset1:2
	ds_write2_b32 v6, v3, v3 offset0:3 offset1:4
	s_waitcnt lgkmcnt(0)
	; wave barrier
	; wave barrier
	s_and_saveexec_b64 s[12:13], s[14:15]
; %bb.3:                                ;   in Loop: Header=BB240_2 Depth=1
	v_bcnt_u32_b32 v1, v1, 0
	v_bcnt_u32_b32 v1, v2, v1
	ds_write_b32 v10, v1 offset:4
; %bb.4:                                ;   in Loop: Header=BB240_2 Depth=1
	s_or_b64 exec, exec, s[12:13]
	; wave barrier
	s_waitcnt lgkmcnt(0)
	; wave barrier
	ds_read2_b32 v[4:5], v6 offset0:1 offset1:2
	ds_read2_b32 v[1:2], v6 offset0:3 offset1:4
	s_waitcnt lgkmcnt(1)
	v_add_u32_e32 v12, v5, v4
	s_waitcnt lgkmcnt(0)
	v_add3_u32 v2, v12, v1, v2
	s_nop 1
	v_mov_b32_dpp v12, v2 row_shr:1 row_mask:0xf bank_mask:0xf
	v_cndmask_b32_e64 v12, v12, 0, s[2:3]
	v_add_u32_e32 v2, v12, v2
	s_nop 1
	v_mov_b32_dpp v12, v2 row_shr:2 row_mask:0xf bank_mask:0xf
	v_cndmask_b32_e64 v12, 0, v12, s[4:5]
	v_add_u32_e32 v2, v2, v12
	;; [unrolled: 4-line block ×4, first 2 shown]
	s_nop 1
	v_mov_b32_dpp v12, v2 row_bcast:15 row_mask:0xf bank_mask:0xf
	v_cndmask_b32_e64 v12, v12, 0, s[10:11]
	v_add_u32_e32 v2, v2, v12
	s_nop 1
	v_mov_b32_dpp v12, v2 row_bcast:31 row_mask:0xf bank_mask:0xf
	v_cndmask_b32_e64 v12, 0, v12, s[0:1]
	v_add_u32_e32 v2, v2, v12
	s_and_saveexec_b64 s[12:13], vcc
	s_cbranch_execz .LBB240_1
; %bb.5:                                ;   in Loop: Header=BB240_2 Depth=1
	ds_write_b32 v3, v2
	s_branch .LBB240_1
.LBB240_6:
	s_add_u32 s0, s18, s20
	s_addc_u32 s1, s19, 0
	v_mov_b32_e32 v1, s1
	v_add_co_u32_e32 v0, vcc, s0, v0
	s_waitcnt lgkmcnt(0)
	v_xor_b32_e32 v2, 0x80, v9
	v_addc_co_u32_e32 v1, vcc, 0, v1, vcc
	global_store_byte v[0:1], v2, off
	s_endpgm
	.section	.rodata,"a",@progbits
	.p2align	6, 0x0
	.amdhsa_kernel _Z16sort_keys_kernelI22helper_blocked_stripedaLj64ELj1ELj10EEvPKT0_PS1_
		.amdhsa_group_segment_fixed_size 1040
		.amdhsa_private_segment_fixed_size 0
		.amdhsa_kernarg_size 272
		.amdhsa_user_sgpr_count 6
		.amdhsa_user_sgpr_private_segment_buffer 1
		.amdhsa_user_sgpr_dispatch_ptr 0
		.amdhsa_user_sgpr_queue_ptr 0
		.amdhsa_user_sgpr_kernarg_segment_ptr 1
		.amdhsa_user_sgpr_dispatch_id 0
		.amdhsa_user_sgpr_flat_scratch_init 0
		.amdhsa_user_sgpr_private_segment_size 0
		.amdhsa_uses_dynamic_stack 0
		.amdhsa_system_sgpr_private_segment_wavefront_offset 0
		.amdhsa_system_sgpr_workgroup_id_x 1
		.amdhsa_system_sgpr_workgroup_id_y 0
		.amdhsa_system_sgpr_workgroup_id_z 0
		.amdhsa_system_sgpr_workgroup_info 0
		.amdhsa_system_vgpr_workitem_id 2
		.amdhsa_next_free_vgpr 13
		.amdhsa_next_free_sgpr 23
		.amdhsa_reserve_vcc 1
		.amdhsa_reserve_flat_scratch 0
		.amdhsa_float_round_mode_32 0
		.amdhsa_float_round_mode_16_64 0
		.amdhsa_float_denorm_mode_32 3
		.amdhsa_float_denorm_mode_16_64 3
		.amdhsa_dx10_clamp 1
		.amdhsa_ieee_mode 1
		.amdhsa_fp16_overflow 0
		.amdhsa_exception_fp_ieee_invalid_op 0
		.amdhsa_exception_fp_denorm_src 0
		.amdhsa_exception_fp_ieee_div_zero 0
		.amdhsa_exception_fp_ieee_overflow 0
		.amdhsa_exception_fp_ieee_underflow 0
		.amdhsa_exception_fp_ieee_inexact 0
		.amdhsa_exception_int_div_zero 0
	.end_amdhsa_kernel
	.section	.text._Z16sort_keys_kernelI22helper_blocked_stripedaLj64ELj1ELj10EEvPKT0_PS1_,"axG",@progbits,_Z16sort_keys_kernelI22helper_blocked_stripedaLj64ELj1ELj10EEvPKT0_PS1_,comdat
.Lfunc_end240:
	.size	_Z16sort_keys_kernelI22helper_blocked_stripedaLj64ELj1ELj10EEvPKT0_PS1_, .Lfunc_end240-_Z16sort_keys_kernelI22helper_blocked_stripedaLj64ELj1ELj10EEvPKT0_PS1_
                                        ; -- End function
	.set _Z16sort_keys_kernelI22helper_blocked_stripedaLj64ELj1ELj10EEvPKT0_PS1_.num_vgpr, 13
	.set _Z16sort_keys_kernelI22helper_blocked_stripedaLj64ELj1ELj10EEvPKT0_PS1_.num_agpr, 0
	.set _Z16sort_keys_kernelI22helper_blocked_stripedaLj64ELj1ELj10EEvPKT0_PS1_.numbered_sgpr, 23
	.set _Z16sort_keys_kernelI22helper_blocked_stripedaLj64ELj1ELj10EEvPKT0_PS1_.num_named_barrier, 0
	.set _Z16sort_keys_kernelI22helper_blocked_stripedaLj64ELj1ELj10EEvPKT0_PS1_.private_seg_size, 0
	.set _Z16sort_keys_kernelI22helper_blocked_stripedaLj64ELj1ELj10EEvPKT0_PS1_.uses_vcc, 1
	.set _Z16sort_keys_kernelI22helper_blocked_stripedaLj64ELj1ELj10EEvPKT0_PS1_.uses_flat_scratch, 0
	.set _Z16sort_keys_kernelI22helper_blocked_stripedaLj64ELj1ELj10EEvPKT0_PS1_.has_dyn_sized_stack, 0
	.set _Z16sort_keys_kernelI22helper_blocked_stripedaLj64ELj1ELj10EEvPKT0_PS1_.has_recursion, 0
	.set _Z16sort_keys_kernelI22helper_blocked_stripedaLj64ELj1ELj10EEvPKT0_PS1_.has_indirect_call, 0
	.section	.AMDGPU.csdata,"",@progbits
; Kernel info:
; codeLenInByte = 984
; TotalNumSgprs: 27
; NumVgprs: 13
; ScratchSize: 0
; MemoryBound: 0
; FloatMode: 240
; IeeeMode: 1
; LDSByteSize: 1040 bytes/workgroup (compile time only)
; SGPRBlocks: 3
; VGPRBlocks: 3
; NumSGPRsForWavesPerEU: 27
; NumVGPRsForWavesPerEU: 13
; Occupancy: 10
; WaveLimiterHint : 0
; COMPUTE_PGM_RSRC2:SCRATCH_EN: 0
; COMPUTE_PGM_RSRC2:USER_SGPR: 6
; COMPUTE_PGM_RSRC2:TRAP_HANDLER: 0
; COMPUTE_PGM_RSRC2:TGID_X_EN: 1
; COMPUTE_PGM_RSRC2:TGID_Y_EN: 0
; COMPUTE_PGM_RSRC2:TGID_Z_EN: 0
; COMPUTE_PGM_RSRC2:TIDIG_COMP_CNT: 2
	.section	.text._Z17sort_pairs_kernelI22helper_blocked_stripedaLj64ELj1ELj10EEvPKT0_PS1_,"axG",@progbits,_Z17sort_pairs_kernelI22helper_blocked_stripedaLj64ELj1ELj10EEvPKT0_PS1_,comdat
	.protected	_Z17sort_pairs_kernelI22helper_blocked_stripedaLj64ELj1ELj10EEvPKT0_PS1_ ; -- Begin function _Z17sort_pairs_kernelI22helper_blocked_stripedaLj64ELj1ELj10EEvPKT0_PS1_
	.globl	_Z17sort_pairs_kernelI22helper_blocked_stripedaLj64ELj1ELj10EEvPKT0_PS1_
	.p2align	8
	.type	_Z17sort_pairs_kernelI22helper_blocked_stripedaLj64ELj1ELj10EEvPKT0_PS1_,@function
_Z17sort_pairs_kernelI22helper_blocked_stripedaLj64ELj1ELj10EEvPKT0_PS1_: ; @_Z17sort_pairs_kernelI22helper_blocked_stripedaLj64ELj1ELj10EEvPKT0_PS1_
; %bb.0:
	s_load_dwordx4 s[16:19], s[4:5], 0x0
	s_load_dword s21, s[4:5], 0x1c
	s_lshl_b32 s20, s6, 6
	v_mbcnt_lo_u32_b32 v5, -1, 0
	v_mbcnt_hi_u32_b32 v5, -1, v5
	s_waitcnt lgkmcnt(0)
	s_add_u32 s0, s16, s20
	s_addc_u32 s1, s17, 0
	global_load_ubyte v4, v0, s[0:1]
	s_lshr_b32 s22, s21, 16
	v_subrev_co_u32_e64 v9, s[14:15], 1, v5
	v_and_b32_e32 v10, 64, v5
	s_and_b32 s21, s21, 0xffff
	v_mad_u32_u24 v1, v2, s22, v1
	v_cmp_lt_i32_e64 s[16:17], v9, v10
	v_mad_u32_u24 v1, v1, s21, v0
	v_cmp_eq_u32_e64 s[12:13], 0, v0
	v_and_b32_e32 v7, 15, v5
	v_and_b32_e32 v8, 16, v5
	v_cmp_lt_u32_e64 s[0:1], 31, v5
	v_cndmask_b32_e64 v5, v9, v5, s[16:17]
	v_lshrrev_b32_e32 v1, 4, v1
	v_mov_b32_e32 v3, 0
	v_lshlrev_b32_e32 v6, 4, v0
	v_cmp_eq_u32_e32 vcc, 63, v0
	v_cmp_eq_u32_e64 s[2:3], 0, v7
	v_cmp_lt_u32_e64 s[4:5], 1, v7
	v_cmp_lt_u32_e64 s[6:7], 3, v7
	;; [unrolled: 1-line block ×3, first 2 shown]
	v_cmp_eq_u32_e64 s[10:11], 0, v8
	v_lshlrev_b32_e32 v7, 2, v5
	s_or_b64 s[16:17], s[12:13], s[14:15]
	v_and_b32_e32 v8, 0xffffffc, v1
	s_mov_b32 s21, 10
	s_waitcnt vmcnt(0)
	v_add_u16_e32 v9, 1, v4
	v_xor_b32_e32 v10, 0xffffff80, v4
	s_branch .LBB241_2
.LBB241_1:                              ;   in Loop: Header=BB241_2 Depth=1
	s_or_b64 exec, exec, s[12:13]
	ds_bpermute_b32 v2, v7, v2
	s_waitcnt lgkmcnt(0)
	; wave barrier
	s_add_i32 s21, s21, -1
	s_cmp_eq_u32 s21, 0
	v_cndmask_b32_e64 v2, v2, 0, s[16:17]
	v_add_u32_e32 v4, v2, v4
	v_add_u32_e32 v5, v4, v5
	;; [unrolled: 1-line block ×3, first 2 shown]
	ds_write2_b32 v6, v2, v4 offset0:1 offset1:2
	ds_write2_b32 v6, v5, v1 offset0:3 offset1:4
	s_waitcnt lgkmcnt(0)
	; wave barrier
	ds_read_b32 v1, v11 offset:4
	s_waitcnt lgkmcnt(0)
	; wave barrier
	v_add_u32_e32 v1, v1, v12
	ds_write_b8 v1, v10
	s_waitcnt lgkmcnt(0)
	; wave barrier
	ds_read_u8 v10, v0
	s_waitcnt lgkmcnt(0)
	; wave barrier
	ds_write_b8 v1, v9
	s_waitcnt lgkmcnt(0)
	; wave barrier
	ds_read_u8 v9, v0
	s_cbranch_scc1 .LBB241_6
.LBB241_2:                              ; =>This Inner Loop Header: Depth=1
	v_and_b32_e32 v1, 0xff, v10
	v_lshl_add_u32 v11, v1, 2, v8
	v_and_b32_e32 v1, 1, v10
	v_add_co_u32_e64 v2, s[12:13], -1, v1
	v_addc_co_u32_e64 v4, s[12:13], 0, -1, s[12:13]
	v_cmp_ne_u32_e64 s[12:13], 0, v1
	v_xor_b32_e32 v1, s13, v4
	v_lshlrev_b32_e32 v4, 30, v10
	v_xor_b32_e32 v2, s12, v2
	v_cmp_gt_i64_e64 s[12:13], 0, v[3:4]
	v_not_b32_e32 v4, v4
	v_ashrrev_i32_e32 v4, 31, v4
	v_and_b32_e32 v2, exec_lo, v2
	v_xor_b32_e32 v5, s13, v4
	v_xor_b32_e32 v4, s12, v4
	v_and_b32_e32 v2, v2, v4
	v_lshlrev_b32_e32 v4, 29, v10
	v_cmp_gt_i64_e64 s[12:13], 0, v[3:4]
	v_not_b32_e32 v4, v4
	v_and_b32_e32 v1, exec_hi, v1
	v_ashrrev_i32_e32 v4, 31, v4
	v_and_b32_e32 v1, v1, v5
	v_xor_b32_e32 v5, s13, v4
	v_xor_b32_e32 v4, s12, v4
	v_and_b32_e32 v2, v2, v4
	v_lshlrev_b32_e32 v4, 28, v10
	v_cmp_gt_i64_e64 s[12:13], 0, v[3:4]
	v_not_b32_e32 v4, v4
	v_ashrrev_i32_e32 v4, 31, v4
	v_and_b32_e32 v1, v1, v5
	v_xor_b32_e32 v5, s13, v4
	v_xor_b32_e32 v4, s12, v4
	v_and_b32_e32 v2, v2, v4
	v_lshlrev_b32_e32 v4, 27, v10
	v_cmp_gt_i64_e64 s[12:13], 0, v[3:4]
	v_not_b32_e32 v4, v4
	;; [unrolled: 8-line block ×4, first 2 shown]
	v_ashrrev_i32_e32 v4, 31, v4
	v_and_b32_e32 v1, v1, v5
	v_xor_b32_e32 v5, s13, v4
	v_xor_b32_e32 v4, s12, v4
	v_and_b32_e32 v1, v1, v5
	v_and_b32_e32 v5, v2, v4
	v_lshlrev_b32_e32 v4, 24, v10
	v_cmp_gt_i64_e64 s[12:13], 0, v[3:4]
	v_not_b32_e32 v2, v4
	v_ashrrev_i32_e32 v2, 31, v2
	v_xor_b32_e32 v4, s13, v2
	v_xor_b32_e32 v12, s12, v2
	v_and_b32_e32 v2, v1, v4
	v_and_b32_e32 v1, v5, v12
	v_mbcnt_lo_u32_b32 v4, v1, 0
	v_mbcnt_hi_u32_b32 v12, v2, v4
	v_cmp_ne_u64_e64 s[12:13], 0, v[1:2]
	v_cmp_eq_u32_e64 s[14:15], 0, v12
	s_and_b64 s[14:15], s[12:13], s[14:15]
	ds_write2_b32 v6, v3, v3 offset0:1 offset1:2
	ds_write2_b32 v6, v3, v3 offset0:3 offset1:4
	s_waitcnt lgkmcnt(0)
	; wave barrier
	; wave barrier
	s_and_saveexec_b64 s[12:13], s[14:15]
; %bb.3:                                ;   in Loop: Header=BB241_2 Depth=1
	v_bcnt_u32_b32 v1, v1, 0
	v_bcnt_u32_b32 v1, v2, v1
	ds_write_b32 v11, v1 offset:4
; %bb.4:                                ;   in Loop: Header=BB241_2 Depth=1
	s_or_b64 exec, exec, s[12:13]
	; wave barrier
	s_waitcnt lgkmcnt(0)
	; wave barrier
	ds_read2_b32 v[4:5], v6 offset0:1 offset1:2
	ds_read2_b32 v[1:2], v6 offset0:3 offset1:4
	s_waitcnt lgkmcnt(1)
	v_add_u32_e32 v13, v5, v4
	s_waitcnt lgkmcnt(0)
	v_add3_u32 v2, v13, v1, v2
	s_nop 1
	v_mov_b32_dpp v13, v2 row_shr:1 row_mask:0xf bank_mask:0xf
	v_cndmask_b32_e64 v13, v13, 0, s[2:3]
	v_add_u32_e32 v2, v13, v2
	s_nop 1
	v_mov_b32_dpp v13, v2 row_shr:2 row_mask:0xf bank_mask:0xf
	v_cndmask_b32_e64 v13, 0, v13, s[4:5]
	v_add_u32_e32 v2, v2, v13
	;; [unrolled: 4-line block ×4, first 2 shown]
	s_nop 1
	v_mov_b32_dpp v13, v2 row_bcast:15 row_mask:0xf bank_mask:0xf
	v_cndmask_b32_e64 v13, v13, 0, s[10:11]
	v_add_u32_e32 v2, v2, v13
	s_nop 1
	v_mov_b32_dpp v13, v2 row_bcast:31 row_mask:0xf bank_mask:0xf
	v_cndmask_b32_e64 v13, 0, v13, s[0:1]
	v_add_u32_e32 v2, v2, v13
	s_and_saveexec_b64 s[12:13], vcc
	s_cbranch_execz .LBB241_1
; %bb.5:                                ;   in Loop: Header=BB241_2 Depth=1
	ds_write_b32 v3, v2
	s_branch .LBB241_1
.LBB241_6:
	s_add_u32 s0, s18, s20
	s_waitcnt lgkmcnt(0)
	v_add_u16_e32 v1, v9, v10
	s_addc_u32 s1, s19, 0
	v_add_u16_e32 v2, 0xff80, v1
	v_mov_b32_e32 v1, s1
	v_add_co_u32_e32 v0, vcc, s0, v0
	v_addc_co_u32_e32 v1, vcc, 0, v1, vcc
	global_store_byte v[0:1], v2, off
	s_endpgm
	.section	.rodata,"a",@progbits
	.p2align	6, 0x0
	.amdhsa_kernel _Z17sort_pairs_kernelI22helper_blocked_stripedaLj64ELj1ELj10EEvPKT0_PS1_
		.amdhsa_group_segment_fixed_size 1040
		.amdhsa_private_segment_fixed_size 0
		.amdhsa_kernarg_size 272
		.amdhsa_user_sgpr_count 6
		.amdhsa_user_sgpr_private_segment_buffer 1
		.amdhsa_user_sgpr_dispatch_ptr 0
		.amdhsa_user_sgpr_queue_ptr 0
		.amdhsa_user_sgpr_kernarg_segment_ptr 1
		.amdhsa_user_sgpr_dispatch_id 0
		.amdhsa_user_sgpr_flat_scratch_init 0
		.amdhsa_user_sgpr_private_segment_size 0
		.amdhsa_uses_dynamic_stack 0
		.amdhsa_system_sgpr_private_segment_wavefront_offset 0
		.amdhsa_system_sgpr_workgroup_id_x 1
		.amdhsa_system_sgpr_workgroup_id_y 0
		.amdhsa_system_sgpr_workgroup_id_z 0
		.amdhsa_system_sgpr_workgroup_info 0
		.amdhsa_system_vgpr_workitem_id 2
		.amdhsa_next_free_vgpr 14
		.amdhsa_next_free_sgpr 23
		.amdhsa_reserve_vcc 1
		.amdhsa_reserve_flat_scratch 0
		.amdhsa_float_round_mode_32 0
		.amdhsa_float_round_mode_16_64 0
		.amdhsa_float_denorm_mode_32 3
		.amdhsa_float_denorm_mode_16_64 3
		.amdhsa_dx10_clamp 1
		.amdhsa_ieee_mode 1
		.amdhsa_fp16_overflow 0
		.amdhsa_exception_fp_ieee_invalid_op 0
		.amdhsa_exception_fp_denorm_src 0
		.amdhsa_exception_fp_ieee_div_zero 0
		.amdhsa_exception_fp_ieee_overflow 0
		.amdhsa_exception_fp_ieee_underflow 0
		.amdhsa_exception_fp_ieee_inexact 0
		.amdhsa_exception_int_div_zero 0
	.end_amdhsa_kernel
	.section	.text._Z17sort_pairs_kernelI22helper_blocked_stripedaLj64ELj1ELj10EEvPKT0_PS1_,"axG",@progbits,_Z17sort_pairs_kernelI22helper_blocked_stripedaLj64ELj1ELj10EEvPKT0_PS1_,comdat
.Lfunc_end241:
	.size	_Z17sort_pairs_kernelI22helper_blocked_stripedaLj64ELj1ELj10EEvPKT0_PS1_, .Lfunc_end241-_Z17sort_pairs_kernelI22helper_blocked_stripedaLj64ELj1ELj10EEvPKT0_PS1_
                                        ; -- End function
	.set _Z17sort_pairs_kernelI22helper_blocked_stripedaLj64ELj1ELj10EEvPKT0_PS1_.num_vgpr, 14
	.set _Z17sort_pairs_kernelI22helper_blocked_stripedaLj64ELj1ELj10EEvPKT0_PS1_.num_agpr, 0
	.set _Z17sort_pairs_kernelI22helper_blocked_stripedaLj64ELj1ELj10EEvPKT0_PS1_.numbered_sgpr, 23
	.set _Z17sort_pairs_kernelI22helper_blocked_stripedaLj64ELj1ELj10EEvPKT0_PS1_.num_named_barrier, 0
	.set _Z17sort_pairs_kernelI22helper_blocked_stripedaLj64ELj1ELj10EEvPKT0_PS1_.private_seg_size, 0
	.set _Z17sort_pairs_kernelI22helper_blocked_stripedaLj64ELj1ELj10EEvPKT0_PS1_.uses_vcc, 1
	.set _Z17sort_pairs_kernelI22helper_blocked_stripedaLj64ELj1ELj10EEvPKT0_PS1_.uses_flat_scratch, 0
	.set _Z17sort_pairs_kernelI22helper_blocked_stripedaLj64ELj1ELj10EEvPKT0_PS1_.has_dyn_sized_stack, 0
	.set _Z17sort_pairs_kernelI22helper_blocked_stripedaLj64ELj1ELj10EEvPKT0_PS1_.has_recursion, 0
	.set _Z17sort_pairs_kernelI22helper_blocked_stripedaLj64ELj1ELj10EEvPKT0_PS1_.has_indirect_call, 0
	.section	.AMDGPU.csdata,"",@progbits
; Kernel info:
; codeLenInByte = 1012
; TotalNumSgprs: 27
; NumVgprs: 14
; ScratchSize: 0
; MemoryBound: 0
; FloatMode: 240
; IeeeMode: 1
; LDSByteSize: 1040 bytes/workgroup (compile time only)
; SGPRBlocks: 3
; VGPRBlocks: 3
; NumSGPRsForWavesPerEU: 27
; NumVGPRsForWavesPerEU: 14
; Occupancy: 10
; WaveLimiterHint : 0
; COMPUTE_PGM_RSRC2:SCRATCH_EN: 0
; COMPUTE_PGM_RSRC2:USER_SGPR: 6
; COMPUTE_PGM_RSRC2:TRAP_HANDLER: 0
; COMPUTE_PGM_RSRC2:TGID_X_EN: 1
; COMPUTE_PGM_RSRC2:TGID_Y_EN: 0
; COMPUTE_PGM_RSRC2:TGID_Z_EN: 0
; COMPUTE_PGM_RSRC2:TIDIG_COMP_CNT: 2
	.section	.text._Z16sort_keys_kernelI22helper_blocked_stripedaLj64ELj3ELj10EEvPKT0_PS1_,"axG",@progbits,_Z16sort_keys_kernelI22helper_blocked_stripedaLj64ELj3ELj10EEvPKT0_PS1_,comdat
	.protected	_Z16sort_keys_kernelI22helper_blocked_stripedaLj64ELj3ELj10EEvPKT0_PS1_ ; -- Begin function _Z16sort_keys_kernelI22helper_blocked_stripedaLj64ELj3ELj10EEvPKT0_PS1_
	.globl	_Z16sort_keys_kernelI22helper_blocked_stripedaLj64ELj3ELj10EEvPKT0_PS1_
	.p2align	8
	.type	_Z16sort_keys_kernelI22helper_blocked_stripedaLj64ELj3ELj10EEvPKT0_PS1_,@function
_Z16sort_keys_kernelI22helper_blocked_stripedaLj64ELj3ELj10EEvPKT0_PS1_: ; @_Z16sort_keys_kernelI22helper_blocked_stripedaLj64ELj3ELj10EEvPKT0_PS1_
; %bb.0:
	s_load_dwordx4 s[16:19], s[4:5], 0x0
	s_load_dword s22, s[4:5], 0x1c
	s_mul_i32 s20, s6, 0xc0
	v_mul_u32_u24_e32 v5, 3, v0
	v_cmp_eq_u32_e64 s[12:13], 0, v0
	s_waitcnt lgkmcnt(0)
	s_add_u32 s0, s16, s20
	s_addc_u32 s1, s17, 0
	global_load_ushort v3, v5, s[0:1]
	global_load_sbyte v4, v5, s[0:1] offset:2
	v_mbcnt_lo_u32_b32 v5, -1, 0
	v_mbcnt_hi_u32_b32 v6, -1, v5
	s_lshr_b32 s23, s22, 16
	v_subrev_co_u32_e64 v10, s[14:15], 1, v6
	v_and_b32_e32 v11, 64, v6
	s_and_b32 s22, s22, 0xffff
	v_mad_u32_u24 v1, v2, s23, v1
	v_and_b32_e32 v5, 15, v6
	v_cmp_lt_i32_e64 s[16:17], v10, v11
	v_mad_u32_u24 v1, v1, s22, v0
	v_and_b32_e32 v9, 16, v6
	v_cmp_eq_u32_e64 s[2:3], 0, v5
	v_cmp_lt_u32_e64 s[4:5], 1, v5
	v_cmp_lt_u32_e64 s[6:7], 3, v5
	;; [unrolled: 1-line block ×3, first 2 shown]
	v_cndmask_b32_e64 v5, v10, v6, s[16:17]
	v_lshrrev_b32_e32 v1, 4, v1
	s_mov_b32 s21, 10
	v_lshlrev_b32_e32 v7, 4, v0
	v_cmp_eq_u32_e32 vcc, 63, v0
	v_mul_u32_u24_e32 v8, 3, v6
	v_cmp_lt_u32_e64 s[0:1], 31, v6
	v_cmp_eq_u32_e64 s[10:11], 0, v9
	v_lshlrev_b32_e32 v9, 2, v5
	s_or_b64 s[16:17], s[12:13], s[14:15]
	v_and_b32_e32 v10, 0xffffffc, v1
	v_mov_b32_e32 v1, 0
	s_waitcnt vmcnt(1)
	v_lshrrev_b32_e32 v2, 8, v3
	s_branch .LBB242_2
.LBB242_1:                              ;   in Loop: Header=BB242_2 Depth=1
	s_or_b64 exec, exec, s[12:13]
	ds_bpermute_b32 v3, v9, v3
	s_waitcnt lgkmcnt(0)
	; wave barrier
	s_add_i32 s21, s21, -1
	s_cmp_eq_u32 s21, 0
	v_cndmask_b32_e64 v3, v3, 0, s[16:17]
	v_add_u32_e32 v4, v3, v4
	v_add_u32_e32 v5, v4, v5
	;; [unrolled: 1-line block ×3, first 2 shown]
	ds_write2_b32 v7, v3, v4 offset0:1 offset1:2
	ds_write2_b32 v7, v5, v2 offset0:3 offset1:4
	s_waitcnt lgkmcnt(0)
	; wave barrier
	ds_read_b32 v2, v14 offset:4
	ds_read_b32 v3, v17 offset:4
	;; [unrolled: 1-line block ×3, first 2 shown]
	s_waitcnt lgkmcnt(0)
	; wave barrier
	v_add_u32_e32 v2, v2, v15
	ds_write_b8 v2, v13
	v_add3_u32 v2, v18, v16, v3
	ds_write_b8 v2, v12
	v_add3_u32 v2, v21, v19, v4
	ds_write_b8 v2, v11
	s_waitcnt lgkmcnt(0)
	; wave barrier
	ds_read_u8 v2, v0
	ds_read_u8 v4, v0 offset:64
	ds_read_u8 v5, v0 offset:128
	s_waitcnt lgkmcnt(2)
	v_xor_b32_e32 v3, 0xffffff80, v2
	s_waitcnt lgkmcnt(1)
	v_xor_b32_e32 v2, 0xffffff80, v4
	;; [unrolled: 2-line block ×3, first 2 shown]
	s_cbranch_scc1 .LBB242_10
.LBB242_2:                              ; =>This Inner Loop Header: Depth=1
	v_xor_b32_e32 v3, 0x80, v3
	v_xor_b32_e32 v2, 0x80, v2
	s_waitcnt vmcnt(0)
	v_xor_b32_e32 v4, 0x80, v4
	ds_write_b8 v8, v3
	ds_write_b8 v8, v2 offset:1
	ds_write_b8 v8, v4 offset:2
	; wave barrier
	ds_read_u8 v13, v6
	ds_read_u8 v12, v6 offset:64
	ds_read_u8 v11, v6 offset:128
	; wave barrier
	s_waitcnt lgkmcnt(2)
	v_and_b32_e32 v2, 0xff, v13
	v_lshl_add_u32 v14, v2, 2, v10
	v_and_b32_e32 v2, 1, v13
	v_add_co_u32_e64 v3, s[12:13], -1, v2
	v_addc_co_u32_e64 v4, s[12:13], 0, -1, s[12:13]
	v_cmp_ne_u32_e64 s[12:13], 0, v2
	v_xor_b32_e32 v2, s13, v4
	v_and_b32_e32 v4, exec_hi, v2
	v_lshlrev_b32_e32 v2, 30, v13
	v_xor_b32_e32 v3, s12, v3
	v_cmp_gt_i64_e64 s[12:13], 0, v[1:2]
	v_not_b32_e32 v2, v2
	v_ashrrev_i32_e32 v2, 31, v2
	v_and_b32_e32 v3, exec_lo, v3
	v_xor_b32_e32 v5, s13, v2
	v_xor_b32_e32 v2, s12, v2
	v_and_b32_e32 v3, v3, v2
	v_lshlrev_b32_e32 v2, 29, v13
	v_cmp_gt_i64_e64 s[12:13], 0, v[1:2]
	v_not_b32_e32 v2, v2
	v_ashrrev_i32_e32 v2, 31, v2
	v_and_b32_e32 v4, v4, v5
	v_xor_b32_e32 v5, s13, v2
	v_xor_b32_e32 v2, s12, v2
	v_and_b32_e32 v3, v3, v2
	v_lshlrev_b32_e32 v2, 28, v13
	v_cmp_gt_i64_e64 s[12:13], 0, v[1:2]
	v_not_b32_e32 v2, v2
	v_ashrrev_i32_e32 v2, 31, v2
	v_and_b32_e32 v4, v4, v5
	;; [unrolled: 8-line block ×5, first 2 shown]
	v_xor_b32_e32 v5, s13, v2
	v_xor_b32_e32 v2, s12, v2
	v_and_b32_e32 v4, v4, v5
	v_and_b32_e32 v5, v3, v2
	v_lshlrev_b32_e32 v2, 24, v13
	v_cmp_gt_i64_e64 s[12:13], 0, v[1:2]
	v_not_b32_e32 v2, v2
	v_ashrrev_i32_e32 v2, 31, v2
	v_xor_b32_e32 v3, s13, v2
	v_xor_b32_e32 v2, s12, v2
	v_and_b32_e32 v2, v5, v2
	v_and_b32_e32 v3, v4, v3
	v_mbcnt_lo_u32_b32 v4, v2, 0
	v_mbcnt_hi_u32_b32 v15, v3, v4
	v_cmp_ne_u64_e64 s[12:13], 0, v[2:3]
	v_cmp_eq_u32_e64 s[14:15], 0, v15
	s_and_b64 s[14:15], s[12:13], s[14:15]
	; wave barrier
	s_waitcnt lgkmcnt(0)
	; wave barrier
	ds_write2_b32 v7, v1, v1 offset0:1 offset1:2
	ds_write2_b32 v7, v1, v1 offset0:3 offset1:4
	s_waitcnt lgkmcnt(0)
	; wave barrier
	; wave barrier
	s_and_saveexec_b64 s[12:13], s[14:15]
; %bb.3:                                ;   in Loop: Header=BB242_2 Depth=1
	v_bcnt_u32_b32 v2, v2, 0
	v_bcnt_u32_b32 v2, v3, v2
	ds_write_b32 v14, v2 offset:4
; %bb.4:                                ;   in Loop: Header=BB242_2 Depth=1
	s_or_b64 exec, exec, s[12:13]
	v_and_b32_e32 v2, 0xff, v12
	v_lshl_add_u32 v17, v2, 2, v10
	v_and_b32_e32 v2, 1, v12
	v_add_co_u32_e64 v3, s[12:13], -1, v2
	v_addc_co_u32_e64 v4, s[12:13], 0, -1, s[12:13]
	v_cmp_ne_u32_e64 s[12:13], 0, v2
	v_xor_b32_e32 v2, s13, v4
	v_and_b32_e32 v4, exec_hi, v2
	v_lshlrev_b32_e32 v2, 30, v12
	v_xor_b32_e32 v3, s12, v3
	v_cmp_gt_i64_e64 s[12:13], 0, v[1:2]
	v_not_b32_e32 v2, v2
	v_ashrrev_i32_e32 v2, 31, v2
	v_and_b32_e32 v3, exec_lo, v3
	v_xor_b32_e32 v5, s13, v2
	v_xor_b32_e32 v2, s12, v2
	v_and_b32_e32 v3, v3, v2
	v_lshlrev_b32_e32 v2, 29, v12
	v_cmp_gt_i64_e64 s[12:13], 0, v[1:2]
	v_not_b32_e32 v2, v2
	v_ashrrev_i32_e32 v2, 31, v2
	v_and_b32_e32 v4, v4, v5
	v_xor_b32_e32 v5, s13, v2
	v_xor_b32_e32 v2, s12, v2
	v_and_b32_e32 v3, v3, v2
	v_lshlrev_b32_e32 v2, 28, v12
	v_cmp_gt_i64_e64 s[12:13], 0, v[1:2]
	v_not_b32_e32 v2, v2
	v_ashrrev_i32_e32 v2, 31, v2
	v_and_b32_e32 v4, v4, v5
	;; [unrolled: 8-line block ×5, first 2 shown]
	v_xor_b32_e32 v5, s13, v2
	v_xor_b32_e32 v2, s12, v2
	v_and_b32_e32 v4, v4, v5
	v_and_b32_e32 v5, v3, v2
	v_lshlrev_b32_e32 v2, 24, v12
	v_cmp_gt_i64_e64 s[12:13], 0, v[1:2]
	v_not_b32_e32 v2, v2
	v_ashrrev_i32_e32 v2, 31, v2
	v_xor_b32_e32 v3, s13, v2
	v_xor_b32_e32 v2, s12, v2
	; wave barrier
	ds_read_b32 v16, v17 offset:4
	v_and_b32_e32 v2, v5, v2
	v_and_b32_e32 v3, v4, v3
	v_mbcnt_lo_u32_b32 v4, v2, 0
	v_mbcnt_hi_u32_b32 v18, v3, v4
	v_cmp_ne_u64_e64 s[12:13], 0, v[2:3]
	v_cmp_eq_u32_e64 s[14:15], 0, v18
	s_and_b64 s[14:15], s[12:13], s[14:15]
	; wave barrier
	s_and_saveexec_b64 s[12:13], s[14:15]
	s_cbranch_execz .LBB242_6
; %bb.5:                                ;   in Loop: Header=BB242_2 Depth=1
	v_bcnt_u32_b32 v2, v2, 0
	v_bcnt_u32_b32 v2, v3, v2
	s_waitcnt lgkmcnt(0)
	v_add_u32_e32 v2, v16, v2
	ds_write_b32 v17, v2 offset:4
.LBB242_6:                              ;   in Loop: Header=BB242_2 Depth=1
	s_or_b64 exec, exec, s[12:13]
	v_and_b32_e32 v2, 0xff, v11
	v_lshl_add_u32 v20, v2, 2, v10
	v_and_b32_e32 v2, 1, v11
	v_add_co_u32_e64 v3, s[12:13], -1, v2
	v_addc_co_u32_e64 v4, s[12:13], 0, -1, s[12:13]
	v_cmp_ne_u32_e64 s[12:13], 0, v2
	v_xor_b32_e32 v2, s13, v4
	v_and_b32_e32 v4, exec_hi, v2
	v_lshlrev_b32_e32 v2, 30, v11
	v_xor_b32_e32 v3, s12, v3
	v_cmp_gt_i64_e64 s[12:13], 0, v[1:2]
	v_not_b32_e32 v2, v2
	v_ashrrev_i32_e32 v2, 31, v2
	v_and_b32_e32 v3, exec_lo, v3
	v_xor_b32_e32 v5, s13, v2
	v_xor_b32_e32 v2, s12, v2
	v_and_b32_e32 v3, v3, v2
	v_lshlrev_b32_e32 v2, 29, v11
	v_cmp_gt_i64_e64 s[12:13], 0, v[1:2]
	v_not_b32_e32 v2, v2
	v_ashrrev_i32_e32 v2, 31, v2
	v_and_b32_e32 v4, v4, v5
	v_xor_b32_e32 v5, s13, v2
	v_xor_b32_e32 v2, s12, v2
	v_and_b32_e32 v3, v3, v2
	v_lshlrev_b32_e32 v2, 28, v11
	v_cmp_gt_i64_e64 s[12:13], 0, v[1:2]
	v_not_b32_e32 v2, v2
	v_ashrrev_i32_e32 v2, 31, v2
	v_and_b32_e32 v4, v4, v5
	;; [unrolled: 8-line block ×5, first 2 shown]
	v_xor_b32_e32 v5, s13, v2
	v_xor_b32_e32 v2, s12, v2
	v_and_b32_e32 v4, v4, v5
	v_and_b32_e32 v5, v3, v2
	v_lshlrev_b32_e32 v2, 24, v11
	v_cmp_gt_i64_e64 s[12:13], 0, v[1:2]
	v_not_b32_e32 v2, v2
	v_ashrrev_i32_e32 v2, 31, v2
	v_xor_b32_e32 v3, s13, v2
	v_xor_b32_e32 v2, s12, v2
	; wave barrier
	ds_read_b32 v19, v20 offset:4
	v_and_b32_e32 v2, v5, v2
	v_and_b32_e32 v3, v4, v3
	v_mbcnt_lo_u32_b32 v4, v2, 0
	v_mbcnt_hi_u32_b32 v21, v3, v4
	v_cmp_ne_u64_e64 s[12:13], 0, v[2:3]
	v_cmp_eq_u32_e64 s[14:15], 0, v21
	s_and_b64 s[14:15], s[12:13], s[14:15]
	; wave barrier
	s_and_saveexec_b64 s[12:13], s[14:15]
	s_cbranch_execz .LBB242_8
; %bb.7:                                ;   in Loop: Header=BB242_2 Depth=1
	v_bcnt_u32_b32 v2, v2, 0
	v_bcnt_u32_b32 v2, v3, v2
	s_waitcnt lgkmcnt(0)
	v_add_u32_e32 v2, v19, v2
	ds_write_b32 v20, v2 offset:4
.LBB242_8:                              ;   in Loop: Header=BB242_2 Depth=1
	s_or_b64 exec, exec, s[12:13]
	; wave barrier
	s_waitcnt lgkmcnt(0)
	; wave barrier
	ds_read2_b32 v[4:5], v7 offset0:1 offset1:2
	ds_read2_b32 v[2:3], v7 offset0:3 offset1:4
	s_waitcnt lgkmcnt(1)
	v_add_u32_e32 v22, v5, v4
	s_waitcnt lgkmcnt(0)
	v_add3_u32 v3, v22, v2, v3
	s_nop 1
	v_mov_b32_dpp v22, v3 row_shr:1 row_mask:0xf bank_mask:0xf
	v_cndmask_b32_e64 v22, v22, 0, s[2:3]
	v_add_u32_e32 v3, v22, v3
	s_nop 1
	v_mov_b32_dpp v22, v3 row_shr:2 row_mask:0xf bank_mask:0xf
	v_cndmask_b32_e64 v22, 0, v22, s[4:5]
	v_add_u32_e32 v3, v3, v22
	s_nop 1
	v_mov_b32_dpp v22, v3 row_shr:4 row_mask:0xf bank_mask:0xf
	v_cndmask_b32_e64 v22, 0, v22, s[6:7]
	v_add_u32_e32 v3, v3, v22
	s_nop 1
	v_mov_b32_dpp v22, v3 row_shr:8 row_mask:0xf bank_mask:0xf
	v_cndmask_b32_e64 v22, 0, v22, s[8:9]
	v_add_u32_e32 v3, v3, v22
	s_nop 1
	v_mov_b32_dpp v22, v3 row_bcast:15 row_mask:0xf bank_mask:0xf
	v_cndmask_b32_e64 v22, v22, 0, s[10:11]
	v_add_u32_e32 v3, v3, v22
	s_nop 1
	v_mov_b32_dpp v22, v3 row_bcast:31 row_mask:0xf bank_mask:0xf
	v_cndmask_b32_e64 v22, 0, v22, s[0:1]
	v_add_u32_e32 v3, v3, v22
	s_and_saveexec_b64 s[12:13], vcc
	s_cbranch_execz .LBB242_1
; %bb.9:                                ;   in Loop: Header=BB242_2 Depth=1
	ds_write_b32 v1, v3
	s_branch .LBB242_1
.LBB242_10:
	s_add_u32 s0, s18, s20
	s_addc_u32 s1, s19, 0
	global_store_byte v0, v3, s[0:1]
	global_store_byte v0, v2, s[0:1] offset:64
	global_store_byte v0, v4, s[0:1] offset:128
	s_endpgm
	.section	.rodata,"a",@progbits
	.p2align	6, 0x0
	.amdhsa_kernel _Z16sort_keys_kernelI22helper_blocked_stripedaLj64ELj3ELj10EEvPKT0_PS1_
		.amdhsa_group_segment_fixed_size 1040
		.amdhsa_private_segment_fixed_size 0
		.amdhsa_kernarg_size 272
		.amdhsa_user_sgpr_count 6
		.amdhsa_user_sgpr_private_segment_buffer 1
		.amdhsa_user_sgpr_dispatch_ptr 0
		.amdhsa_user_sgpr_queue_ptr 0
		.amdhsa_user_sgpr_kernarg_segment_ptr 1
		.amdhsa_user_sgpr_dispatch_id 0
		.amdhsa_user_sgpr_flat_scratch_init 0
		.amdhsa_user_sgpr_private_segment_size 0
		.amdhsa_uses_dynamic_stack 0
		.amdhsa_system_sgpr_private_segment_wavefront_offset 0
		.amdhsa_system_sgpr_workgroup_id_x 1
		.amdhsa_system_sgpr_workgroup_id_y 0
		.amdhsa_system_sgpr_workgroup_id_z 0
		.amdhsa_system_sgpr_workgroup_info 0
		.amdhsa_system_vgpr_workitem_id 2
		.amdhsa_next_free_vgpr 23
		.amdhsa_next_free_sgpr 24
		.amdhsa_reserve_vcc 1
		.amdhsa_reserve_flat_scratch 0
		.amdhsa_float_round_mode_32 0
		.amdhsa_float_round_mode_16_64 0
		.amdhsa_float_denorm_mode_32 3
		.amdhsa_float_denorm_mode_16_64 3
		.amdhsa_dx10_clamp 1
		.amdhsa_ieee_mode 1
		.amdhsa_fp16_overflow 0
		.amdhsa_exception_fp_ieee_invalid_op 0
		.amdhsa_exception_fp_denorm_src 0
		.amdhsa_exception_fp_ieee_div_zero 0
		.amdhsa_exception_fp_ieee_overflow 0
		.amdhsa_exception_fp_ieee_underflow 0
		.amdhsa_exception_fp_ieee_inexact 0
		.amdhsa_exception_int_div_zero 0
	.end_amdhsa_kernel
	.section	.text._Z16sort_keys_kernelI22helper_blocked_stripedaLj64ELj3ELj10EEvPKT0_PS1_,"axG",@progbits,_Z16sort_keys_kernelI22helper_blocked_stripedaLj64ELj3ELj10EEvPKT0_PS1_,comdat
.Lfunc_end242:
	.size	_Z16sort_keys_kernelI22helper_blocked_stripedaLj64ELj3ELj10EEvPKT0_PS1_, .Lfunc_end242-_Z16sort_keys_kernelI22helper_blocked_stripedaLj64ELj3ELj10EEvPKT0_PS1_
                                        ; -- End function
	.set _Z16sort_keys_kernelI22helper_blocked_stripedaLj64ELj3ELj10EEvPKT0_PS1_.num_vgpr, 23
	.set _Z16sort_keys_kernelI22helper_blocked_stripedaLj64ELj3ELj10EEvPKT0_PS1_.num_agpr, 0
	.set _Z16sort_keys_kernelI22helper_blocked_stripedaLj64ELj3ELj10EEvPKT0_PS1_.numbered_sgpr, 24
	.set _Z16sort_keys_kernelI22helper_blocked_stripedaLj64ELj3ELj10EEvPKT0_PS1_.num_named_barrier, 0
	.set _Z16sort_keys_kernelI22helper_blocked_stripedaLj64ELj3ELj10EEvPKT0_PS1_.private_seg_size, 0
	.set _Z16sort_keys_kernelI22helper_blocked_stripedaLj64ELj3ELj10EEvPKT0_PS1_.uses_vcc, 1
	.set _Z16sort_keys_kernelI22helper_blocked_stripedaLj64ELj3ELj10EEvPKT0_PS1_.uses_flat_scratch, 0
	.set _Z16sort_keys_kernelI22helper_blocked_stripedaLj64ELj3ELj10EEvPKT0_PS1_.has_dyn_sized_stack, 0
	.set _Z16sort_keys_kernelI22helper_blocked_stripedaLj64ELj3ELj10EEvPKT0_PS1_.has_recursion, 0
	.set _Z16sort_keys_kernelI22helper_blocked_stripedaLj64ELj3ELj10EEvPKT0_PS1_.has_indirect_call, 0
	.section	.AMDGPU.csdata,"",@progbits
; Kernel info:
; codeLenInByte = 1972
; TotalNumSgprs: 28
; NumVgprs: 23
; ScratchSize: 0
; MemoryBound: 0
; FloatMode: 240
; IeeeMode: 1
; LDSByteSize: 1040 bytes/workgroup (compile time only)
; SGPRBlocks: 3
; VGPRBlocks: 5
; NumSGPRsForWavesPerEU: 28
; NumVGPRsForWavesPerEU: 23
; Occupancy: 10
; WaveLimiterHint : 0
; COMPUTE_PGM_RSRC2:SCRATCH_EN: 0
; COMPUTE_PGM_RSRC2:USER_SGPR: 6
; COMPUTE_PGM_RSRC2:TRAP_HANDLER: 0
; COMPUTE_PGM_RSRC2:TGID_X_EN: 1
; COMPUTE_PGM_RSRC2:TGID_Y_EN: 0
; COMPUTE_PGM_RSRC2:TGID_Z_EN: 0
; COMPUTE_PGM_RSRC2:TIDIG_COMP_CNT: 2
	.section	.text._Z17sort_pairs_kernelI22helper_blocked_stripedaLj64ELj3ELj10EEvPKT0_PS1_,"axG",@progbits,_Z17sort_pairs_kernelI22helper_blocked_stripedaLj64ELj3ELj10EEvPKT0_PS1_,comdat
	.protected	_Z17sort_pairs_kernelI22helper_blocked_stripedaLj64ELj3ELj10EEvPKT0_PS1_ ; -- Begin function _Z17sort_pairs_kernelI22helper_blocked_stripedaLj64ELj3ELj10EEvPKT0_PS1_
	.globl	_Z17sort_pairs_kernelI22helper_blocked_stripedaLj64ELj3ELj10EEvPKT0_PS1_
	.p2align	8
	.type	_Z17sort_pairs_kernelI22helper_blocked_stripedaLj64ELj3ELj10EEvPKT0_PS1_,@function
_Z17sort_pairs_kernelI22helper_blocked_stripedaLj64ELj3ELj10EEvPKT0_PS1_: ; @_Z17sort_pairs_kernelI22helper_blocked_stripedaLj64ELj3ELj10EEvPKT0_PS1_
; %bb.0:
	s_load_dwordx4 s[16:19], s[4:5], 0x0
	s_load_dword s22, s[4:5], 0x1c
	s_mul_i32 s20, s6, 0xc0
	v_mul_u32_u24_e32 v3, 3, v0
	v_mbcnt_lo_u32_b32 v6, -1, 0
	s_waitcnt lgkmcnt(0)
	s_add_u32 s0, s16, s20
	s_addc_u32 s1, s17, 0
	global_load_ushort v4, v3, s[0:1]
	global_load_sbyte v5, v3, s[0:1] offset:2
	s_lshr_b32 s23, s22, 16
	s_and_b32 s22, s22, 0xffff
	v_mad_u32_u24 v1, v2, s23, v1
	v_mbcnt_hi_u32_b32 v6, -1, v6
	v_mad_u32_u24 v1, v1, s22, v0
	v_and_b32_e32 v10, 16, v6
	v_subrev_co_u32_e64 v12, s[14:15], 1, v6
	v_and_b32_e32 v13, 64, v6
	v_lshrrev_b32_e32 v1, 4, v1
	v_cmp_eq_u32_e64 s[10:11], 0, v10
	v_cmp_lt_i32_e64 s[16:17], v12, v13
	v_and_b32_e32 v10, 0xffffffc, v1
	v_and_b32_e32 v9, 15, v6
	v_mov_b32_e32 v11, 8
	v_cmp_eq_u32_e64 s[2:3], 0, v9
	v_cmp_lt_u32_e64 s[4:5], 1, v9
	v_cmp_lt_u32_e64 s[6:7], 3, v9
	;; [unrolled: 1-line block ×3, first 2 shown]
	v_cndmask_b32_e64 v9, v12, v6, s[16:17]
	v_cmp_eq_u32_e64 s[12:13], 0, v0
	s_mov_b32 s21, 10
	v_mov_b32_e32 v3, 0
	v_lshlrev_b32_e32 v7, 4, v0
	v_cmp_eq_u32_e32 vcc, 63, v0
	v_mul_u32_u24_e32 v8, 3, v6
	v_cmp_lt_u32_e64 s[0:1], 31, v6
	v_lshlrev_b32_e32 v9, 2, v9
	s_or_b64 s[16:17], s[12:13], s[14:15]
	s_mov_b32 s22, 0xc0c0004
	s_waitcnt vmcnt(1)
	v_lshrrev_b32_e32 v2, 8, v4
	v_add_u16_e32 v1, 1, v4
	v_lshlrev_b16_e32 v13, 8, v2
	v_or_b32_sdwa v1, v13, v1 dst_sel:DWORD dst_unused:UNUSED_PAD src0_sel:DWORD src1_sel:BYTE_0
	s_waitcnt vmcnt(0)
	v_add_u16_e32 v12, 1, v5
	v_add_u16_e32 v1, 0x100, v1
	v_and_b32_e32 v12, 0xff, v12
	v_lshrrev_b32_sdwa v11, v11, v1 dst_sel:BYTE_1 dst_unused:UNUSED_PAD src0_sel:DWORD src1_sel:DWORD
	v_lshlrev_b32_e32 v12, 16, v12
	v_or_b32_sdwa v1, v1, v11 dst_sel:DWORD dst_unused:UNUSED_PAD src0_sel:BYTE_0 src1_sel:DWORD
	v_or_b32_sdwa v1, v1, v12 dst_sel:DWORD dst_unused:UNUSED_PAD src0_sel:WORD_0 src1_sel:DWORD
	s_branch .LBB243_2
.LBB243_1:                              ;   in Loop: Header=BB243_2 Depth=1
	s_or_b64 exec, exec, s[12:13]
	ds_bpermute_b32 v2, v9, v2
	s_waitcnt lgkmcnt(0)
	; wave barrier
	s_add_i32 s21, s21, -1
	s_cmp_eq_u32 s21, 0
	v_cndmask_b32_e64 v2, v2, 0, s[16:17]
	v_add_u32_e32 v4, v2, v4
	v_add_u32_e32 v5, v4, v5
	v_add_u32_e32 v1, v5, v1
	ds_write2_b32 v7, v2, v4 offset0:1 offset1:2
	ds_write2_b32 v7, v5, v1 offset0:3 offset1:4
	s_waitcnt lgkmcnt(0)
	; wave barrier
	ds_read_b32 v1, v17 offset:4
	ds_read_b32 v2, v20 offset:4
	;; [unrolled: 1-line block ×3, first 2 shown]
	s_waitcnt lgkmcnt(0)
	; wave barrier
	v_add_u32_e32 v1, v1, v18
	v_add3_u32 v2, v21, v19, v2
	v_add3_u32 v4, v24, v22, v4
	ds_write_b8 v1, v13
	ds_write_b8 v2, v12
	;; [unrolled: 1-line block ×3, first 2 shown]
	s_waitcnt lgkmcnt(0)
	; wave barrier
	ds_read_u8 v5, v0
	ds_read_u8 v17, v0 offset:64
	ds_read_u8 v18, v0 offset:128
	s_waitcnt lgkmcnt(0)
	; wave barrier
	ds_write_b8 v1, v14
	ds_write_b8 v2, v15
	;; [unrolled: 1-line block ×3, first 2 shown]
	s_waitcnt lgkmcnt(0)
	; wave barrier
	ds_read_u8 v11, v0
	ds_read_u8 v12, v0 offset:64
	ds_read_u8 v13, v0 offset:128
	v_xor_b32_e32 v4, 0xffffff80, v5
	v_xor_b32_e32 v5, 0xffffff80, v18
	s_waitcnt lgkmcnt(1)
	v_perm_b32 v1, v11, v12, s22
	s_waitcnt lgkmcnt(0)
	v_lshlrev_b32_e32 v2, 16, v13
	v_or_b32_e32 v1, v1, v2
	v_xor_b32_e32 v2, 0xffffff80, v17
	s_cbranch_scc1 .LBB243_10
.LBB243_2:                              ; =>This Inner Loop Header: Depth=1
	v_xor_b32_e32 v4, 0x80, v4
	v_xor_b32_e32 v2, 0x80, v2
	;; [unrolled: 1-line block ×3, first 2 shown]
	ds_write_b8 v8, v4
	ds_write_b8 v8, v2 offset:1
	ds_write_b8 v8, v5 offset:2
	; wave barrier
	ds_read_u8 v13, v6
	ds_read_u8 v12, v6 offset:64
	ds_read_u8 v11, v6 offset:128
	v_lshrrev_b32_e32 v2, 8, v1
	; wave barrier
	ds_write_b8 v8, v1
	ds_write_b8 v8, v2 offset:1
	ds_write_b8_d16_hi v8, v1 offset:2
	s_waitcnt lgkmcnt(5)
	v_and_b32_e32 v1, 0xff, v13
	v_lshl_add_u32 v17, v1, 2, v10
	v_and_b32_e32 v1, 1, v13
	v_add_co_u32_e64 v2, s[12:13], -1, v1
	v_addc_co_u32_e64 v4, s[12:13], 0, -1, s[12:13]
	v_cmp_ne_u32_e64 s[12:13], 0, v1
	v_xor_b32_e32 v1, s13, v4
	v_lshlrev_b32_e32 v4, 30, v13
	v_xor_b32_e32 v2, s12, v2
	v_cmp_gt_i64_e64 s[12:13], 0, v[3:4]
	v_not_b32_e32 v4, v4
	v_ashrrev_i32_e32 v4, 31, v4
	v_and_b32_e32 v2, exec_lo, v2
	v_xor_b32_e32 v5, s13, v4
	v_xor_b32_e32 v4, s12, v4
	v_and_b32_e32 v2, v2, v4
	v_lshlrev_b32_e32 v4, 29, v13
	v_cmp_gt_i64_e64 s[12:13], 0, v[3:4]
	v_not_b32_e32 v4, v4
	v_and_b32_e32 v1, exec_hi, v1
	v_ashrrev_i32_e32 v4, 31, v4
	v_and_b32_e32 v1, v1, v5
	v_xor_b32_e32 v5, s13, v4
	v_xor_b32_e32 v4, s12, v4
	v_and_b32_e32 v2, v2, v4
	v_lshlrev_b32_e32 v4, 28, v13
	v_cmp_gt_i64_e64 s[12:13], 0, v[3:4]
	v_not_b32_e32 v4, v4
	v_ashrrev_i32_e32 v4, 31, v4
	v_and_b32_e32 v1, v1, v5
	v_xor_b32_e32 v5, s13, v4
	v_xor_b32_e32 v4, s12, v4
	v_and_b32_e32 v2, v2, v4
	v_lshlrev_b32_e32 v4, 27, v13
	v_cmp_gt_i64_e64 s[12:13], 0, v[3:4]
	v_not_b32_e32 v4, v4
	;; [unrolled: 8-line block ×4, first 2 shown]
	v_ashrrev_i32_e32 v4, 31, v4
	v_and_b32_e32 v1, v1, v5
	v_xor_b32_e32 v5, s13, v4
	v_xor_b32_e32 v4, s12, v4
	v_and_b32_e32 v1, v1, v5
	v_and_b32_e32 v5, v2, v4
	v_lshlrev_b32_e32 v4, 24, v13
	v_cmp_gt_i64_e64 s[12:13], 0, v[3:4]
	v_not_b32_e32 v2, v4
	v_ashrrev_i32_e32 v2, 31, v2
	; wave barrier
	ds_read_u8 v14, v6
	ds_read_u8 v15, v6 offset:64
	ds_read_u8 v16, v6 offset:128
	v_xor_b32_e32 v4, s13, v2
	v_xor_b32_e32 v18, s12, v2
	v_and_b32_e32 v2, v1, v4
	v_and_b32_e32 v1, v5, v18
	v_mbcnt_lo_u32_b32 v4, v1, 0
	v_mbcnt_hi_u32_b32 v18, v2, v4
	v_cmp_ne_u64_e64 s[12:13], 0, v[1:2]
	v_cmp_eq_u32_e64 s[14:15], 0, v18
	s_and_b64 s[14:15], s[12:13], s[14:15]
	s_waitcnt lgkmcnt(0)
	; wave barrier
	ds_write2_b32 v7, v3, v3 offset0:1 offset1:2
	ds_write2_b32 v7, v3, v3 offset0:3 offset1:4
	s_waitcnt lgkmcnt(0)
	; wave barrier
	; wave barrier
	s_and_saveexec_b64 s[12:13], s[14:15]
; %bb.3:                                ;   in Loop: Header=BB243_2 Depth=1
	v_bcnt_u32_b32 v1, v1, 0
	v_bcnt_u32_b32 v1, v2, v1
	ds_write_b32 v17, v1 offset:4
; %bb.4:                                ;   in Loop: Header=BB243_2 Depth=1
	s_or_b64 exec, exec, s[12:13]
	v_and_b32_e32 v1, 0xff, v12
	v_lshl_add_u32 v20, v1, 2, v10
	v_and_b32_e32 v1, 1, v12
	v_add_co_u32_e64 v2, s[12:13], -1, v1
	v_addc_co_u32_e64 v4, s[12:13], 0, -1, s[12:13]
	v_cmp_ne_u32_e64 s[12:13], 0, v1
	v_xor_b32_e32 v1, s13, v4
	v_lshlrev_b32_e32 v4, 30, v12
	v_xor_b32_e32 v2, s12, v2
	v_cmp_gt_i64_e64 s[12:13], 0, v[3:4]
	v_not_b32_e32 v4, v4
	v_ashrrev_i32_e32 v4, 31, v4
	v_and_b32_e32 v2, exec_lo, v2
	v_xor_b32_e32 v5, s13, v4
	v_xor_b32_e32 v4, s12, v4
	v_and_b32_e32 v2, v2, v4
	v_lshlrev_b32_e32 v4, 29, v12
	v_cmp_gt_i64_e64 s[12:13], 0, v[3:4]
	v_not_b32_e32 v4, v4
	v_and_b32_e32 v1, exec_hi, v1
	v_ashrrev_i32_e32 v4, 31, v4
	v_and_b32_e32 v1, v1, v5
	v_xor_b32_e32 v5, s13, v4
	v_xor_b32_e32 v4, s12, v4
	v_and_b32_e32 v2, v2, v4
	v_lshlrev_b32_e32 v4, 28, v12
	v_cmp_gt_i64_e64 s[12:13], 0, v[3:4]
	v_not_b32_e32 v4, v4
	v_ashrrev_i32_e32 v4, 31, v4
	v_and_b32_e32 v1, v1, v5
	v_xor_b32_e32 v5, s13, v4
	v_xor_b32_e32 v4, s12, v4
	v_and_b32_e32 v2, v2, v4
	v_lshlrev_b32_e32 v4, 27, v12
	v_cmp_gt_i64_e64 s[12:13], 0, v[3:4]
	v_not_b32_e32 v4, v4
	;; [unrolled: 8-line block ×4, first 2 shown]
	v_ashrrev_i32_e32 v4, 31, v4
	v_and_b32_e32 v1, v1, v5
	v_xor_b32_e32 v5, s13, v4
	v_xor_b32_e32 v4, s12, v4
	v_and_b32_e32 v1, v1, v5
	v_and_b32_e32 v5, v2, v4
	v_lshlrev_b32_e32 v4, 24, v12
	v_cmp_gt_i64_e64 s[12:13], 0, v[3:4]
	v_not_b32_e32 v2, v4
	v_ashrrev_i32_e32 v2, 31, v2
	v_xor_b32_e32 v4, s13, v2
	v_xor_b32_e32 v21, s12, v2
	; wave barrier
	ds_read_b32 v19, v20 offset:4
	v_and_b32_e32 v2, v1, v4
	v_and_b32_e32 v1, v5, v21
	v_mbcnt_lo_u32_b32 v4, v1, 0
	v_mbcnt_hi_u32_b32 v21, v2, v4
	v_cmp_ne_u64_e64 s[12:13], 0, v[1:2]
	v_cmp_eq_u32_e64 s[14:15], 0, v21
	s_and_b64 s[14:15], s[12:13], s[14:15]
	; wave barrier
	s_and_saveexec_b64 s[12:13], s[14:15]
	s_cbranch_execz .LBB243_6
; %bb.5:                                ;   in Loop: Header=BB243_2 Depth=1
	v_bcnt_u32_b32 v1, v1, 0
	v_bcnt_u32_b32 v1, v2, v1
	s_waitcnt lgkmcnt(0)
	v_add_u32_e32 v1, v19, v1
	ds_write_b32 v20, v1 offset:4
.LBB243_6:                              ;   in Loop: Header=BB243_2 Depth=1
	s_or_b64 exec, exec, s[12:13]
	v_and_b32_e32 v1, 0xff, v11
	v_lshl_add_u32 v23, v1, 2, v10
	v_and_b32_e32 v1, 1, v11
	v_add_co_u32_e64 v2, s[12:13], -1, v1
	v_addc_co_u32_e64 v4, s[12:13], 0, -1, s[12:13]
	v_cmp_ne_u32_e64 s[12:13], 0, v1
	v_xor_b32_e32 v1, s13, v4
	v_lshlrev_b32_e32 v4, 30, v11
	v_xor_b32_e32 v2, s12, v2
	v_cmp_gt_i64_e64 s[12:13], 0, v[3:4]
	v_not_b32_e32 v4, v4
	v_ashrrev_i32_e32 v4, 31, v4
	v_and_b32_e32 v2, exec_lo, v2
	v_xor_b32_e32 v5, s13, v4
	v_xor_b32_e32 v4, s12, v4
	v_and_b32_e32 v2, v2, v4
	v_lshlrev_b32_e32 v4, 29, v11
	v_cmp_gt_i64_e64 s[12:13], 0, v[3:4]
	v_not_b32_e32 v4, v4
	v_and_b32_e32 v1, exec_hi, v1
	v_ashrrev_i32_e32 v4, 31, v4
	v_and_b32_e32 v1, v1, v5
	v_xor_b32_e32 v5, s13, v4
	v_xor_b32_e32 v4, s12, v4
	v_and_b32_e32 v2, v2, v4
	v_lshlrev_b32_e32 v4, 28, v11
	v_cmp_gt_i64_e64 s[12:13], 0, v[3:4]
	v_not_b32_e32 v4, v4
	v_ashrrev_i32_e32 v4, 31, v4
	v_and_b32_e32 v1, v1, v5
	v_xor_b32_e32 v5, s13, v4
	v_xor_b32_e32 v4, s12, v4
	v_and_b32_e32 v2, v2, v4
	v_lshlrev_b32_e32 v4, 27, v11
	v_cmp_gt_i64_e64 s[12:13], 0, v[3:4]
	v_not_b32_e32 v4, v4
	;; [unrolled: 8-line block ×4, first 2 shown]
	v_ashrrev_i32_e32 v4, 31, v4
	v_and_b32_e32 v1, v1, v5
	v_xor_b32_e32 v5, s13, v4
	v_xor_b32_e32 v4, s12, v4
	v_and_b32_e32 v1, v1, v5
	v_and_b32_e32 v5, v2, v4
	v_lshlrev_b32_e32 v4, 24, v11
	v_cmp_gt_i64_e64 s[12:13], 0, v[3:4]
	v_not_b32_e32 v2, v4
	v_ashrrev_i32_e32 v2, 31, v2
	v_xor_b32_e32 v4, s13, v2
	v_xor_b32_e32 v24, s12, v2
	; wave barrier
	ds_read_b32 v22, v23 offset:4
	v_and_b32_e32 v2, v1, v4
	v_and_b32_e32 v1, v5, v24
	v_mbcnt_lo_u32_b32 v4, v1, 0
	v_mbcnt_hi_u32_b32 v24, v2, v4
	v_cmp_ne_u64_e64 s[12:13], 0, v[1:2]
	v_cmp_eq_u32_e64 s[14:15], 0, v24
	s_and_b64 s[14:15], s[12:13], s[14:15]
	; wave barrier
	s_and_saveexec_b64 s[12:13], s[14:15]
	s_cbranch_execz .LBB243_8
; %bb.7:                                ;   in Loop: Header=BB243_2 Depth=1
	v_bcnt_u32_b32 v1, v1, 0
	v_bcnt_u32_b32 v1, v2, v1
	s_waitcnt lgkmcnt(0)
	v_add_u32_e32 v1, v22, v1
	ds_write_b32 v23, v1 offset:4
.LBB243_8:                              ;   in Loop: Header=BB243_2 Depth=1
	s_or_b64 exec, exec, s[12:13]
	; wave barrier
	s_waitcnt lgkmcnt(0)
	; wave barrier
	ds_read2_b32 v[4:5], v7 offset0:1 offset1:2
	ds_read2_b32 v[1:2], v7 offset0:3 offset1:4
	s_waitcnt lgkmcnt(1)
	v_add_u32_e32 v25, v5, v4
	s_waitcnt lgkmcnt(0)
	v_add3_u32 v2, v25, v1, v2
	s_nop 1
	v_mov_b32_dpp v25, v2 row_shr:1 row_mask:0xf bank_mask:0xf
	v_cndmask_b32_e64 v25, v25, 0, s[2:3]
	v_add_u32_e32 v2, v25, v2
	s_nop 1
	v_mov_b32_dpp v25, v2 row_shr:2 row_mask:0xf bank_mask:0xf
	v_cndmask_b32_e64 v25, 0, v25, s[4:5]
	v_add_u32_e32 v2, v2, v25
	s_nop 1
	v_mov_b32_dpp v25, v2 row_shr:4 row_mask:0xf bank_mask:0xf
	v_cndmask_b32_e64 v25, 0, v25, s[6:7]
	v_add_u32_e32 v2, v2, v25
	s_nop 1
	v_mov_b32_dpp v25, v2 row_shr:8 row_mask:0xf bank_mask:0xf
	v_cndmask_b32_e64 v25, 0, v25, s[8:9]
	v_add_u32_e32 v2, v2, v25
	s_nop 1
	v_mov_b32_dpp v25, v2 row_bcast:15 row_mask:0xf bank_mask:0xf
	v_cndmask_b32_e64 v25, v25, 0, s[10:11]
	v_add_u32_e32 v2, v2, v25
	s_nop 1
	v_mov_b32_dpp v25, v2 row_bcast:31 row_mask:0xf bank_mask:0xf
	v_cndmask_b32_e64 v25, 0, v25, s[0:1]
	v_add_u32_e32 v2, v2, v25
	s_and_saveexec_b64 s[12:13], vcc
	s_cbranch_execz .LBB243_1
; %bb.9:                                ;   in Loop: Header=BB243_2 Depth=1
	ds_write_b32 v3, v2
	s_branch .LBB243_1
.LBB243_10:
	s_add_u32 s0, s18, s20
	v_add_u16_e32 v1, v4, v11
	s_addc_u32 s1, s19, 0
	v_add_u16_e32 v2, v2, v12
	v_add_u16_e32 v3, v5, v13
	global_store_byte v0, v1, s[0:1]
	global_store_byte v0, v2, s[0:1] offset:64
	global_store_byte v0, v3, s[0:1] offset:128
	s_endpgm
	.section	.rodata,"a",@progbits
	.p2align	6, 0x0
	.amdhsa_kernel _Z17sort_pairs_kernelI22helper_blocked_stripedaLj64ELj3ELj10EEvPKT0_PS1_
		.amdhsa_group_segment_fixed_size 1040
		.amdhsa_private_segment_fixed_size 0
		.amdhsa_kernarg_size 272
		.amdhsa_user_sgpr_count 6
		.amdhsa_user_sgpr_private_segment_buffer 1
		.amdhsa_user_sgpr_dispatch_ptr 0
		.amdhsa_user_sgpr_queue_ptr 0
		.amdhsa_user_sgpr_kernarg_segment_ptr 1
		.amdhsa_user_sgpr_dispatch_id 0
		.amdhsa_user_sgpr_flat_scratch_init 0
		.amdhsa_user_sgpr_private_segment_size 0
		.amdhsa_uses_dynamic_stack 0
		.amdhsa_system_sgpr_private_segment_wavefront_offset 0
		.amdhsa_system_sgpr_workgroup_id_x 1
		.amdhsa_system_sgpr_workgroup_id_y 0
		.amdhsa_system_sgpr_workgroup_id_z 0
		.amdhsa_system_sgpr_workgroup_info 0
		.amdhsa_system_vgpr_workitem_id 2
		.amdhsa_next_free_vgpr 26
		.amdhsa_next_free_sgpr 24
		.amdhsa_reserve_vcc 1
		.amdhsa_reserve_flat_scratch 0
		.amdhsa_float_round_mode_32 0
		.amdhsa_float_round_mode_16_64 0
		.amdhsa_float_denorm_mode_32 3
		.amdhsa_float_denorm_mode_16_64 3
		.amdhsa_dx10_clamp 1
		.amdhsa_ieee_mode 1
		.amdhsa_fp16_overflow 0
		.amdhsa_exception_fp_ieee_invalid_op 0
		.amdhsa_exception_fp_denorm_src 0
		.amdhsa_exception_fp_ieee_div_zero 0
		.amdhsa_exception_fp_ieee_overflow 0
		.amdhsa_exception_fp_ieee_underflow 0
		.amdhsa_exception_fp_ieee_inexact 0
		.amdhsa_exception_int_div_zero 0
	.end_amdhsa_kernel
	.section	.text._Z17sort_pairs_kernelI22helper_blocked_stripedaLj64ELj3ELj10EEvPKT0_PS1_,"axG",@progbits,_Z17sort_pairs_kernelI22helper_blocked_stripedaLj64ELj3ELj10EEvPKT0_PS1_,comdat
.Lfunc_end243:
	.size	_Z17sort_pairs_kernelI22helper_blocked_stripedaLj64ELj3ELj10EEvPKT0_PS1_, .Lfunc_end243-_Z17sort_pairs_kernelI22helper_blocked_stripedaLj64ELj3ELj10EEvPKT0_PS1_
                                        ; -- End function
	.set _Z17sort_pairs_kernelI22helper_blocked_stripedaLj64ELj3ELj10EEvPKT0_PS1_.num_vgpr, 26
	.set _Z17sort_pairs_kernelI22helper_blocked_stripedaLj64ELj3ELj10EEvPKT0_PS1_.num_agpr, 0
	.set _Z17sort_pairs_kernelI22helper_blocked_stripedaLj64ELj3ELj10EEvPKT0_PS1_.numbered_sgpr, 24
	.set _Z17sort_pairs_kernelI22helper_blocked_stripedaLj64ELj3ELj10EEvPKT0_PS1_.num_named_barrier, 0
	.set _Z17sort_pairs_kernelI22helper_blocked_stripedaLj64ELj3ELj10EEvPKT0_PS1_.private_seg_size, 0
	.set _Z17sort_pairs_kernelI22helper_blocked_stripedaLj64ELj3ELj10EEvPKT0_PS1_.uses_vcc, 1
	.set _Z17sort_pairs_kernelI22helper_blocked_stripedaLj64ELj3ELj10EEvPKT0_PS1_.uses_flat_scratch, 0
	.set _Z17sort_pairs_kernelI22helper_blocked_stripedaLj64ELj3ELj10EEvPKT0_PS1_.has_dyn_sized_stack, 0
	.set _Z17sort_pairs_kernelI22helper_blocked_stripedaLj64ELj3ELj10EEvPKT0_PS1_.has_recursion, 0
	.set _Z17sort_pairs_kernelI22helper_blocked_stripedaLj64ELj3ELj10EEvPKT0_PS1_.has_indirect_call, 0
	.section	.AMDGPU.csdata,"",@progbits
; Kernel info:
; codeLenInByte = 2180
; TotalNumSgprs: 28
; NumVgprs: 26
; ScratchSize: 0
; MemoryBound: 0
; FloatMode: 240
; IeeeMode: 1
; LDSByteSize: 1040 bytes/workgroup (compile time only)
; SGPRBlocks: 3
; VGPRBlocks: 6
; NumSGPRsForWavesPerEU: 28
; NumVGPRsForWavesPerEU: 26
; Occupancy: 9
; WaveLimiterHint : 0
; COMPUTE_PGM_RSRC2:SCRATCH_EN: 0
; COMPUTE_PGM_RSRC2:USER_SGPR: 6
; COMPUTE_PGM_RSRC2:TRAP_HANDLER: 0
; COMPUTE_PGM_RSRC2:TGID_X_EN: 1
; COMPUTE_PGM_RSRC2:TGID_Y_EN: 0
; COMPUTE_PGM_RSRC2:TGID_Z_EN: 0
; COMPUTE_PGM_RSRC2:TIDIG_COMP_CNT: 2
	.section	.text._Z16sort_keys_kernelI22helper_blocked_stripedaLj64ELj4ELj10EEvPKT0_PS1_,"axG",@progbits,_Z16sort_keys_kernelI22helper_blocked_stripedaLj64ELj4ELj10EEvPKT0_PS1_,comdat
	.protected	_Z16sort_keys_kernelI22helper_blocked_stripedaLj64ELj4ELj10EEvPKT0_PS1_ ; -- Begin function _Z16sort_keys_kernelI22helper_blocked_stripedaLj64ELj4ELj10EEvPKT0_PS1_
	.globl	_Z16sort_keys_kernelI22helper_blocked_stripedaLj64ELj4ELj10EEvPKT0_PS1_
	.p2align	8
	.type	_Z16sort_keys_kernelI22helper_blocked_stripedaLj64ELj4ELj10EEvPKT0_PS1_,@function
_Z16sort_keys_kernelI22helper_blocked_stripedaLj64ELj4ELj10EEvPKT0_PS1_: ; @_Z16sort_keys_kernelI22helper_blocked_stripedaLj64ELj4ELj10EEvPKT0_PS1_
; %bb.0:
	s_load_dwordx4 s[24:27], s[4:5], 0x0
	s_load_dword s36, s[4:5], 0x1c
	s_lshl_b32 s28, s6, 8
	v_lshlrev_b32_e32 v3, 2, v0
	v_mbcnt_lo_u32_b32 v4, -1, 0
	s_waitcnt lgkmcnt(0)
	s_add_u32 s0, s24, s28
	s_addc_u32 s1, s25, 0
	global_load_dword v3, v3, s[0:1]
	v_mbcnt_hi_u32_b32 v4, -1, v4
	s_lshr_b32 s37, s36, 16
	v_lshrrev_b32_e32 v5, 2, v4
	v_and_b32_e32 v7, 3, v4
	v_and_b32_e32 v8, 64, v4
	v_subrev_co_u32_e64 v11, s[22:23], 1, v4
	s_and_b32 s36, s36, 0xffff
	v_mad_u32_u24 v1, v2, s37, v1
	v_cmp_eq_u32_e64 s[2:3], 3, v7
	v_cmp_eq_u32_e64 s[4:5], 2, v7
	;; [unrolled: 1-line block ×4, first 2 shown]
	v_or_b32_e32 v7, v5, v8
	v_add_u32_e32 v5, 48, v5
	v_cmp_lt_i32_e64 s[24:25], v11, v8
	v_mad_u32_u24 v1, v1, s36, v0
	v_cmp_eq_u32_e64 s[20:21], 0, v0
	v_and_b32_e32 v9, 15, v4
	v_and_b32_e32 v10, 16, v4
	v_cmp_lt_u32_e64 s[0:1], 31, v4
	v_cndmask_b32_e64 v4, v11, v4, s[24:25]
	v_lshlrev_b32_e32 v7, 2, v7
	v_and_or_b32 v5, v5, 63, v8
	v_lshrrev_b32_e32 v1, 4, v1
	s_mov_b32 s29, 0xffff
	s_mov_b32 s30, 10
	s_movk_i32 s31, 0xff
	s_mov_b32 s33, 0x3020104
	s_mov_b32 s34, 0xffff0000
	;; [unrolled: 1-line block ×3, first 2 shown]
	v_lshlrev_b32_e32 v6, 4, v0
	v_cmp_eq_u32_e32 vcc, 63, v0
	v_cmp_eq_u32_e64 s[10:11], 0, v9
	v_cmp_lt_u32_e64 s[12:13], 1, v9
	v_cmp_lt_u32_e64 s[14:15], 3, v9
	;; [unrolled: 1-line block ×3, first 2 shown]
	v_cmp_eq_u32_e64 s[18:19], 0, v10
	v_lshlrev_b32_e32 v8, 2, v4
	v_add_u32_e32 v9, 64, v7
	v_or_b32_e32 v10, 0x80, v7
	v_lshlrev_b32_e32 v11, 2, v5
	s_or_b64 s[24:25], s[20:21], s[22:23]
	v_and_b32_e32 v12, 0xffffffc, v1
	v_mov_b32_e32 v1, 0
	s_waitcnt vmcnt(0)
	v_lshrrev_b32_e32 v4, 24, v3
	v_lshrrev_b32_e32 v2, 16, v3
	;; [unrolled: 1-line block ×3, first 2 shown]
	s_branch .LBB244_2
.LBB244_1:                              ;   in Loop: Header=BB244_2 Depth=1
	s_or_b64 exec, exec, s[20:21]
	ds_bpermute_b32 v3, v8, v3
	s_waitcnt lgkmcnt(0)
	; wave barrier
	s_add_i32 s30, s30, -1
	s_cmp_eq_u32 s30, 0
	v_cndmask_b32_e64 v3, v3, 0, s[24:25]
	v_add_u32_e32 v4, v3, v4
	v_add_u32_e32 v5, v4, v5
	;; [unrolled: 1-line block ×3, first 2 shown]
	ds_write2_b32 v6, v3, v4 offset0:1 offset1:2
	ds_write2_b32 v6, v5, v2 offset0:3 offset1:4
	s_waitcnt lgkmcnt(0)
	; wave barrier
	ds_read_b32 v2, v14 offset:4
	ds_read_b32 v3, v18 offset:4
	;; [unrolled: 1-line block ×4, first 2 shown]
	s_waitcnt lgkmcnt(0)
	v_add_u32_e32 v2, v2, v15
	; wave barrier
	ds_write_b8 v2, v13
	v_add3_u32 v2, v19, v17, v3
	ds_write_b8 v2, v16
	v_add3_u32 v2, v23, v21, v4
	;; [unrolled: 2-line block ×3, first 2 shown]
	ds_write_b8 v2, v24
	s_waitcnt lgkmcnt(0)
	; wave barrier
	ds_read_u8 v2, v0
	ds_read_u8 v4, v0 offset:64
	ds_read_u8 v13, v0 offset:128
	;; [unrolled: 1-line block ×3, first 2 shown]
	s_waitcnt lgkmcnt(3)
	v_xor_b32_e32 v3, 0xffffff80, v2
	s_waitcnt lgkmcnt(2)
	v_xor_b32_e32 v5, 0xffffff80, v4
	;; [unrolled: 2-line block ×4, first 2 shown]
	s_cbranch_scc1 .LBB244_12
.LBB244_2:                              ; =>This Inner Loop Header: Depth=1
	v_xor_b32_e32 v3, 0x80, v3
	v_xor_b32_e32 v5, 0x80, v5
	v_and_b32_e32 v3, 0xff, v3
	ds_bpermute_b32 v13, v7, v3
	v_xor_b32_e32 v2, 0x80, v2
	v_and_b32_e32 v5, 0xff, v5
	ds_bpermute_b32 v14, v7, v5
	v_and_b32_e32 v2, 0xff, v2
	ds_bpermute_b32 v15, v7, v2
	v_xor_b32_e32 v4, 0x80, v4
	v_and_b32_e32 v4, 0xff, v4
	s_waitcnt lgkmcnt(2)
	v_and_b32_e32 v13, 0xff, v13
	ds_bpermute_b32 v16, v7, v4
	v_cndmask_b32_e64 v13, 0, v13, s[8:9]
	s_waitcnt lgkmcnt(2)
	v_and_b32_e32 v14, 0xff, v14
	v_cndmask_b32_e64 v13, v13, v14, s[6:7]
	s_waitcnt lgkmcnt(1)
	v_and_b32_e32 v14, 0xff, v15
	ds_bpermute_b32 v15, v9, v3
	v_cndmask_b32_e64 v13, v13, v14, s[4:5]
	s_waitcnt lgkmcnt(1)
	v_perm_b32 v14, v16, v13, s33
	v_cndmask_b32_e64 v13, v13, v14, s[2:3]
	ds_bpermute_b32 v14, v9, v5
	s_waitcnt lgkmcnt(1)
	v_lshlrev_b16_e32 v15, 8, v15
	v_or_b32_sdwa v15, v13, v15 dst_sel:DWORD dst_unused:UNUSED_PAD src0_sel:BYTE_0 src1_sel:DWORD
	v_and_b32_e32 v15, 0xffff, v15
	v_cndmask_b32_e64 v13, v13, v15, s[8:9]
	ds_bpermute_b32 v15, v9, v2
	s_waitcnt lgkmcnt(1)
	v_lshlrev_b16_e32 v14, 8, v14
	v_or_b32_sdwa v14, v13, v14 dst_sel:DWORD dst_unused:UNUSED_PAD src0_sel:BYTE_0 src1_sel:DWORD
	v_and_b32_e32 v14, 0xffff, v14
	v_and_or_b32 v14, v13, s34, v14
	v_cndmask_b32_e64 v13, v13, v14, s[6:7]
	s_waitcnt lgkmcnt(0)
	v_lshlrev_b16_e32 v14, 8, v15
	ds_bpermute_b32 v15, v9, v4
	v_or_b32_sdwa v14, v13, v14 dst_sel:DWORD dst_unused:UNUSED_PAD src0_sel:BYTE_0 src1_sel:DWORD
	v_and_b32_e32 v14, 0xffff, v14
	v_and_or_b32 v14, v13, s34, v14
	v_cndmask_b32_e64 v13, v13, v14, s[4:5]
	s_waitcnt lgkmcnt(0)
	v_lshlrev_b16_e32 v14, 8, v15
	ds_bpermute_b32 v15, v10, v3
	v_or_b32_sdwa v14, v13, v14 dst_sel:DWORD dst_unused:UNUSED_PAD src0_sel:BYTE_0 src1_sel:DWORD
	v_and_b32_e32 v14, 0xffff, v14
	v_and_or_b32 v14, v13, s34, v14
	v_cndmask_b32_e64 v13, v13, v14, s[2:3]
	ds_bpermute_b32 v14, v10, v5
	s_waitcnt lgkmcnt(1)
	v_perm_b32 v15, v15, v13, s35
	v_lshlrev_b32_e32 v15, 16, v15
	v_and_or_b32 v15, v13, s29, v15
	v_cndmask_b32_e64 v13, v13, v15, s[8:9]
	ds_bpermute_b32 v15, v10, v2
	s_waitcnt lgkmcnt(1)
	v_perm_b32 v14, v14, v13, s35
	v_lshlrev_b32_e32 v14, 16, v14
	;; [unrolled: 6-line block ×4, first 2 shown]
	v_and_or_b32 v14, v13, s29, v14
	v_cndmask_b32_e64 v13, v13, v14, s[2:3]
	ds_bpermute_b32 v5, v11, v5
	v_and_b32_sdwa v14, v13, s31 dst_sel:DWORD dst_unused:UNUSED_PAD src0_sel:WORD_1 src1_sel:DWORD
	s_waitcnt lgkmcnt(1)
	v_lshlrev_b16_e32 v3, 8, v3
	v_or_b32_sdwa v3, v14, v3 dst_sel:WORD_1 dst_unused:UNUSED_PAD src0_sel:DWORD src1_sel:DWORD
	v_and_or_b32 v3, v13, s29, v3
	v_cndmask_b32_e64 v3, v13, v3, s[8:9]
	ds_bpermute_b32 v2, v11, v2
	v_and_b32_sdwa v13, v3, s31 dst_sel:DWORD dst_unused:UNUSED_PAD src0_sel:WORD_1 src1_sel:DWORD
	s_waitcnt lgkmcnt(1)
	v_lshlrev_b16_e32 v5, 8, v5
	v_or_b32_sdwa v5, v13, v5 dst_sel:WORD_1 dst_unused:UNUSED_PAD src0_sel:DWORD src1_sel:DWORD
	;; [unrolled: 7-line block ×3, first 2 shown]
	v_and_or_b32 v2, v3, s29, v2
	v_cndmask_b32_e64 v2, v3, v2, s[4:5]
	v_and_b32_sdwa v3, v2, s31 dst_sel:DWORD dst_unused:UNUSED_PAD src0_sel:WORD_1 src1_sel:DWORD
	s_waitcnt lgkmcnt(0)
	v_lshlrev_b16_e32 v4, 8, v4
	v_or_b32_sdwa v3, v3, v4 dst_sel:WORD_1 dst_unused:UNUSED_PAD src0_sel:DWORD src1_sel:DWORD
	v_and_or_b32 v3, v2, s29, v3
	v_cndmask_b32_e64 v13, v2, v3, s[2:3]
	v_and_b32_e32 v2, 0xff, v13
	v_lshl_add_u32 v14, v2, 2, v12
	v_and_b32_e32 v2, 1, v13
	v_add_co_u32_e64 v3, s[20:21], -1, v2
	v_addc_co_u32_e64 v4, s[20:21], 0, -1, s[20:21]
	v_cmp_ne_u32_e64 s[20:21], 0, v2
	v_xor_b32_e32 v2, s21, v4
	v_and_b32_e32 v4, exec_hi, v2
	v_lshlrev_b32_e32 v2, 30, v13
	v_xor_b32_e32 v3, s20, v3
	v_cmp_gt_i64_e64 s[20:21], 0, v[1:2]
	v_not_b32_e32 v2, v2
	v_ashrrev_i32_e32 v2, 31, v2
	v_and_b32_e32 v3, exec_lo, v3
	v_xor_b32_e32 v5, s21, v2
	v_xor_b32_e32 v2, s20, v2
	v_and_b32_e32 v3, v3, v2
	v_lshlrev_b32_e32 v2, 29, v13
	v_cmp_gt_i64_e64 s[20:21], 0, v[1:2]
	v_not_b32_e32 v2, v2
	v_ashrrev_i32_e32 v2, 31, v2
	v_and_b32_e32 v4, v4, v5
	v_xor_b32_e32 v5, s21, v2
	v_xor_b32_e32 v2, s20, v2
	v_and_b32_e32 v3, v3, v2
	v_lshlrev_b32_e32 v2, 28, v13
	v_cmp_gt_i64_e64 s[20:21], 0, v[1:2]
	v_not_b32_e32 v2, v2
	v_ashrrev_i32_e32 v2, 31, v2
	v_and_b32_e32 v4, v4, v5
	;; [unrolled: 8-line block ×5, first 2 shown]
	v_xor_b32_e32 v5, s21, v2
	v_xor_b32_e32 v2, s20, v2
	v_and_b32_e32 v4, v4, v5
	v_and_b32_e32 v5, v3, v2
	v_lshlrev_b32_e32 v2, 24, v13
	v_cmp_gt_i64_e64 s[20:21], 0, v[1:2]
	v_not_b32_e32 v2, v2
	v_ashrrev_i32_e32 v2, 31, v2
	v_xor_b32_e32 v3, s21, v2
	v_xor_b32_e32 v2, s20, v2
	v_and_b32_e32 v2, v5, v2
	v_and_b32_e32 v3, v4, v3
	v_mbcnt_lo_u32_b32 v4, v2, 0
	v_mbcnt_hi_u32_b32 v15, v3, v4
	v_cmp_ne_u64_e64 s[20:21], 0, v[2:3]
	v_cmp_eq_u32_e64 s[22:23], 0, v15
	s_and_b64 s[22:23], s[22:23], s[20:21]
	; wave barrier
	ds_write2_b32 v6, v1, v1 offset0:1 offset1:2
	ds_write2_b32 v6, v1, v1 offset0:3 offset1:4
	s_waitcnt lgkmcnt(0)
	; wave barrier
	; wave barrier
	s_and_saveexec_b64 s[20:21], s[22:23]
; %bb.3:                                ;   in Loop: Header=BB244_2 Depth=1
	v_bcnt_u32_b32 v2, v2, 0
	v_bcnt_u32_b32 v2, v3, v2
	ds_write_b32 v14, v2 offset:4
; %bb.4:                                ;   in Loop: Header=BB244_2 Depth=1
	s_or_b64 exec, exec, s[20:21]
	v_bfe_u32 v2, v13, 8, 8
	v_lshl_add_u32 v18, v2, 2, v12
	v_bfe_u32 v2, v13, 8, 1
	v_add_co_u32_e64 v3, s[20:21], -1, v2
	v_addc_co_u32_e64 v4, s[20:21], 0, -1, s[20:21]
	v_cmp_ne_u32_e64 s[20:21], 0, v2
	v_lshrrev_b32_e32 v16, 8, v13
	v_xor_b32_e32 v2, s21, v4
	v_and_b32_e32 v4, exec_hi, v2
	v_lshlrev_b32_e32 v2, 30, v16
	v_xor_b32_e32 v3, s20, v3
	v_cmp_gt_i64_e64 s[20:21], 0, v[1:2]
	v_not_b32_e32 v2, v2
	v_ashrrev_i32_e32 v2, 31, v2
	v_and_b32_e32 v3, exec_lo, v3
	v_xor_b32_e32 v5, s21, v2
	v_xor_b32_e32 v2, s20, v2
	v_and_b32_e32 v3, v3, v2
	v_lshlrev_b32_e32 v2, 29, v16
	v_cmp_gt_i64_e64 s[20:21], 0, v[1:2]
	v_not_b32_e32 v2, v2
	v_ashrrev_i32_e32 v2, 31, v2
	v_and_b32_e32 v4, v4, v5
	v_xor_b32_e32 v5, s21, v2
	v_xor_b32_e32 v2, s20, v2
	v_and_b32_e32 v3, v3, v2
	v_lshlrev_b32_e32 v2, 28, v16
	v_cmp_gt_i64_e64 s[20:21], 0, v[1:2]
	v_not_b32_e32 v2, v2
	v_ashrrev_i32_e32 v2, 31, v2
	v_and_b32_e32 v4, v4, v5
	v_xor_b32_e32 v5, s21, v2
	v_xor_b32_e32 v2, s20, v2
	v_and_b32_e32 v3, v3, v2
	v_lshlrev_b32_e32 v2, 27, v16
	v_cmp_gt_i64_e64 s[20:21], 0, v[1:2]
	v_not_b32_e32 v2, v2
	v_ashrrev_i32_e32 v2, 31, v2
	v_and_b32_e32 v4, v4, v5
	v_xor_b32_e32 v5, s21, v2
	v_xor_b32_e32 v2, s20, v2
	v_and_b32_e32 v3, v3, v2
	v_lshlrev_b32_e32 v2, 26, v16
	v_cmp_gt_i64_e64 s[20:21], 0, v[1:2]
	v_not_b32_e32 v2, v2
	v_ashrrev_i32_e32 v2, 31, v2
	v_and_b32_e32 v4, v4, v5
	v_xor_b32_e32 v5, s21, v2
	v_xor_b32_e32 v2, s20, v2
	v_and_b32_e32 v3, v3, v2
	v_lshlrev_b32_e32 v2, 25, v16
	v_cmp_gt_i64_e64 s[20:21], 0, v[1:2]
	v_not_b32_e32 v2, v2
	v_ashrrev_i32_e32 v2, 31, v2
	v_and_b32_e32 v4, v4, v5
	v_xor_b32_e32 v5, s21, v2
	v_xor_b32_e32 v2, s20, v2
	v_and_b32_e32 v4, v4, v5
	v_and_b32_e32 v5, v3, v2
	v_lshlrev_b32_e32 v2, 24, v16
	v_cmp_gt_i64_e64 s[20:21], 0, v[1:2]
	v_not_b32_e32 v2, v2
	v_ashrrev_i32_e32 v2, 31, v2
	v_xor_b32_e32 v3, s21, v2
	v_xor_b32_e32 v2, s20, v2
	; wave barrier
	ds_read_b32 v17, v18 offset:4
	v_and_b32_e32 v2, v5, v2
	v_and_b32_e32 v3, v4, v3
	v_mbcnt_lo_u32_b32 v4, v2, 0
	v_mbcnt_hi_u32_b32 v19, v3, v4
	v_cmp_ne_u64_e64 s[20:21], 0, v[2:3]
	v_cmp_eq_u32_e64 s[22:23], 0, v19
	s_and_b64 s[22:23], s[20:21], s[22:23]
	; wave barrier
	s_and_saveexec_b64 s[20:21], s[22:23]
	s_cbranch_execz .LBB244_6
; %bb.5:                                ;   in Loop: Header=BB244_2 Depth=1
	v_bcnt_u32_b32 v2, v2, 0
	v_bcnt_u32_b32 v2, v3, v2
	s_waitcnt lgkmcnt(0)
	v_add_u32_e32 v2, v17, v2
	ds_write_b32 v18, v2 offset:4
.LBB244_6:                              ;   in Loop: Header=BB244_2 Depth=1
	s_or_b64 exec, exec, s[20:21]
	v_bfe_u32 v2, v13, 16, 8
	v_lshl_add_u32 v22, v2, 2, v12
	v_bfe_u32 v2, v13, 16, 1
	v_add_co_u32_e64 v3, s[20:21], -1, v2
	v_addc_co_u32_e64 v4, s[20:21], 0, -1, s[20:21]
	v_cmp_ne_u32_e64 s[20:21], 0, v2
	v_lshrrev_b32_e32 v20, 16, v13
	v_xor_b32_e32 v2, s21, v4
	v_and_b32_e32 v4, exec_hi, v2
	v_lshlrev_b32_e32 v2, 30, v20
	v_xor_b32_e32 v3, s20, v3
	v_cmp_gt_i64_e64 s[20:21], 0, v[1:2]
	v_not_b32_e32 v2, v2
	v_ashrrev_i32_e32 v2, 31, v2
	v_and_b32_e32 v3, exec_lo, v3
	v_xor_b32_e32 v5, s21, v2
	v_xor_b32_e32 v2, s20, v2
	v_and_b32_e32 v3, v3, v2
	v_lshlrev_b32_e32 v2, 29, v20
	v_cmp_gt_i64_e64 s[20:21], 0, v[1:2]
	v_not_b32_e32 v2, v2
	v_ashrrev_i32_e32 v2, 31, v2
	v_and_b32_e32 v4, v4, v5
	v_xor_b32_e32 v5, s21, v2
	v_xor_b32_e32 v2, s20, v2
	v_and_b32_e32 v3, v3, v2
	v_lshlrev_b32_e32 v2, 28, v20
	v_cmp_gt_i64_e64 s[20:21], 0, v[1:2]
	v_not_b32_e32 v2, v2
	v_ashrrev_i32_e32 v2, 31, v2
	v_and_b32_e32 v4, v4, v5
	;; [unrolled: 8-line block ×5, first 2 shown]
	v_xor_b32_e32 v5, s21, v2
	v_xor_b32_e32 v2, s20, v2
	v_and_b32_e32 v4, v4, v5
	v_and_b32_e32 v5, v3, v2
	v_lshlrev_b32_e32 v2, 24, v20
	v_cmp_gt_i64_e64 s[20:21], 0, v[1:2]
	v_not_b32_e32 v2, v2
	v_ashrrev_i32_e32 v2, 31, v2
	v_xor_b32_e32 v3, s21, v2
	v_xor_b32_e32 v2, s20, v2
	; wave barrier
	ds_read_b32 v21, v22 offset:4
	v_and_b32_e32 v2, v5, v2
	v_and_b32_e32 v3, v4, v3
	v_mbcnt_lo_u32_b32 v4, v2, 0
	v_mbcnt_hi_u32_b32 v23, v3, v4
	v_cmp_ne_u64_e64 s[20:21], 0, v[2:3]
	v_cmp_eq_u32_e64 s[22:23], 0, v23
	s_and_b64 s[22:23], s[20:21], s[22:23]
	; wave barrier
	s_and_saveexec_b64 s[20:21], s[22:23]
	s_cbranch_execz .LBB244_8
; %bb.7:                                ;   in Loop: Header=BB244_2 Depth=1
	v_bcnt_u32_b32 v2, v2, 0
	v_bcnt_u32_b32 v2, v3, v2
	s_waitcnt lgkmcnt(0)
	v_add_u32_e32 v2, v21, v2
	ds_write_b32 v22, v2 offset:4
.LBB244_8:                              ;   in Loop: Header=BB244_2 Depth=1
	s_or_b64 exec, exec, s[20:21]
	v_bfe_u32 v2, v13, 24, 1
	v_add_co_u32_e64 v3, s[20:21], -1, v2
	v_addc_co_u32_e64 v4, s[20:21], 0, -1, s[20:21]
	v_cmp_ne_u32_e64 s[20:21], 0, v2
	v_lshrrev_b32_e32 v24, 24, v13
	v_xor_b32_e32 v2, s21, v4
	v_and_b32_e32 v4, exec_hi, v2
	v_lshlrev_b32_e32 v2, 30, v24
	v_xor_b32_e32 v3, s20, v3
	v_cmp_gt_i64_e64 s[20:21], 0, v[1:2]
	v_not_b32_e32 v2, v2
	v_ashrrev_i32_e32 v2, 31, v2
	v_and_b32_e32 v3, exec_lo, v3
	v_xor_b32_e32 v5, s21, v2
	v_xor_b32_e32 v2, s20, v2
	v_and_b32_e32 v3, v3, v2
	v_lshlrev_b32_e32 v2, 29, v24
	v_cmp_gt_i64_e64 s[20:21], 0, v[1:2]
	v_not_b32_e32 v2, v2
	v_ashrrev_i32_e32 v2, 31, v2
	v_and_b32_e32 v4, v4, v5
	v_xor_b32_e32 v5, s21, v2
	v_xor_b32_e32 v2, s20, v2
	v_and_b32_e32 v3, v3, v2
	v_lshlrev_b32_e32 v2, 28, v24
	v_cmp_gt_i64_e64 s[20:21], 0, v[1:2]
	v_not_b32_e32 v2, v2
	v_ashrrev_i32_e32 v2, 31, v2
	v_and_b32_e32 v4, v4, v5
	v_xor_b32_e32 v5, s21, v2
	v_xor_b32_e32 v2, s20, v2
	v_and_b32_e32 v3, v3, v2
	v_lshlrev_b32_e32 v2, 27, v24
	v_cmp_gt_i64_e64 s[20:21], 0, v[1:2]
	v_not_b32_e32 v2, v2
	v_ashrrev_i32_e32 v2, 31, v2
	v_and_b32_e32 v4, v4, v5
	v_xor_b32_e32 v5, s21, v2
	v_xor_b32_e32 v2, s20, v2
	v_and_b32_e32 v3, v3, v2
	v_lshlrev_b32_e32 v2, 26, v24
	v_cmp_gt_i64_e64 s[20:21], 0, v[1:2]
	v_not_b32_e32 v2, v2
	v_ashrrev_i32_e32 v2, 31, v2
	v_and_b32_e32 v4, v4, v5
	v_xor_b32_e32 v5, s21, v2
	v_xor_b32_e32 v2, s20, v2
	v_and_b32_e32 v3, v3, v2
	v_lshlrev_b32_e32 v2, 25, v24
	v_cmp_gt_i64_e64 s[20:21], 0, v[1:2]
	v_not_b32_e32 v2, v2
	v_ashrrev_i32_e32 v2, 31, v2
	v_and_b32_e32 v4, v4, v5
	v_xor_b32_e32 v5, s21, v2
	v_xor_b32_e32 v2, s20, v2
	v_and_b32_e32 v4, v4, v5
	v_and_b32_e32 v5, v3, v2
	;; [unrolled: 1-line block ×3, first 2 shown]
	v_cmp_gt_i64_e64 s[20:21], 0, v[1:2]
	v_not_b32_e32 v2, v2
	v_ashrrev_i32_e32 v2, 31, v2
	v_lshl_add_u32 v26, v24, 2, v12
	v_xor_b32_e32 v3, s21, v2
	v_xor_b32_e32 v2, s20, v2
	; wave barrier
	ds_read_b32 v25, v26 offset:4
	v_and_b32_e32 v2, v5, v2
	v_and_b32_e32 v3, v4, v3
	v_mbcnt_lo_u32_b32 v4, v2, 0
	v_mbcnt_hi_u32_b32 v27, v3, v4
	v_cmp_ne_u64_e64 s[20:21], 0, v[2:3]
	v_cmp_eq_u32_e64 s[22:23], 0, v27
	s_and_b64 s[22:23], s[20:21], s[22:23]
	; wave barrier
	s_and_saveexec_b64 s[20:21], s[22:23]
	s_cbranch_execz .LBB244_10
; %bb.9:                                ;   in Loop: Header=BB244_2 Depth=1
	v_bcnt_u32_b32 v2, v2, 0
	v_bcnt_u32_b32 v2, v3, v2
	s_waitcnt lgkmcnt(0)
	v_add_u32_e32 v2, v25, v2
	ds_write_b32 v26, v2 offset:4
.LBB244_10:                             ;   in Loop: Header=BB244_2 Depth=1
	s_or_b64 exec, exec, s[20:21]
	; wave barrier
	s_waitcnt lgkmcnt(0)
	; wave barrier
	ds_read2_b32 v[4:5], v6 offset0:1 offset1:2
	ds_read2_b32 v[2:3], v6 offset0:3 offset1:4
	s_waitcnt lgkmcnt(1)
	v_add_u32_e32 v28, v5, v4
	s_waitcnt lgkmcnt(0)
	v_add3_u32 v3, v28, v2, v3
	s_nop 1
	v_mov_b32_dpp v28, v3 row_shr:1 row_mask:0xf bank_mask:0xf
	v_cndmask_b32_e64 v28, v28, 0, s[10:11]
	v_add_u32_e32 v3, v28, v3
	s_nop 1
	v_mov_b32_dpp v28, v3 row_shr:2 row_mask:0xf bank_mask:0xf
	v_cndmask_b32_e64 v28, 0, v28, s[12:13]
	v_add_u32_e32 v3, v3, v28
	;; [unrolled: 4-line block ×4, first 2 shown]
	s_nop 1
	v_mov_b32_dpp v28, v3 row_bcast:15 row_mask:0xf bank_mask:0xf
	v_cndmask_b32_e64 v28, v28, 0, s[18:19]
	v_add_u32_e32 v3, v3, v28
	s_nop 1
	v_mov_b32_dpp v28, v3 row_bcast:31 row_mask:0xf bank_mask:0xf
	v_cndmask_b32_e64 v28, 0, v28, s[0:1]
	v_add_u32_e32 v3, v3, v28
	s_and_saveexec_b64 s[20:21], vcc
	s_cbranch_execz .LBB244_1
; %bb.11:                               ;   in Loop: Header=BB244_2 Depth=1
	ds_write_b32 v1, v3
	s_branch .LBB244_1
.LBB244_12:
	s_add_u32 s0, s26, s28
	s_addc_u32 s1, s27, 0
	global_store_byte v0, v3, s[0:1]
	global_store_byte v0, v5, s[0:1] offset:64
	global_store_byte v0, v2, s[0:1] offset:128
	;; [unrolled: 1-line block ×3, first 2 shown]
	s_endpgm
	.section	.rodata,"a",@progbits
	.p2align	6, 0x0
	.amdhsa_kernel _Z16sort_keys_kernelI22helper_blocked_stripedaLj64ELj4ELj10EEvPKT0_PS1_
		.amdhsa_group_segment_fixed_size 1040
		.amdhsa_private_segment_fixed_size 0
		.amdhsa_kernarg_size 272
		.amdhsa_user_sgpr_count 6
		.amdhsa_user_sgpr_private_segment_buffer 1
		.amdhsa_user_sgpr_dispatch_ptr 0
		.amdhsa_user_sgpr_queue_ptr 0
		.amdhsa_user_sgpr_kernarg_segment_ptr 1
		.amdhsa_user_sgpr_dispatch_id 0
		.amdhsa_user_sgpr_flat_scratch_init 0
		.amdhsa_user_sgpr_private_segment_size 0
		.amdhsa_uses_dynamic_stack 0
		.amdhsa_system_sgpr_private_segment_wavefront_offset 0
		.amdhsa_system_sgpr_workgroup_id_x 1
		.amdhsa_system_sgpr_workgroup_id_y 0
		.amdhsa_system_sgpr_workgroup_id_z 0
		.amdhsa_system_sgpr_workgroup_info 0
		.amdhsa_system_vgpr_workitem_id 2
		.amdhsa_next_free_vgpr 29
		.amdhsa_next_free_sgpr 38
		.amdhsa_reserve_vcc 1
		.amdhsa_reserve_flat_scratch 0
		.amdhsa_float_round_mode_32 0
		.amdhsa_float_round_mode_16_64 0
		.amdhsa_float_denorm_mode_32 3
		.amdhsa_float_denorm_mode_16_64 3
		.amdhsa_dx10_clamp 1
		.amdhsa_ieee_mode 1
		.amdhsa_fp16_overflow 0
		.amdhsa_exception_fp_ieee_invalid_op 0
		.amdhsa_exception_fp_denorm_src 0
		.amdhsa_exception_fp_ieee_div_zero 0
		.amdhsa_exception_fp_ieee_overflow 0
		.amdhsa_exception_fp_ieee_underflow 0
		.amdhsa_exception_fp_ieee_inexact 0
		.amdhsa_exception_int_div_zero 0
	.end_amdhsa_kernel
	.section	.text._Z16sort_keys_kernelI22helper_blocked_stripedaLj64ELj4ELj10EEvPKT0_PS1_,"axG",@progbits,_Z16sort_keys_kernelI22helper_blocked_stripedaLj64ELj4ELj10EEvPKT0_PS1_,comdat
.Lfunc_end244:
	.size	_Z16sort_keys_kernelI22helper_blocked_stripedaLj64ELj4ELj10EEvPKT0_PS1_, .Lfunc_end244-_Z16sort_keys_kernelI22helper_blocked_stripedaLj64ELj4ELj10EEvPKT0_PS1_
                                        ; -- End function
	.set _Z16sort_keys_kernelI22helper_blocked_stripedaLj64ELj4ELj10EEvPKT0_PS1_.num_vgpr, 29
	.set _Z16sort_keys_kernelI22helper_blocked_stripedaLj64ELj4ELj10EEvPKT0_PS1_.num_agpr, 0
	.set _Z16sort_keys_kernelI22helper_blocked_stripedaLj64ELj4ELj10EEvPKT0_PS1_.numbered_sgpr, 38
	.set _Z16sort_keys_kernelI22helper_blocked_stripedaLj64ELj4ELj10EEvPKT0_PS1_.num_named_barrier, 0
	.set _Z16sort_keys_kernelI22helper_blocked_stripedaLj64ELj4ELj10EEvPKT0_PS1_.private_seg_size, 0
	.set _Z16sort_keys_kernelI22helper_blocked_stripedaLj64ELj4ELj10EEvPKT0_PS1_.uses_vcc, 1
	.set _Z16sort_keys_kernelI22helper_blocked_stripedaLj64ELj4ELj10EEvPKT0_PS1_.uses_flat_scratch, 0
	.set _Z16sort_keys_kernelI22helper_blocked_stripedaLj64ELj4ELj10EEvPKT0_PS1_.has_dyn_sized_stack, 0
	.set _Z16sort_keys_kernelI22helper_blocked_stripedaLj64ELj4ELj10EEvPKT0_PS1_.has_recursion, 0
	.set _Z16sort_keys_kernelI22helper_blocked_stripedaLj64ELj4ELj10EEvPKT0_PS1_.has_indirect_call, 0
	.section	.AMDGPU.csdata,"",@progbits
; Kernel info:
; codeLenInByte = 3176
; TotalNumSgprs: 42
; NumVgprs: 29
; ScratchSize: 0
; MemoryBound: 0
; FloatMode: 240
; IeeeMode: 1
; LDSByteSize: 1040 bytes/workgroup (compile time only)
; SGPRBlocks: 5
; VGPRBlocks: 7
; NumSGPRsForWavesPerEU: 42
; NumVGPRsForWavesPerEU: 29
; Occupancy: 8
; WaveLimiterHint : 0
; COMPUTE_PGM_RSRC2:SCRATCH_EN: 0
; COMPUTE_PGM_RSRC2:USER_SGPR: 6
; COMPUTE_PGM_RSRC2:TRAP_HANDLER: 0
; COMPUTE_PGM_RSRC2:TGID_X_EN: 1
; COMPUTE_PGM_RSRC2:TGID_Y_EN: 0
; COMPUTE_PGM_RSRC2:TGID_Z_EN: 0
; COMPUTE_PGM_RSRC2:TIDIG_COMP_CNT: 2
	.section	.text._Z17sort_pairs_kernelI22helper_blocked_stripedaLj64ELj4ELj10EEvPKT0_PS1_,"axG",@progbits,_Z17sort_pairs_kernelI22helper_blocked_stripedaLj64ELj4ELj10EEvPKT0_PS1_,comdat
	.protected	_Z17sort_pairs_kernelI22helper_blocked_stripedaLj64ELj4ELj10EEvPKT0_PS1_ ; -- Begin function _Z17sort_pairs_kernelI22helper_blocked_stripedaLj64ELj4ELj10EEvPKT0_PS1_
	.globl	_Z17sort_pairs_kernelI22helper_blocked_stripedaLj64ELj4ELj10EEvPKT0_PS1_
	.p2align	8
	.type	_Z17sort_pairs_kernelI22helper_blocked_stripedaLj64ELj4ELj10EEvPKT0_PS1_,@function
_Z17sort_pairs_kernelI22helper_blocked_stripedaLj64ELj4ELj10EEvPKT0_PS1_: ; @_Z17sort_pairs_kernelI22helper_blocked_stripedaLj64ELj4ELj10EEvPKT0_PS1_
; %bb.0:
	s_load_dwordx4 s[24:27], s[4:5], 0x0
	s_load_dword s38, s[4:5], 0x1c
	s_lshl_b32 s28, s6, 8
	v_lshlrev_b32_e32 v3, 2, v0
	v_mbcnt_lo_u32_b32 v5, -1, 0
	s_waitcnt lgkmcnt(0)
	s_add_u32 s0, s24, s28
	s_addc_u32 s1, s25, 0
	global_load_dword v4, v3, s[0:1]
	s_lshr_b32 s40, s38, 16
	v_mbcnt_hi_u32_b32 v5, -1, v5
	s_and_b32 s38, s38, 0xffff
	v_mad_u32_u24 v1, v2, s40, v1
	v_and_b32_e32 v9, 64, v5
	v_subrev_co_u32_e64 v12, s[22:23], 1, v5
	v_mad_u32_u24 v1, v1, s38, v0
	v_cmp_lt_i32_e64 s[24:25], v12, v9
	v_lshrrev_b32_e32 v1, 4, v1
	v_lshrrev_b32_e32 v7, 2, v5
	v_and_b32_e32 v8, 3, v5
	v_and_b32_e32 v10, 15, v5
	;; [unrolled: 1-line block ×3, first 2 shown]
	v_cmp_lt_u32_e64 s[2:3], 31, v5
	v_cndmask_b32_e64 v5, v12, v5, s[24:25]
	v_and_b32_e32 v12, 0xffffffc, v1
	s_movk_i32 s39, 0x100
	v_cmp_eq_u32_e64 s[4:5], 3, v8
	v_cmp_eq_u32_e64 s[6:7], 2, v8
	;; [unrolled: 1-line block ×3, first 2 shown]
	v_cmp_eq_u32_e32 vcc, 0, v8
	v_or_b32_e32 v8, v7, v9
	v_add_u32_e32 v13, 48, v7
	v_cmp_eq_u32_e64 s[20:21], 0, v0
	v_cmp_eq_u32_e64 s[18:19], 0, v11
	v_lshlrev_b32_e32 v7, 2, v8
	v_and_or_b32 v11, v13, 63, v9
	s_movk_i32 s29, 0xff
	s_mov_b32 s30, 0xffff
	s_mov_b32 s31, 10
	s_mov_b32 s33, 0x3020104
	s_mov_b32 s34, 0xffff0000
	s_mov_b32 s35, 0xc0c0304
	v_mov_b32_e32 v3, 0
	s_mov_b32 s36, 0x7060004
	s_mov_b32 s37, 0xc0c0006
	v_lshlrev_b32_e32 v6, 4, v0
	v_cmp_eq_u32_e64 s[0:1], 63, v0
	v_cmp_eq_u32_e64 s[10:11], 0, v10
	v_cmp_lt_u32_e64 s[12:13], 1, v10
	v_cmp_lt_u32_e64 s[14:15], 3, v10
	;; [unrolled: 1-line block ×3, first 2 shown]
	v_lshlrev_b32_e32 v8, 2, v5
	v_add_u32_e32 v9, 64, v7
	v_or_b32_e32 v10, 0x80, v7
	v_lshlrev_b32_e32 v11, 2, v11
	s_or_b64 s[24:25], s[20:21], s[22:23]
	s_mov_b32 s38, 0xc0c0004
	s_waitcnt vmcnt(0)
	v_lshrrev_b32_e32 v2, 16, v4
	v_and_b32_e32 v1, 0xffffff00, v4
	v_add_u16_e32 v14, 1, v4
	v_or_b32_sdwa v1, v1, v14 dst_sel:DWORD dst_unused:UNUSED_PAD src0_sel:DWORD src1_sel:BYTE_0
	v_and_b32_e32 v14, 0xffffff00, v2
	v_add_u16_e32 v15, 1, v2
	v_or_b32_sdwa v14, v14, v15 dst_sel:DWORD dst_unused:UNUSED_PAD src0_sel:DWORD src1_sel:BYTE_0
	v_add_u16_e32 v1, 0x100, v1
	v_add_u16_sdwa v14, v14, s39 dst_sel:WORD_1 dst_unused:UNUSED_PAD src0_sel:DWORD src1_sel:DWORD
	v_lshrrev_b32_e32 v13, 24, v4
	v_lshrrev_b32_e32 v5, 8, v4
	v_or_b32_e32 v1, v1, v14
	s_branch .LBB245_2
.LBB245_1:                              ;   in Loop: Header=BB245_2 Depth=1
	s_or_b64 exec, exec, s[20:21]
	v_cndmask_b32_sdwa v14, v3, v14, vcc dst_sel:DWORD dst_unused:UNUSED_PAD src0_sel:DWORD src1_sel:BYTE_0
	v_and_b32_e32 v16, 0xff, v16
	v_cndmask_b32_e64 v14, v14, v16, s[8:9]
	v_and_b32_e32 v16, 0xff, v33
	v_cndmask_b32_e64 v14, v14, v16, s[6:7]
	v_perm_b32 v16, v34, v14, s33
	v_cndmask_b32_e64 v14, v14, v16, s[4:5]
	v_perm_b32 v15, v14, v15, s36
	v_cndmask_b32_e32 v14, v14, v15, vcc
	v_perm_b32 v15, v14, v30, s36
	v_cndmask_b32_e64 v14, v14, v15, s[8:9]
	v_perm_b32 v15, v14, v31, s36
	v_cndmask_b32_e64 v14, v14, v15, s[6:7]
	;; [unrolled: 2-line block ×3, first 2 shown]
	v_perm_b32 v15, v29, v14, s35
	v_lshlrev_b32_e32 v15, 16, v15
	v_and_or_b32 v15, v14, s30, v15
	v_cndmask_b32_e32 v14, v14, v15, vcc
	v_perm_b32 v15, v26, v14, s35
	v_lshlrev_b32_e32 v15, 16, v15
	v_and_or_b32 v15, v14, s30, v15
	v_cndmask_b32_e64 v14, v14, v15, s[8:9]
	v_perm_b32 v15, v27, v14, s35
	v_lshlrev_b32_e32 v15, 16, v15
	v_and_or_b32 v15, v14, s30, v15
	v_cndmask_b32_e64 v14, v14, v15, s[6:7]
	;; [unrolled: 4-line block ×3, first 2 shown]
	v_perm_b32 v15, v14, v23, s37
	v_lshlrev_b32_e32 v15, 16, v15
	v_and_or_b32 v15, v14, s30, v15
	ds_bpermute_b32 v5, v8, v5
	v_cndmask_b32_e32 v14, v14, v15, vcc
	v_perm_b32 v15, v14, v20, s37
	v_lshlrev_b32_e32 v15, 16, v15
	v_and_or_b32 v15, v14, s30, v15
	v_cndmask_b32_e64 v14, v14, v15, s[8:9]
	s_waitcnt lgkmcnt(0)
	v_cndmask_b32_e64 v5, v5, 0, s[24:25]
	v_perm_b32 v15, v14, v21, s37
	v_add_u32_e32 v1, v5, v1
	v_lshlrev_b32_e32 v15, 16, v15
	v_add_u32_e32 v2, v1, v2
	v_and_or_b32 v15, v14, s30, v15
	v_add_u32_e32 v4, v2, v4
	v_cndmask_b32_e64 v14, v14, v15, s[6:7]
	; wave barrier
	ds_write2_b32 v6, v5, v1 offset0:1 offset1:2
	ds_write2_b32 v6, v2, v4 offset0:3 offset1:4
	s_waitcnt lgkmcnt(0)
	; wave barrier
	ds_read_b32 v1, v17 offset:4
	ds_read_b32 v2, v25 offset:4
	;; [unrolled: 1-line block ×4, first 2 shown]
	v_perm_b32 v15, v14, v22, s37
	v_lshlrev_b32_e32 v15, 16, v15
	v_and_or_b32 v15, v14, s30, v15
	v_cndmask_b32_e64 v14, v14, v15, s[4:5]
	v_lshrrev_b32_e32 v15, 8, v14
	v_lshrrev_b32_e32 v16, 24, v14
	s_waitcnt lgkmcnt(3)
	v_add_u32_e32 v1, v1, v18
	s_waitcnt lgkmcnt(2)
	v_add3_u32 v2, v35, v24, v2
	s_waitcnt lgkmcnt(1)
	v_add3_u32 v4, v39, v37, v4
	s_waitcnt lgkmcnt(0)
	v_add3_u32 v5, v43, v41, v5
	; wave barrier
	ds_write_b8 v1, v13
	ds_write_b8 v2, v19
	;; [unrolled: 1-line block ×4, first 2 shown]
	s_waitcnt lgkmcnt(0)
	; wave barrier
	ds_read_u8 v13, v0
	ds_read_u8 v18, v0 offset:64
	ds_read_u8 v19, v0 offset:128
	;; [unrolled: 1-line block ×3, first 2 shown]
	s_waitcnt lgkmcnt(0)
	; wave barrier
	ds_write_b8 v1, v14
	ds_write_b8 v2, v15
	ds_write_b8_d16_hi v4, v14
	ds_write_b8 v5, v16
	s_waitcnt lgkmcnt(0)
	; wave barrier
	ds_read_u8 v14, v0
	ds_read_u8 v15, v0 offset:64
	ds_read_u8 v16, v0 offset:128
	;; [unrolled: 1-line block ×3, first 2 shown]
	s_add_i32 s31, s31, -1
	v_xor_b32_e32 v4, 0xffffff80, v13
	s_waitcnt lgkmcnt(2)
	v_perm_b32 v1, v14, v15, s38
	v_xor_b32_e32 v5, 0xffffff80, v18
	s_waitcnt lgkmcnt(0)
	v_perm_b32 v2, v16, v17, s38
	v_lshl_or_b32 v1, v2, 16, v1
	v_xor_b32_e32 v2, 0xffffff80, v19
	s_cmp_eq_u32 s31, 0
	v_xor_b32_e32 v13, 0xffffff80, v20
	s_cbranch_scc1 .LBB245_12
.LBB245_2:                              ; =>This Inner Loop Header: Depth=1
	v_xor_b32_e32 v4, 0x80, v4
	v_xor_b32_e32 v5, 0x80, v5
	v_and_b32_e32 v4, 0xff, v4
	ds_bpermute_b32 v14, v7, v4
	v_xor_b32_e32 v2, 0x80, v2
	v_and_b32_e32 v5, 0xff, v5
	ds_bpermute_b32 v15, v7, v5
	v_and_b32_e32 v2, 0xff, v2
	ds_bpermute_b32 v16, v7, v2
	v_xor_b32_e32 v13, 0x80, v13
	v_and_b32_e32 v13, 0xff, v13
	s_waitcnt lgkmcnt(2)
	v_and_b32_e32 v14, 0xff, v14
	ds_bpermute_b32 v17, v7, v13
	v_cndmask_b32_e32 v14, 0, v14, vcc
	s_waitcnt lgkmcnt(2)
	v_and_b32_e32 v15, 0xff, v15
	v_cndmask_b32_e64 v14, v14, v15, s[8:9]
	s_waitcnt lgkmcnt(1)
	v_and_b32_e32 v15, 0xff, v16
	ds_bpermute_b32 v16, v9, v4
	v_cndmask_b32_e64 v14, v14, v15, s[6:7]
	s_waitcnt lgkmcnt(1)
	v_perm_b32 v15, v17, v14, s33
	v_cndmask_b32_e64 v14, v14, v15, s[4:5]
	ds_bpermute_b32 v15, v9, v5
	s_waitcnt lgkmcnt(1)
	v_lshlrev_b16_e32 v16, 8, v16
	v_or_b32_sdwa v16, v14, v16 dst_sel:DWORD dst_unused:UNUSED_PAD src0_sel:BYTE_0 src1_sel:DWORD
	v_and_b32_e32 v16, 0xffff, v16
	v_cndmask_b32_e32 v14, v14, v16, vcc
	ds_bpermute_b32 v16, v9, v2
	s_waitcnt lgkmcnt(1)
	v_lshlrev_b16_e32 v15, 8, v15
	v_or_b32_sdwa v15, v14, v15 dst_sel:DWORD dst_unused:UNUSED_PAD src0_sel:BYTE_0 src1_sel:DWORD
	v_and_b32_e32 v15, 0xffff, v15
	v_and_or_b32 v15, v14, s34, v15
	v_cndmask_b32_e64 v14, v14, v15, s[8:9]
	s_waitcnt lgkmcnt(0)
	v_lshlrev_b16_e32 v15, 8, v16
	ds_bpermute_b32 v16, v9, v13
	v_or_b32_sdwa v15, v14, v15 dst_sel:DWORD dst_unused:UNUSED_PAD src0_sel:BYTE_0 src1_sel:DWORD
	v_and_b32_e32 v15, 0xffff, v15
	v_and_or_b32 v15, v14, s34, v15
	v_cndmask_b32_e64 v14, v14, v15, s[6:7]
	s_waitcnt lgkmcnt(0)
	v_lshlrev_b16_e32 v15, 8, v16
	ds_bpermute_b32 v16, v10, v4
	v_or_b32_sdwa v15, v14, v15 dst_sel:DWORD dst_unused:UNUSED_PAD src0_sel:BYTE_0 src1_sel:DWORD
	v_and_b32_e32 v15, 0xffff, v15
	v_and_or_b32 v15, v14, s34, v15
	v_cndmask_b32_e64 v14, v14, v15, s[4:5]
	ds_bpermute_b32 v15, v10, v5
	s_waitcnt lgkmcnt(1)
	v_perm_b32 v16, v16, v14, s35
	v_lshlrev_b32_e32 v16, 16, v16
	v_and_or_b32 v16, v14, s30, v16
	v_cndmask_b32_e32 v14, v14, v16, vcc
	ds_bpermute_b32 v16, v10, v2
	s_waitcnt lgkmcnt(1)
	v_perm_b32 v15, v15, v14, s35
	v_lshlrev_b32_e32 v15, 16, v15
	v_and_or_b32 v15, v14, s30, v15
	v_cndmask_b32_e64 v14, v14, v15, s[8:9]
	ds_bpermute_b32 v15, v10, v13
	s_waitcnt lgkmcnt(1)
	v_perm_b32 v16, v16, v14, s35
	v_lshlrev_b32_e32 v16, 16, v16
	v_and_or_b32 v16, v14, s30, v16
	v_cndmask_b32_e64 v14, v14, v16, s[6:7]
	;; [unrolled: 6-line block ×3, first 2 shown]
	ds_bpermute_b32 v5, v11, v5
	v_and_b32_sdwa v15, v14, s29 dst_sel:DWORD dst_unused:UNUSED_PAD src0_sel:WORD_1 src1_sel:DWORD
	s_waitcnt lgkmcnt(1)
	v_lshlrev_b16_e32 v4, 8, v4
	v_or_b32_sdwa v4, v15, v4 dst_sel:WORD_1 dst_unused:UNUSED_PAD src0_sel:DWORD src1_sel:DWORD
	v_and_or_b32 v4, v14, s30, v4
	v_cndmask_b32_e32 v4, v14, v4, vcc
	ds_bpermute_b32 v2, v11, v2
	v_and_b32_sdwa v14, v4, s29 dst_sel:DWORD dst_unused:UNUSED_PAD src0_sel:WORD_1 src1_sel:DWORD
	s_waitcnt lgkmcnt(1)
	v_lshlrev_b16_e32 v5, 8, v5
	v_or_b32_sdwa v5, v14, v5 dst_sel:WORD_1 dst_unused:UNUSED_PAD src0_sel:DWORD src1_sel:DWORD
	v_and_or_b32 v5, v4, s30, v5
	v_cndmask_b32_e64 v4, v4, v5, s[8:9]
	ds_bpermute_b32 v13, v11, v13
	v_and_b32_sdwa v5, v4, s29 dst_sel:DWORD dst_unused:UNUSED_PAD src0_sel:WORD_1 src1_sel:DWORD
	s_waitcnt lgkmcnt(1)
	v_lshlrev_b16_e32 v2, 8, v2
	v_or_b32_sdwa v2, v5, v2 dst_sel:WORD_1 dst_unused:UNUSED_PAD src0_sel:DWORD src1_sel:DWORD
	v_and_or_b32 v2, v4, s30, v2
	v_cndmask_b32_e64 v2, v4, v2, s[6:7]
	v_and_b32_sdwa v4, v2, s29 dst_sel:DWORD dst_unused:UNUSED_PAD src0_sel:WORD_1 src1_sel:DWORD
	s_waitcnt lgkmcnt(0)
	v_lshlrev_b16_e32 v5, 8, v13
	v_or_b32_sdwa v4, v4, v5 dst_sel:WORD_1 dst_unused:UNUSED_PAD src0_sel:DWORD src1_sel:DWORD
	v_and_or_b32 v4, v2, s30, v4
	v_cndmask_b32_e64 v13, v2, v4, s[4:5]
	v_and_b32_e32 v5, 0xff, v1
	v_bfe_u32 v17, v1, 8, 8
	v_bfe_u32 v18, v1, 16, 8
	v_lshrrev_b32_e32 v19, 24, v1
	v_and_b32_e32 v1, 1, v13
	v_add_co_u32_e64 v2, s[20:21], -1, v1
	v_addc_co_u32_e64 v4, s[20:21], 0, -1, s[20:21]
	v_cmp_ne_u32_e64 s[20:21], 0, v1
	v_xor_b32_e32 v1, s21, v4
	v_lshlrev_b32_e32 v4, 30, v13
	v_xor_b32_e32 v2, s20, v2
	v_cmp_gt_i64_e64 s[20:21], 0, v[3:4]
	v_not_b32_e32 v4, v4
	v_ashrrev_i32_e32 v4, 31, v4
	v_and_b32_e32 v2, exec_lo, v2
	v_xor_b32_e32 v20, s21, v4
	v_xor_b32_e32 v4, s20, v4
	v_and_b32_e32 v2, v2, v4
	v_lshlrev_b32_e32 v4, 29, v13
	v_cmp_gt_i64_e64 s[20:21], 0, v[3:4]
	v_not_b32_e32 v4, v4
	v_and_b32_e32 v1, exec_hi, v1
	v_ashrrev_i32_e32 v4, 31, v4
	v_and_b32_e32 v1, v1, v20
	v_xor_b32_e32 v20, s21, v4
	v_xor_b32_e32 v4, s20, v4
	v_and_b32_e32 v2, v2, v4
	v_lshlrev_b32_e32 v4, 28, v13
	v_cmp_gt_i64_e64 s[20:21], 0, v[3:4]
	v_not_b32_e32 v4, v4
	v_ashrrev_i32_e32 v4, 31, v4
	v_and_b32_e32 v1, v1, v20
	v_xor_b32_e32 v20, s21, v4
	v_xor_b32_e32 v4, s20, v4
	v_and_b32_e32 v2, v2, v4
	v_lshlrev_b32_e32 v4, 27, v13
	v_cmp_gt_i64_e64 s[20:21], 0, v[3:4]
	v_not_b32_e32 v4, v4
	;; [unrolled: 8-line block ×4, first 2 shown]
	v_ashrrev_i32_e32 v4, 31, v4
	v_and_b32_e32 v1, v1, v20
	v_xor_b32_e32 v20, s21, v4
	v_xor_b32_e32 v4, s20, v4
	v_and_b32_e32 v1, v1, v20
	v_and_b32_e32 v20, v2, v4
	v_lshlrev_b32_e32 v4, 24, v13
	v_cmp_gt_i64_e64 s[20:21], 0, v[3:4]
	v_not_b32_e32 v2, v4
	v_ashrrev_i32_e32 v2, 31, v2
	v_xor_b32_e32 v4, s21, v2
	v_xor_b32_e32 v21, s20, v2
	ds_bpermute_b32 v14, v7, v5
	ds_bpermute_b32 v16, v7, v17
	;; [unrolled: 1-line block ×3, first 2 shown]
	v_and_b32_e32 v2, v1, v4
	v_and_b32_e32 v1, v20, v21
	ds_bpermute_b32 v30, v9, v17
	ds_bpermute_b32 v29, v10, v5
	;; [unrolled: 1-line block ×13, first 2 shown]
	v_and_b32_e32 v4, 0xff, v13
	v_lshl_add_u32 v17, v4, 2, v12
	v_mbcnt_lo_u32_b32 v4, v1, 0
	v_mbcnt_hi_u32_b32 v18, v2, v4
	v_cmp_ne_u64_e64 s[20:21], 0, v[1:2]
	v_cmp_eq_u32_e64 s[22:23], 0, v18
	s_and_b64 s[22:23], s[20:21], s[22:23]
	s_waitcnt lgkmcnt(0)
	; wave barrier
	ds_write2_b32 v6, v3, v3 offset0:1 offset1:2
	ds_write2_b32 v6, v3, v3 offset0:3 offset1:4
	s_waitcnt lgkmcnt(0)
	; wave barrier
	; wave barrier
	s_and_saveexec_b64 s[20:21], s[22:23]
; %bb.3:                                ;   in Loop: Header=BB245_2 Depth=1
	v_bcnt_u32_b32 v1, v1, 0
	v_bcnt_u32_b32 v1, v2, v1
	ds_write_b32 v17, v1 offset:4
; %bb.4:                                ;   in Loop: Header=BB245_2 Depth=1
	s_or_b64 exec, exec, s[20:21]
	v_bfe_u32 v1, v13, 8, 8
	v_lshl_add_u32 v25, v1, 2, v12
	v_bfe_u32 v1, v13, 8, 1
	v_add_co_u32_e64 v2, s[20:21], -1, v1
	v_addc_co_u32_e64 v4, s[20:21], 0, -1, s[20:21]
	v_lshrrev_b32_e32 v19, 8, v13
	v_cmp_ne_u32_e64 s[20:21], 0, v1
	v_xor_b32_e32 v1, s21, v4
	v_lshlrev_b32_e32 v4, 30, v19
	v_xor_b32_e32 v2, s20, v2
	v_cmp_gt_i64_e64 s[20:21], 0, v[3:4]
	v_not_b32_e32 v4, v4
	v_ashrrev_i32_e32 v4, 31, v4
	v_and_b32_e32 v2, exec_lo, v2
	v_xor_b32_e32 v5, s21, v4
	v_xor_b32_e32 v4, s20, v4
	v_and_b32_e32 v2, v2, v4
	v_lshlrev_b32_e32 v4, 29, v19
	v_cmp_gt_i64_e64 s[20:21], 0, v[3:4]
	v_not_b32_e32 v4, v4
	v_and_b32_e32 v1, exec_hi, v1
	v_ashrrev_i32_e32 v4, 31, v4
	v_and_b32_e32 v1, v1, v5
	v_xor_b32_e32 v5, s21, v4
	v_xor_b32_e32 v4, s20, v4
	v_and_b32_e32 v2, v2, v4
	v_lshlrev_b32_e32 v4, 28, v19
	v_cmp_gt_i64_e64 s[20:21], 0, v[3:4]
	v_not_b32_e32 v4, v4
	v_ashrrev_i32_e32 v4, 31, v4
	v_and_b32_e32 v1, v1, v5
	v_xor_b32_e32 v5, s21, v4
	v_xor_b32_e32 v4, s20, v4
	v_and_b32_e32 v2, v2, v4
	v_lshlrev_b32_e32 v4, 27, v19
	v_cmp_gt_i64_e64 s[20:21], 0, v[3:4]
	v_not_b32_e32 v4, v4
	;; [unrolled: 8-line block ×4, first 2 shown]
	v_ashrrev_i32_e32 v4, 31, v4
	v_and_b32_e32 v1, v1, v5
	v_xor_b32_e32 v5, s21, v4
	v_xor_b32_e32 v4, s20, v4
	v_and_b32_e32 v1, v1, v5
	v_and_b32_e32 v5, v2, v4
	v_lshlrev_b32_e32 v4, 24, v19
	v_cmp_gt_i64_e64 s[20:21], 0, v[3:4]
	v_not_b32_e32 v2, v4
	v_ashrrev_i32_e32 v2, 31, v2
	v_xor_b32_e32 v4, s21, v2
	v_xor_b32_e32 v35, s20, v2
	; wave barrier
	ds_read_b32 v24, v25 offset:4
	v_and_b32_e32 v2, v1, v4
	v_and_b32_e32 v1, v5, v35
	v_mbcnt_lo_u32_b32 v4, v1, 0
	v_mbcnt_hi_u32_b32 v35, v2, v4
	v_cmp_ne_u64_e64 s[20:21], 0, v[1:2]
	v_cmp_eq_u32_e64 s[22:23], 0, v35
	s_and_b64 s[22:23], s[20:21], s[22:23]
	; wave barrier
	s_and_saveexec_b64 s[20:21], s[22:23]
	s_cbranch_execz .LBB245_6
; %bb.5:                                ;   in Loop: Header=BB245_2 Depth=1
	v_bcnt_u32_b32 v1, v1, 0
	v_bcnt_u32_b32 v1, v2, v1
	s_waitcnt lgkmcnt(0)
	v_add_u32_e32 v1, v24, v1
	ds_write_b32 v25, v1 offset:4
.LBB245_6:                              ;   in Loop: Header=BB245_2 Depth=1
	s_or_b64 exec, exec, s[20:21]
	v_bfe_u32 v1, v13, 16, 8
	v_lshl_add_u32 v38, v1, 2, v12
	v_bfe_u32 v1, v13, 16, 1
	v_add_co_u32_e64 v2, s[20:21], -1, v1
	v_addc_co_u32_e64 v4, s[20:21], 0, -1, s[20:21]
	v_lshrrev_b32_e32 v36, 16, v13
	v_cmp_ne_u32_e64 s[20:21], 0, v1
	v_xor_b32_e32 v1, s21, v4
	v_lshlrev_b32_e32 v4, 30, v36
	v_xor_b32_e32 v2, s20, v2
	v_cmp_gt_i64_e64 s[20:21], 0, v[3:4]
	v_not_b32_e32 v4, v4
	v_ashrrev_i32_e32 v4, 31, v4
	v_and_b32_e32 v2, exec_lo, v2
	v_xor_b32_e32 v5, s21, v4
	v_xor_b32_e32 v4, s20, v4
	v_and_b32_e32 v2, v2, v4
	v_lshlrev_b32_e32 v4, 29, v36
	v_cmp_gt_i64_e64 s[20:21], 0, v[3:4]
	v_not_b32_e32 v4, v4
	v_and_b32_e32 v1, exec_hi, v1
	v_ashrrev_i32_e32 v4, 31, v4
	v_and_b32_e32 v1, v1, v5
	v_xor_b32_e32 v5, s21, v4
	v_xor_b32_e32 v4, s20, v4
	v_and_b32_e32 v2, v2, v4
	v_lshlrev_b32_e32 v4, 28, v36
	v_cmp_gt_i64_e64 s[20:21], 0, v[3:4]
	v_not_b32_e32 v4, v4
	v_ashrrev_i32_e32 v4, 31, v4
	v_and_b32_e32 v1, v1, v5
	v_xor_b32_e32 v5, s21, v4
	v_xor_b32_e32 v4, s20, v4
	v_and_b32_e32 v2, v2, v4
	v_lshlrev_b32_e32 v4, 27, v36
	v_cmp_gt_i64_e64 s[20:21], 0, v[3:4]
	v_not_b32_e32 v4, v4
	;; [unrolled: 8-line block ×4, first 2 shown]
	v_ashrrev_i32_e32 v4, 31, v4
	v_and_b32_e32 v1, v1, v5
	v_xor_b32_e32 v5, s21, v4
	v_xor_b32_e32 v4, s20, v4
	v_and_b32_e32 v1, v1, v5
	v_and_b32_e32 v5, v2, v4
	v_lshlrev_b32_e32 v4, 24, v36
	v_cmp_gt_i64_e64 s[20:21], 0, v[3:4]
	v_not_b32_e32 v2, v4
	v_ashrrev_i32_e32 v2, 31, v2
	v_xor_b32_e32 v4, s21, v2
	v_xor_b32_e32 v39, s20, v2
	; wave barrier
	ds_read_b32 v37, v38 offset:4
	v_and_b32_e32 v2, v1, v4
	v_and_b32_e32 v1, v5, v39
	v_mbcnt_lo_u32_b32 v4, v1, 0
	v_mbcnt_hi_u32_b32 v39, v2, v4
	v_cmp_ne_u64_e64 s[20:21], 0, v[1:2]
	v_cmp_eq_u32_e64 s[22:23], 0, v39
	s_and_b64 s[22:23], s[20:21], s[22:23]
	; wave barrier
	s_and_saveexec_b64 s[20:21], s[22:23]
	s_cbranch_execz .LBB245_8
; %bb.7:                                ;   in Loop: Header=BB245_2 Depth=1
	v_bcnt_u32_b32 v1, v1, 0
	v_bcnt_u32_b32 v1, v2, v1
	s_waitcnt lgkmcnt(0)
	v_add_u32_e32 v1, v37, v1
	ds_write_b32 v38, v1 offset:4
.LBB245_8:                              ;   in Loop: Header=BB245_2 Depth=1
	s_or_b64 exec, exec, s[20:21]
	v_bfe_u32 v1, v13, 24, 1
	v_add_co_u32_e64 v2, s[20:21], -1, v1
	v_addc_co_u32_e64 v4, s[20:21], 0, -1, s[20:21]
	v_lshrrev_b32_e32 v40, 24, v13
	v_cmp_ne_u32_e64 s[20:21], 0, v1
	v_xor_b32_e32 v1, s21, v4
	v_lshlrev_b32_e32 v4, 30, v40
	v_xor_b32_e32 v2, s20, v2
	v_cmp_gt_i64_e64 s[20:21], 0, v[3:4]
	v_not_b32_e32 v4, v4
	v_ashrrev_i32_e32 v4, 31, v4
	v_and_b32_e32 v2, exec_lo, v2
	v_xor_b32_e32 v5, s21, v4
	v_xor_b32_e32 v4, s20, v4
	v_and_b32_e32 v2, v2, v4
	v_lshlrev_b32_e32 v4, 29, v40
	v_cmp_gt_i64_e64 s[20:21], 0, v[3:4]
	v_not_b32_e32 v4, v4
	v_and_b32_e32 v1, exec_hi, v1
	v_ashrrev_i32_e32 v4, 31, v4
	v_and_b32_e32 v1, v1, v5
	v_xor_b32_e32 v5, s21, v4
	v_xor_b32_e32 v4, s20, v4
	v_and_b32_e32 v2, v2, v4
	v_lshlrev_b32_e32 v4, 28, v40
	v_cmp_gt_i64_e64 s[20:21], 0, v[3:4]
	v_not_b32_e32 v4, v4
	v_ashrrev_i32_e32 v4, 31, v4
	v_and_b32_e32 v1, v1, v5
	v_xor_b32_e32 v5, s21, v4
	v_xor_b32_e32 v4, s20, v4
	v_and_b32_e32 v2, v2, v4
	v_lshlrev_b32_e32 v4, 27, v40
	v_cmp_gt_i64_e64 s[20:21], 0, v[3:4]
	v_not_b32_e32 v4, v4
	;; [unrolled: 8-line block ×4, first 2 shown]
	v_ashrrev_i32_e32 v4, 31, v4
	v_and_b32_e32 v1, v1, v5
	v_xor_b32_e32 v5, s21, v4
	v_xor_b32_e32 v4, s20, v4
	v_and_b32_e32 v1, v1, v5
	v_and_b32_e32 v5, v2, v4
	;; [unrolled: 1-line block ×3, first 2 shown]
	v_cmp_gt_i64_e64 s[20:21], 0, v[3:4]
	v_not_b32_e32 v2, v4
	v_ashrrev_i32_e32 v2, 31, v2
	v_lshl_add_u32 v42, v40, 2, v12
	v_xor_b32_e32 v4, s21, v2
	v_xor_b32_e32 v43, s20, v2
	; wave barrier
	ds_read_b32 v41, v42 offset:4
	v_and_b32_e32 v2, v1, v4
	v_and_b32_e32 v1, v5, v43
	v_mbcnt_lo_u32_b32 v4, v1, 0
	v_mbcnt_hi_u32_b32 v43, v2, v4
	v_cmp_ne_u64_e64 s[20:21], 0, v[1:2]
	v_cmp_eq_u32_e64 s[22:23], 0, v43
	s_and_b64 s[22:23], s[20:21], s[22:23]
	; wave barrier
	s_and_saveexec_b64 s[20:21], s[22:23]
	s_cbranch_execz .LBB245_10
; %bb.9:                                ;   in Loop: Header=BB245_2 Depth=1
	v_bcnt_u32_b32 v1, v1, 0
	v_bcnt_u32_b32 v1, v2, v1
	s_waitcnt lgkmcnt(0)
	v_add_u32_e32 v1, v41, v1
	ds_write_b32 v42, v1 offset:4
.LBB245_10:                             ;   in Loop: Header=BB245_2 Depth=1
	s_or_b64 exec, exec, s[20:21]
	; wave barrier
	s_waitcnt lgkmcnt(0)
	; wave barrier
	ds_read2_b32 v[1:2], v6 offset0:1 offset1:2
	ds_read2_b32 v[4:5], v6 offset0:3 offset1:4
	s_waitcnt lgkmcnt(1)
	v_add_u32_e32 v44, v2, v1
	s_waitcnt lgkmcnt(0)
	v_add3_u32 v5, v44, v4, v5
	s_nop 1
	v_mov_b32_dpp v44, v5 row_shr:1 row_mask:0xf bank_mask:0xf
	v_cndmask_b32_e64 v44, v44, 0, s[10:11]
	v_add_u32_e32 v5, v44, v5
	s_nop 1
	v_mov_b32_dpp v44, v5 row_shr:2 row_mask:0xf bank_mask:0xf
	v_cndmask_b32_e64 v44, 0, v44, s[12:13]
	v_add_u32_e32 v5, v5, v44
	;; [unrolled: 4-line block ×4, first 2 shown]
	s_nop 1
	v_mov_b32_dpp v44, v5 row_bcast:15 row_mask:0xf bank_mask:0xf
	v_cndmask_b32_e64 v44, v44, 0, s[18:19]
	v_add_u32_e32 v5, v5, v44
	s_nop 1
	v_mov_b32_dpp v44, v5 row_bcast:31 row_mask:0xf bank_mask:0xf
	v_cndmask_b32_e64 v44, 0, v44, s[2:3]
	v_add_u32_e32 v5, v5, v44
	s_and_saveexec_b64 s[20:21], s[0:1]
	s_cbranch_execz .LBB245_1
; %bb.11:                               ;   in Loop: Header=BB245_2 Depth=1
	ds_write_b32 v3, v5
	s_branch .LBB245_1
.LBB245_12:
	s_add_u32 s0, s26, s28
	v_add_u16_e32 v1, v4, v14
	s_addc_u32 s1, s27, 0
	v_add_u16_e32 v3, v5, v15
	v_add_u16_e32 v2, v2, v16
	;; [unrolled: 1-line block ×3, first 2 shown]
	global_store_byte v0, v1, s[0:1]
	global_store_byte v0, v3, s[0:1] offset:64
	global_store_byte v0, v2, s[0:1] offset:128
	;; [unrolled: 1-line block ×3, first 2 shown]
	s_endpgm
	.section	.rodata,"a",@progbits
	.p2align	6, 0x0
	.amdhsa_kernel _Z17sort_pairs_kernelI22helper_blocked_stripedaLj64ELj4ELj10EEvPKT0_PS1_
		.amdhsa_group_segment_fixed_size 1040
		.amdhsa_private_segment_fixed_size 0
		.amdhsa_kernarg_size 272
		.amdhsa_user_sgpr_count 6
		.amdhsa_user_sgpr_private_segment_buffer 1
		.amdhsa_user_sgpr_dispatch_ptr 0
		.amdhsa_user_sgpr_queue_ptr 0
		.amdhsa_user_sgpr_kernarg_segment_ptr 1
		.amdhsa_user_sgpr_dispatch_id 0
		.amdhsa_user_sgpr_flat_scratch_init 0
		.amdhsa_user_sgpr_private_segment_size 0
		.amdhsa_uses_dynamic_stack 0
		.amdhsa_system_sgpr_private_segment_wavefront_offset 0
		.amdhsa_system_sgpr_workgroup_id_x 1
		.amdhsa_system_sgpr_workgroup_id_y 0
		.amdhsa_system_sgpr_workgroup_id_z 0
		.amdhsa_system_sgpr_workgroup_info 0
		.amdhsa_system_vgpr_workitem_id 2
		.amdhsa_next_free_vgpr 45
		.amdhsa_next_free_sgpr 41
		.amdhsa_reserve_vcc 1
		.amdhsa_reserve_flat_scratch 0
		.amdhsa_float_round_mode_32 0
		.amdhsa_float_round_mode_16_64 0
		.amdhsa_float_denorm_mode_32 3
		.amdhsa_float_denorm_mode_16_64 3
		.amdhsa_dx10_clamp 1
		.amdhsa_ieee_mode 1
		.amdhsa_fp16_overflow 0
		.amdhsa_exception_fp_ieee_invalid_op 0
		.amdhsa_exception_fp_denorm_src 0
		.amdhsa_exception_fp_ieee_div_zero 0
		.amdhsa_exception_fp_ieee_overflow 0
		.amdhsa_exception_fp_ieee_underflow 0
		.amdhsa_exception_fp_ieee_inexact 0
		.amdhsa_exception_int_div_zero 0
	.end_amdhsa_kernel
	.section	.text._Z17sort_pairs_kernelI22helper_blocked_stripedaLj64ELj4ELj10EEvPKT0_PS1_,"axG",@progbits,_Z17sort_pairs_kernelI22helper_blocked_stripedaLj64ELj4ELj10EEvPKT0_PS1_,comdat
.Lfunc_end245:
	.size	_Z17sort_pairs_kernelI22helper_blocked_stripedaLj64ELj4ELj10EEvPKT0_PS1_, .Lfunc_end245-_Z17sort_pairs_kernelI22helper_blocked_stripedaLj64ELj4ELj10EEvPKT0_PS1_
                                        ; -- End function
	.set _Z17sort_pairs_kernelI22helper_blocked_stripedaLj64ELj4ELj10EEvPKT0_PS1_.num_vgpr, 45
	.set _Z17sort_pairs_kernelI22helper_blocked_stripedaLj64ELj4ELj10EEvPKT0_PS1_.num_agpr, 0
	.set _Z17sort_pairs_kernelI22helper_blocked_stripedaLj64ELj4ELj10EEvPKT0_PS1_.numbered_sgpr, 41
	.set _Z17sort_pairs_kernelI22helper_blocked_stripedaLj64ELj4ELj10EEvPKT0_PS1_.num_named_barrier, 0
	.set _Z17sort_pairs_kernelI22helper_blocked_stripedaLj64ELj4ELj10EEvPKT0_PS1_.private_seg_size, 0
	.set _Z17sort_pairs_kernelI22helper_blocked_stripedaLj64ELj4ELj10EEvPKT0_PS1_.uses_vcc, 1
	.set _Z17sort_pairs_kernelI22helper_blocked_stripedaLj64ELj4ELj10EEvPKT0_PS1_.uses_flat_scratch, 0
	.set _Z17sort_pairs_kernelI22helper_blocked_stripedaLj64ELj4ELj10EEvPKT0_PS1_.has_dyn_sized_stack, 0
	.set _Z17sort_pairs_kernelI22helper_blocked_stripedaLj64ELj4ELj10EEvPKT0_PS1_.has_recursion, 0
	.set _Z17sort_pairs_kernelI22helper_blocked_stripedaLj64ELj4ELj10EEvPKT0_PS1_.has_indirect_call, 0
	.section	.AMDGPU.csdata,"",@progbits
; Kernel info:
; codeLenInByte = 3864
; TotalNumSgprs: 45
; NumVgprs: 45
; ScratchSize: 0
; MemoryBound: 0
; FloatMode: 240
; IeeeMode: 1
; LDSByteSize: 1040 bytes/workgroup (compile time only)
; SGPRBlocks: 5
; VGPRBlocks: 11
; NumSGPRsForWavesPerEU: 45
; NumVGPRsForWavesPerEU: 45
; Occupancy: 5
; WaveLimiterHint : 0
; COMPUTE_PGM_RSRC2:SCRATCH_EN: 0
; COMPUTE_PGM_RSRC2:USER_SGPR: 6
; COMPUTE_PGM_RSRC2:TRAP_HANDLER: 0
; COMPUTE_PGM_RSRC2:TGID_X_EN: 1
; COMPUTE_PGM_RSRC2:TGID_Y_EN: 0
; COMPUTE_PGM_RSRC2:TGID_Z_EN: 0
; COMPUTE_PGM_RSRC2:TIDIG_COMP_CNT: 2
	.section	.text._Z16sort_keys_kernelI22helper_blocked_stripedaLj64ELj8ELj10EEvPKT0_PS1_,"axG",@progbits,_Z16sort_keys_kernelI22helper_blocked_stripedaLj64ELj8ELj10EEvPKT0_PS1_,comdat
	.protected	_Z16sort_keys_kernelI22helper_blocked_stripedaLj64ELj8ELj10EEvPKT0_PS1_ ; -- Begin function _Z16sort_keys_kernelI22helper_blocked_stripedaLj64ELj8ELj10EEvPKT0_PS1_
	.globl	_Z16sort_keys_kernelI22helper_blocked_stripedaLj64ELj8ELj10EEvPKT0_PS1_
	.p2align	8
	.type	_Z16sort_keys_kernelI22helper_blocked_stripedaLj64ELj8ELj10EEvPKT0_PS1_,@function
_Z16sort_keys_kernelI22helper_blocked_stripedaLj64ELj8ELj10EEvPKT0_PS1_: ; @_Z16sort_keys_kernelI22helper_blocked_stripedaLj64ELj8ELj10EEvPKT0_PS1_
; %bb.0:
	s_load_dwordx4 s[16:19], s[4:5], 0x0
	s_load_dword s2, s[4:5], 0x1c
	s_lshl_b32 s20, s6, 9
	v_lshlrev_b32_e32 v3, 3, v0
	v_mbcnt_lo_u32_b32 v6, -1, 0
	s_waitcnt lgkmcnt(0)
	s_add_u32 s0, s16, s20
	s_addc_u32 s1, s17, 0
	global_load_dwordx2 v[4:5], v3, s[0:1]
	s_lshr_b32 s0, s2, 16
	s_and_b32 s1, s2, 0xffff
	v_mad_u32_u24 v1, v2, s0, v1
	v_mad_u32_u24 v1, v1, s1, v0
	v_mbcnt_hi_u32_b32 v6, -1, v6
	v_lshrrev_b32_e32 v1, 4, v1
	v_and_b32_e32 v9, 0xffffffc, v1
	v_and_b32_e32 v1, 15, v6
	v_cmp_eq_u32_e32 vcc, 0, v1
	v_cmp_lt_u32_e64 s[0:1], 1, v1
	v_cmp_lt_u32_e64 s[2:3], 3, v1
	;; [unrolled: 1-line block ×3, first 2 shown]
	v_and_b32_e32 v1, 16, v6
	v_cmp_eq_u32_e64 s[6:7], 0, v1
	v_subrev_co_u32_e64 v1, s[12:13], 1, v6
	v_and_b32_e32 v2, 64, v6
	v_cmp_lt_i32_e64 s[14:15], v1, v2
	v_cndmask_b32_e64 v1, v1, v6, s[14:15]
	v_cmp_eq_u32_e64 s[14:15], 0, v0
	v_mov_b32_e32 v3, 0
	v_lshlrev_b32_e32 v7, 3, v6
	v_lshlrev_b32_e32 v8, 4, v0
	v_cmp_lt_u32_e64 s[8:9], 31, v6
	v_cmp_eq_u32_e64 s[10:11], 63, v0
	v_lshlrev_b32_e32 v10, 2, v1
	s_or_b64 s[16:17], s[14:15], s[12:13]
	s_mov_b32 s21, 10
	s_movk_i32 s22, 0xff00
	s_movk_i32 s23, 0x80
	s_movk_i32 s24, 0x8000
	s_branch .LBB246_2
.LBB246_1:                              ;   in Loop: Header=BB246_2 Depth=1
	s_or_b64 exec, exec, s[12:13]
	ds_bpermute_b32 v2, v10, v2
	s_waitcnt lgkmcnt(0)
	; wave barrier
	s_add_i32 s21, s21, -1
	s_cmp_eq_u32 s21, 0
	v_cndmask_b32_e64 v2, v2, 0, s[16:17]
	v_add_u32_e32 v4, v2, v4
	v_add_u32_e32 v5, v4, v5
	;; [unrolled: 1-line block ×3, first 2 shown]
	ds_write2_b32 v8, v2, v4 offset0:1 offset1:2
	ds_write2_b32 v8, v5, v1 offset0:3 offset1:4
	s_waitcnt lgkmcnt(0)
	; wave barrier
	ds_read_b32 v1, v19 offset:4
	ds_read_b32 v2, v22 offset:4
	;; [unrolled: 1-line block ×8, first 2 shown]
	s_waitcnt lgkmcnt(7)
	v_add_u32_e32 v1, v1, v20
	s_waitcnt lgkmcnt(0)
	; wave barrier
	ds_write_b8 v1, v18
	v_add3_u32 v1, v23, v21, v2
	ds_write_b8 v1, v17
	v_add3_u32 v1, v26, v24, v4
	;; [unrolled: 2-line block ×7, first 2 shown]
	ds_write_b8 v1, v11
	s_waitcnt lgkmcnt(0)
	; wave barrier
	ds_read_u8 v1, v0
	ds_read_u8 v2, v0 offset:64
	ds_read_u8 v4, v0 offset:128
	ds_read_u8 v5, v0 offset:192
	ds_read_u8 v13, v0 offset:256
	ds_read_u8 v14, v0 offset:320
	ds_read_u8 v15, v0 offset:384
	ds_read_u8 v16, v0 offset:448
	s_waitcnt lgkmcnt(6)
	v_xor_b32_e32 v2, 0xffffff80, v2
	s_waitcnt lgkmcnt(4)
	v_xor_b32_e32 v12, 0xffffff80, v5
	v_xor_b32_e32 v1, 0xffffff80, v1
	;; [unrolled: 1-line block ×3, first 2 shown]
	v_lshlrev_b16_e32 v4, 8, v2
	v_lshlrev_b16_e32 v5, 8, v12
	s_waitcnt lgkmcnt(2)
	v_xor_b32_e32 v14, 0xffffff80, v14
	s_waitcnt lgkmcnt(0)
	v_xor_b32_e32 v16, 0xffffff80, v16
	v_or_b32_sdwa v4, v1, v4 dst_sel:DWORD dst_unused:UNUSED_PAD src0_sel:BYTE_0 src1_sel:DWORD
	v_or_b32_sdwa v5, v11, v5 dst_sel:WORD_1 dst_unused:UNUSED_PAD src0_sel:BYTE_0 src1_sel:DWORD
	v_xor_b32_e32 v13, 0xffffff80, v13
	v_xor_b32_e32 v15, 0xffffff80, v15
	v_or_b32_sdwa v4, v4, v5 dst_sel:DWORD dst_unused:UNUSED_PAD src0_sel:WORD_0 src1_sel:DWORD
	v_lshlrev_b16_e32 v5, 8, v14
	v_lshlrev_b16_e32 v17, 8, v16
	v_or_b32_sdwa v5, v13, v5 dst_sel:DWORD dst_unused:UNUSED_PAD src0_sel:BYTE_0 src1_sel:DWORD
	v_or_b32_sdwa v17, v15, v17 dst_sel:WORD_1 dst_unused:UNUSED_PAD src0_sel:BYTE_0 src1_sel:DWORD
	v_or_b32_sdwa v5, v5, v17 dst_sel:DWORD dst_unused:UNUSED_PAD src0_sel:WORD_0 src1_sel:DWORD
	s_cbranch_scc1 .LBB246_20
.LBB246_2:                              ; =>This Inner Loop Header: Depth=1
	s_waitcnt vmcnt(0)
	v_and_b32_e32 v1, 0xffffff00, v4
	v_xor_b32_e32 v2, 0x80, v4
	v_or_b32_sdwa v1, v2, v1 dst_sel:DWORD dst_unused:UNUSED_PAD src0_sel:BYTE_0 src1_sel:DWORD
	v_and_b32_sdwa v2, v4, s22 dst_sel:DWORD dst_unused:UNUSED_PAD src0_sel:WORD_1 src1_sel:DWORD
	v_xor_b32_sdwa v4, v4, s23 dst_sel:DWORD dst_unused:UNUSED_PAD src0_sel:WORD_1 src1_sel:DWORD
	v_or_b32_sdwa v2, v4, v2 dst_sel:DWORD dst_unused:UNUSED_PAD src0_sel:BYTE_0 src1_sel:DWORD
	v_add_u16_e32 v1, 0x8000, v1
	v_add_u16_sdwa v2, v2, s24 dst_sel:WORD_1 dst_unused:UNUSED_PAD src0_sel:DWORD src1_sel:DWORD
	v_or_b32_e32 v1, v1, v2
	v_and_b32_e32 v2, 0xffffff00, v5
	v_xor_b32_e32 v4, 0x80, v5
	v_or_b32_sdwa v2, v4, v2 dst_sel:DWORD dst_unused:UNUSED_PAD src0_sel:BYTE_0 src1_sel:DWORD
	v_and_b32_sdwa v4, v5, s22 dst_sel:DWORD dst_unused:UNUSED_PAD src0_sel:WORD_1 src1_sel:DWORD
	v_xor_b32_sdwa v5, v5, s23 dst_sel:DWORD dst_unused:UNUSED_PAD src0_sel:WORD_1 src1_sel:DWORD
	v_or_b32_sdwa v4, v5, v4 dst_sel:DWORD dst_unused:UNUSED_PAD src0_sel:BYTE_0 src1_sel:DWORD
	v_add_u16_e32 v2, 0x8000, v2
	v_add_u16_sdwa v4, v4, s24 dst_sel:WORD_1 dst_unused:UNUSED_PAD src0_sel:DWORD src1_sel:DWORD
	v_or_b32_e32 v2, v2, v4
	ds_write_b64 v7, v[1:2]
	; wave barrier
	ds_read_u8 v18, v6
	ds_read_u8 v17, v6 offset:64
	ds_read_u8 v16, v6 offset:128
	;; [unrolled: 1-line block ×7, first 2 shown]
	s_waitcnt lgkmcnt(7)
	v_and_b32_e32 v1, 0xff, v18
	v_lshl_add_u32 v19, v1, 2, v9
	v_and_b32_e32 v1, 1, v18
	v_add_co_u32_e64 v2, s[12:13], -1, v1
	v_addc_co_u32_e64 v4, s[12:13], 0, -1, s[12:13]
	v_cmp_ne_u32_e64 s[12:13], 0, v1
	v_xor_b32_e32 v1, s13, v4
	v_lshlrev_b32_e32 v4, 30, v18
	v_xor_b32_e32 v2, s12, v2
	v_cmp_gt_i64_e64 s[12:13], 0, v[3:4]
	v_not_b32_e32 v4, v4
	v_ashrrev_i32_e32 v4, 31, v4
	v_and_b32_e32 v2, exec_lo, v2
	v_xor_b32_e32 v5, s13, v4
	v_xor_b32_e32 v4, s12, v4
	v_and_b32_e32 v2, v2, v4
	v_lshlrev_b32_e32 v4, 29, v18
	v_cmp_gt_i64_e64 s[12:13], 0, v[3:4]
	v_not_b32_e32 v4, v4
	v_and_b32_e32 v1, exec_hi, v1
	v_ashrrev_i32_e32 v4, 31, v4
	v_and_b32_e32 v1, v1, v5
	v_xor_b32_e32 v5, s13, v4
	v_xor_b32_e32 v4, s12, v4
	v_and_b32_e32 v2, v2, v4
	v_lshlrev_b32_e32 v4, 28, v18
	v_cmp_gt_i64_e64 s[12:13], 0, v[3:4]
	v_not_b32_e32 v4, v4
	v_ashrrev_i32_e32 v4, 31, v4
	v_and_b32_e32 v1, v1, v5
	v_xor_b32_e32 v5, s13, v4
	v_xor_b32_e32 v4, s12, v4
	v_and_b32_e32 v2, v2, v4
	v_lshlrev_b32_e32 v4, 27, v18
	v_cmp_gt_i64_e64 s[12:13], 0, v[3:4]
	v_not_b32_e32 v4, v4
	;; [unrolled: 8-line block ×4, first 2 shown]
	v_ashrrev_i32_e32 v4, 31, v4
	v_and_b32_e32 v1, v1, v5
	v_xor_b32_e32 v5, s13, v4
	v_xor_b32_e32 v4, s12, v4
	v_and_b32_e32 v1, v1, v5
	v_and_b32_e32 v5, v2, v4
	v_lshlrev_b32_e32 v4, 24, v18
	v_cmp_gt_i64_e64 s[12:13], 0, v[3:4]
	v_not_b32_e32 v2, v4
	v_ashrrev_i32_e32 v2, 31, v2
	v_xor_b32_e32 v4, s13, v2
	v_xor_b32_e32 v20, s12, v2
	v_and_b32_e32 v2, v1, v4
	v_and_b32_e32 v1, v5, v20
	v_mbcnt_lo_u32_b32 v4, v1, 0
	v_mbcnt_hi_u32_b32 v20, v2, v4
	v_cmp_ne_u64_e64 s[12:13], 0, v[1:2]
	v_cmp_eq_u32_e64 s[14:15], 0, v20
	s_and_b64 s[14:15], s[12:13], s[14:15]
	; wave barrier
	; wave barrier
	s_waitcnt lgkmcnt(0)
	; wave barrier
	ds_write2_b32 v8, v3, v3 offset0:1 offset1:2
	ds_write2_b32 v8, v3, v3 offset0:3 offset1:4
	s_waitcnt lgkmcnt(0)
	; wave barrier
	; wave barrier
	s_and_saveexec_b64 s[12:13], s[14:15]
; %bb.3:                                ;   in Loop: Header=BB246_2 Depth=1
	v_bcnt_u32_b32 v1, v1, 0
	v_bcnt_u32_b32 v1, v2, v1
	ds_write_b32 v19, v1 offset:4
; %bb.4:                                ;   in Loop: Header=BB246_2 Depth=1
	s_or_b64 exec, exec, s[12:13]
	v_and_b32_e32 v1, 0xff, v17
	v_lshl_add_u32 v22, v1, 2, v9
	v_and_b32_e32 v1, 1, v17
	v_add_co_u32_e64 v2, s[12:13], -1, v1
	v_addc_co_u32_e64 v4, s[12:13], 0, -1, s[12:13]
	v_cmp_ne_u32_e64 s[12:13], 0, v1
	v_xor_b32_e32 v1, s13, v4
	v_lshlrev_b32_e32 v4, 30, v17
	v_xor_b32_e32 v2, s12, v2
	v_cmp_gt_i64_e64 s[12:13], 0, v[3:4]
	v_not_b32_e32 v4, v4
	v_ashrrev_i32_e32 v4, 31, v4
	v_and_b32_e32 v2, exec_lo, v2
	v_xor_b32_e32 v5, s13, v4
	v_xor_b32_e32 v4, s12, v4
	v_and_b32_e32 v2, v2, v4
	v_lshlrev_b32_e32 v4, 29, v17
	v_cmp_gt_i64_e64 s[12:13], 0, v[3:4]
	v_not_b32_e32 v4, v4
	v_and_b32_e32 v1, exec_hi, v1
	v_ashrrev_i32_e32 v4, 31, v4
	v_and_b32_e32 v1, v1, v5
	v_xor_b32_e32 v5, s13, v4
	v_xor_b32_e32 v4, s12, v4
	v_and_b32_e32 v2, v2, v4
	v_lshlrev_b32_e32 v4, 28, v17
	v_cmp_gt_i64_e64 s[12:13], 0, v[3:4]
	v_not_b32_e32 v4, v4
	v_ashrrev_i32_e32 v4, 31, v4
	v_and_b32_e32 v1, v1, v5
	v_xor_b32_e32 v5, s13, v4
	v_xor_b32_e32 v4, s12, v4
	v_and_b32_e32 v2, v2, v4
	v_lshlrev_b32_e32 v4, 27, v17
	v_cmp_gt_i64_e64 s[12:13], 0, v[3:4]
	v_not_b32_e32 v4, v4
	;; [unrolled: 8-line block ×4, first 2 shown]
	v_ashrrev_i32_e32 v4, 31, v4
	v_and_b32_e32 v1, v1, v5
	v_xor_b32_e32 v5, s13, v4
	v_xor_b32_e32 v4, s12, v4
	v_and_b32_e32 v1, v1, v5
	v_and_b32_e32 v5, v2, v4
	v_lshlrev_b32_e32 v4, 24, v17
	v_cmp_gt_i64_e64 s[12:13], 0, v[3:4]
	v_not_b32_e32 v2, v4
	v_ashrrev_i32_e32 v2, 31, v2
	v_xor_b32_e32 v4, s13, v2
	v_xor_b32_e32 v23, s12, v2
	; wave barrier
	ds_read_b32 v21, v22 offset:4
	v_and_b32_e32 v2, v1, v4
	v_and_b32_e32 v1, v5, v23
	v_mbcnt_lo_u32_b32 v4, v1, 0
	v_mbcnt_hi_u32_b32 v23, v2, v4
	v_cmp_ne_u64_e64 s[12:13], 0, v[1:2]
	v_cmp_eq_u32_e64 s[14:15], 0, v23
	s_and_b64 s[14:15], s[12:13], s[14:15]
	; wave barrier
	s_and_saveexec_b64 s[12:13], s[14:15]
	s_cbranch_execz .LBB246_6
; %bb.5:                                ;   in Loop: Header=BB246_2 Depth=1
	v_bcnt_u32_b32 v1, v1, 0
	v_bcnt_u32_b32 v1, v2, v1
	s_waitcnt lgkmcnt(0)
	v_add_u32_e32 v1, v21, v1
	ds_write_b32 v22, v1 offset:4
.LBB246_6:                              ;   in Loop: Header=BB246_2 Depth=1
	s_or_b64 exec, exec, s[12:13]
	v_and_b32_e32 v1, 0xff, v16
	v_lshl_add_u32 v25, v1, 2, v9
	v_and_b32_e32 v1, 1, v16
	v_add_co_u32_e64 v2, s[12:13], -1, v1
	v_addc_co_u32_e64 v4, s[12:13], 0, -1, s[12:13]
	v_cmp_ne_u32_e64 s[12:13], 0, v1
	v_xor_b32_e32 v1, s13, v4
	v_lshlrev_b32_e32 v4, 30, v16
	v_xor_b32_e32 v2, s12, v2
	v_cmp_gt_i64_e64 s[12:13], 0, v[3:4]
	v_not_b32_e32 v4, v4
	v_ashrrev_i32_e32 v4, 31, v4
	v_and_b32_e32 v2, exec_lo, v2
	v_xor_b32_e32 v5, s13, v4
	v_xor_b32_e32 v4, s12, v4
	v_and_b32_e32 v2, v2, v4
	v_lshlrev_b32_e32 v4, 29, v16
	v_cmp_gt_i64_e64 s[12:13], 0, v[3:4]
	v_not_b32_e32 v4, v4
	v_and_b32_e32 v1, exec_hi, v1
	v_ashrrev_i32_e32 v4, 31, v4
	v_and_b32_e32 v1, v1, v5
	v_xor_b32_e32 v5, s13, v4
	v_xor_b32_e32 v4, s12, v4
	v_and_b32_e32 v2, v2, v4
	v_lshlrev_b32_e32 v4, 28, v16
	v_cmp_gt_i64_e64 s[12:13], 0, v[3:4]
	v_not_b32_e32 v4, v4
	v_ashrrev_i32_e32 v4, 31, v4
	v_and_b32_e32 v1, v1, v5
	v_xor_b32_e32 v5, s13, v4
	v_xor_b32_e32 v4, s12, v4
	v_and_b32_e32 v2, v2, v4
	v_lshlrev_b32_e32 v4, 27, v16
	v_cmp_gt_i64_e64 s[12:13], 0, v[3:4]
	v_not_b32_e32 v4, v4
	;; [unrolled: 8-line block ×4, first 2 shown]
	v_ashrrev_i32_e32 v4, 31, v4
	v_and_b32_e32 v1, v1, v5
	v_xor_b32_e32 v5, s13, v4
	v_xor_b32_e32 v4, s12, v4
	v_and_b32_e32 v1, v1, v5
	v_and_b32_e32 v5, v2, v4
	v_lshlrev_b32_e32 v4, 24, v16
	v_cmp_gt_i64_e64 s[12:13], 0, v[3:4]
	v_not_b32_e32 v2, v4
	v_ashrrev_i32_e32 v2, 31, v2
	v_xor_b32_e32 v4, s13, v2
	v_xor_b32_e32 v26, s12, v2
	; wave barrier
	ds_read_b32 v24, v25 offset:4
	v_and_b32_e32 v2, v1, v4
	v_and_b32_e32 v1, v5, v26
	v_mbcnt_lo_u32_b32 v4, v1, 0
	v_mbcnt_hi_u32_b32 v26, v2, v4
	v_cmp_ne_u64_e64 s[12:13], 0, v[1:2]
	v_cmp_eq_u32_e64 s[14:15], 0, v26
	s_and_b64 s[14:15], s[12:13], s[14:15]
	; wave barrier
	s_and_saveexec_b64 s[12:13], s[14:15]
	s_cbranch_execz .LBB246_8
; %bb.7:                                ;   in Loop: Header=BB246_2 Depth=1
	v_bcnt_u32_b32 v1, v1, 0
	v_bcnt_u32_b32 v1, v2, v1
	s_waitcnt lgkmcnt(0)
	v_add_u32_e32 v1, v24, v1
	ds_write_b32 v25, v1 offset:4
.LBB246_8:                              ;   in Loop: Header=BB246_2 Depth=1
	s_or_b64 exec, exec, s[12:13]
	v_and_b32_e32 v1, 0xff, v15
	v_lshl_add_u32 v28, v1, 2, v9
	v_and_b32_e32 v1, 1, v15
	v_add_co_u32_e64 v2, s[12:13], -1, v1
	v_addc_co_u32_e64 v4, s[12:13], 0, -1, s[12:13]
	v_cmp_ne_u32_e64 s[12:13], 0, v1
	v_xor_b32_e32 v1, s13, v4
	v_lshlrev_b32_e32 v4, 30, v15
	v_xor_b32_e32 v2, s12, v2
	v_cmp_gt_i64_e64 s[12:13], 0, v[3:4]
	v_not_b32_e32 v4, v4
	v_ashrrev_i32_e32 v4, 31, v4
	v_and_b32_e32 v2, exec_lo, v2
	v_xor_b32_e32 v5, s13, v4
	v_xor_b32_e32 v4, s12, v4
	v_and_b32_e32 v2, v2, v4
	v_lshlrev_b32_e32 v4, 29, v15
	v_cmp_gt_i64_e64 s[12:13], 0, v[3:4]
	v_not_b32_e32 v4, v4
	v_and_b32_e32 v1, exec_hi, v1
	v_ashrrev_i32_e32 v4, 31, v4
	v_and_b32_e32 v1, v1, v5
	v_xor_b32_e32 v5, s13, v4
	v_xor_b32_e32 v4, s12, v4
	v_and_b32_e32 v2, v2, v4
	v_lshlrev_b32_e32 v4, 28, v15
	v_cmp_gt_i64_e64 s[12:13], 0, v[3:4]
	v_not_b32_e32 v4, v4
	v_ashrrev_i32_e32 v4, 31, v4
	v_and_b32_e32 v1, v1, v5
	v_xor_b32_e32 v5, s13, v4
	v_xor_b32_e32 v4, s12, v4
	v_and_b32_e32 v2, v2, v4
	v_lshlrev_b32_e32 v4, 27, v15
	v_cmp_gt_i64_e64 s[12:13], 0, v[3:4]
	v_not_b32_e32 v4, v4
	;; [unrolled: 8-line block ×4, first 2 shown]
	v_ashrrev_i32_e32 v4, 31, v4
	v_and_b32_e32 v1, v1, v5
	v_xor_b32_e32 v5, s13, v4
	v_xor_b32_e32 v4, s12, v4
	v_and_b32_e32 v1, v1, v5
	v_and_b32_e32 v5, v2, v4
	v_lshlrev_b32_e32 v4, 24, v15
	v_cmp_gt_i64_e64 s[12:13], 0, v[3:4]
	v_not_b32_e32 v2, v4
	v_ashrrev_i32_e32 v2, 31, v2
	v_xor_b32_e32 v4, s13, v2
	v_xor_b32_e32 v29, s12, v2
	; wave barrier
	ds_read_b32 v27, v28 offset:4
	v_and_b32_e32 v2, v1, v4
	v_and_b32_e32 v1, v5, v29
	v_mbcnt_lo_u32_b32 v4, v1, 0
	v_mbcnt_hi_u32_b32 v29, v2, v4
	v_cmp_ne_u64_e64 s[12:13], 0, v[1:2]
	v_cmp_eq_u32_e64 s[14:15], 0, v29
	s_and_b64 s[14:15], s[12:13], s[14:15]
	; wave barrier
	s_and_saveexec_b64 s[12:13], s[14:15]
	s_cbranch_execz .LBB246_10
; %bb.9:                                ;   in Loop: Header=BB246_2 Depth=1
	v_bcnt_u32_b32 v1, v1, 0
	v_bcnt_u32_b32 v1, v2, v1
	s_waitcnt lgkmcnt(0)
	v_add_u32_e32 v1, v27, v1
	ds_write_b32 v28, v1 offset:4
.LBB246_10:                             ;   in Loop: Header=BB246_2 Depth=1
	s_or_b64 exec, exec, s[12:13]
	v_and_b32_e32 v1, 0xff, v14
	v_lshl_add_u32 v31, v1, 2, v9
	v_and_b32_e32 v1, 1, v14
	v_add_co_u32_e64 v2, s[12:13], -1, v1
	v_addc_co_u32_e64 v4, s[12:13], 0, -1, s[12:13]
	v_cmp_ne_u32_e64 s[12:13], 0, v1
	v_xor_b32_e32 v1, s13, v4
	v_lshlrev_b32_e32 v4, 30, v14
	v_xor_b32_e32 v2, s12, v2
	v_cmp_gt_i64_e64 s[12:13], 0, v[3:4]
	v_not_b32_e32 v4, v4
	v_ashrrev_i32_e32 v4, 31, v4
	v_and_b32_e32 v2, exec_lo, v2
	v_xor_b32_e32 v5, s13, v4
	v_xor_b32_e32 v4, s12, v4
	v_and_b32_e32 v2, v2, v4
	v_lshlrev_b32_e32 v4, 29, v14
	v_cmp_gt_i64_e64 s[12:13], 0, v[3:4]
	v_not_b32_e32 v4, v4
	v_and_b32_e32 v1, exec_hi, v1
	v_ashrrev_i32_e32 v4, 31, v4
	v_and_b32_e32 v1, v1, v5
	v_xor_b32_e32 v5, s13, v4
	v_xor_b32_e32 v4, s12, v4
	v_and_b32_e32 v2, v2, v4
	v_lshlrev_b32_e32 v4, 28, v14
	v_cmp_gt_i64_e64 s[12:13], 0, v[3:4]
	v_not_b32_e32 v4, v4
	v_ashrrev_i32_e32 v4, 31, v4
	v_and_b32_e32 v1, v1, v5
	v_xor_b32_e32 v5, s13, v4
	v_xor_b32_e32 v4, s12, v4
	v_and_b32_e32 v2, v2, v4
	v_lshlrev_b32_e32 v4, 27, v14
	v_cmp_gt_i64_e64 s[12:13], 0, v[3:4]
	v_not_b32_e32 v4, v4
	;; [unrolled: 8-line block ×4, first 2 shown]
	v_ashrrev_i32_e32 v4, 31, v4
	v_and_b32_e32 v1, v1, v5
	v_xor_b32_e32 v5, s13, v4
	v_xor_b32_e32 v4, s12, v4
	v_and_b32_e32 v1, v1, v5
	v_and_b32_e32 v5, v2, v4
	v_lshlrev_b32_e32 v4, 24, v14
	v_cmp_gt_i64_e64 s[12:13], 0, v[3:4]
	v_not_b32_e32 v2, v4
	v_ashrrev_i32_e32 v2, 31, v2
	v_xor_b32_e32 v4, s13, v2
	v_xor_b32_e32 v32, s12, v2
	; wave barrier
	ds_read_b32 v30, v31 offset:4
	v_and_b32_e32 v2, v1, v4
	v_and_b32_e32 v1, v5, v32
	v_mbcnt_lo_u32_b32 v4, v1, 0
	v_mbcnt_hi_u32_b32 v32, v2, v4
	v_cmp_ne_u64_e64 s[12:13], 0, v[1:2]
	v_cmp_eq_u32_e64 s[14:15], 0, v32
	s_and_b64 s[14:15], s[12:13], s[14:15]
	; wave barrier
	s_and_saveexec_b64 s[12:13], s[14:15]
	s_cbranch_execz .LBB246_12
; %bb.11:                               ;   in Loop: Header=BB246_2 Depth=1
	v_bcnt_u32_b32 v1, v1, 0
	v_bcnt_u32_b32 v1, v2, v1
	s_waitcnt lgkmcnt(0)
	v_add_u32_e32 v1, v30, v1
	ds_write_b32 v31, v1 offset:4
.LBB246_12:                             ;   in Loop: Header=BB246_2 Depth=1
	s_or_b64 exec, exec, s[12:13]
	v_and_b32_e32 v1, 0xff, v13
	v_lshl_add_u32 v34, v1, 2, v9
	v_and_b32_e32 v1, 1, v13
	v_add_co_u32_e64 v2, s[12:13], -1, v1
	v_addc_co_u32_e64 v4, s[12:13], 0, -1, s[12:13]
	v_cmp_ne_u32_e64 s[12:13], 0, v1
	v_xor_b32_e32 v1, s13, v4
	v_lshlrev_b32_e32 v4, 30, v13
	v_xor_b32_e32 v2, s12, v2
	v_cmp_gt_i64_e64 s[12:13], 0, v[3:4]
	v_not_b32_e32 v4, v4
	v_ashrrev_i32_e32 v4, 31, v4
	v_and_b32_e32 v2, exec_lo, v2
	v_xor_b32_e32 v5, s13, v4
	v_xor_b32_e32 v4, s12, v4
	v_and_b32_e32 v2, v2, v4
	v_lshlrev_b32_e32 v4, 29, v13
	v_cmp_gt_i64_e64 s[12:13], 0, v[3:4]
	v_not_b32_e32 v4, v4
	v_and_b32_e32 v1, exec_hi, v1
	v_ashrrev_i32_e32 v4, 31, v4
	v_and_b32_e32 v1, v1, v5
	v_xor_b32_e32 v5, s13, v4
	v_xor_b32_e32 v4, s12, v4
	v_and_b32_e32 v2, v2, v4
	v_lshlrev_b32_e32 v4, 28, v13
	v_cmp_gt_i64_e64 s[12:13], 0, v[3:4]
	v_not_b32_e32 v4, v4
	v_ashrrev_i32_e32 v4, 31, v4
	v_and_b32_e32 v1, v1, v5
	v_xor_b32_e32 v5, s13, v4
	v_xor_b32_e32 v4, s12, v4
	v_and_b32_e32 v2, v2, v4
	v_lshlrev_b32_e32 v4, 27, v13
	v_cmp_gt_i64_e64 s[12:13], 0, v[3:4]
	v_not_b32_e32 v4, v4
	v_ashrrev_i32_e32 v4, 31, v4
	v_and_b32_e32 v1, v1, v5
	v_xor_b32_e32 v5, s13, v4
	v_xor_b32_e32 v4, s12, v4
	v_and_b32_e32 v2, v2, v4
	v_lshlrev_b32_e32 v4, 26, v13
	v_cmp_gt_i64_e64 s[12:13], 0, v[3:4]
	v_not_b32_e32 v4, v4
	v_ashrrev_i32_e32 v4, 31, v4
	v_and_b32_e32 v1, v1, v5
	v_xor_b32_e32 v5, s13, v4
	v_xor_b32_e32 v4, s12, v4
	v_and_b32_e32 v2, v2, v4
	v_lshlrev_b32_e32 v4, 25, v13
	v_cmp_gt_i64_e64 s[12:13], 0, v[3:4]
	v_not_b32_e32 v4, v4
	v_ashrrev_i32_e32 v4, 31, v4
	v_and_b32_e32 v1, v1, v5
	v_xor_b32_e32 v5, s13, v4
	v_xor_b32_e32 v4, s12, v4
	v_and_b32_e32 v1, v1, v5
	v_and_b32_e32 v5, v2, v4
	v_lshlrev_b32_e32 v4, 24, v13
	v_cmp_gt_i64_e64 s[12:13], 0, v[3:4]
	v_not_b32_e32 v2, v4
	v_ashrrev_i32_e32 v2, 31, v2
	v_xor_b32_e32 v4, s13, v2
	v_xor_b32_e32 v35, s12, v2
	; wave barrier
	ds_read_b32 v33, v34 offset:4
	v_and_b32_e32 v2, v1, v4
	v_and_b32_e32 v1, v5, v35
	v_mbcnt_lo_u32_b32 v4, v1, 0
	v_mbcnt_hi_u32_b32 v35, v2, v4
	v_cmp_ne_u64_e64 s[12:13], 0, v[1:2]
	v_cmp_eq_u32_e64 s[14:15], 0, v35
	s_and_b64 s[14:15], s[12:13], s[14:15]
	; wave barrier
	s_and_saveexec_b64 s[12:13], s[14:15]
	s_cbranch_execz .LBB246_14
; %bb.13:                               ;   in Loop: Header=BB246_2 Depth=1
	v_bcnt_u32_b32 v1, v1, 0
	v_bcnt_u32_b32 v1, v2, v1
	s_waitcnt lgkmcnt(0)
	v_add_u32_e32 v1, v33, v1
	ds_write_b32 v34, v1 offset:4
.LBB246_14:                             ;   in Loop: Header=BB246_2 Depth=1
	s_or_b64 exec, exec, s[12:13]
	v_and_b32_e32 v1, 0xff, v12
	v_lshl_add_u32 v37, v1, 2, v9
	v_and_b32_e32 v1, 1, v12
	v_add_co_u32_e64 v2, s[12:13], -1, v1
	v_addc_co_u32_e64 v4, s[12:13], 0, -1, s[12:13]
	v_cmp_ne_u32_e64 s[12:13], 0, v1
	v_xor_b32_e32 v1, s13, v4
	v_lshlrev_b32_e32 v4, 30, v12
	v_xor_b32_e32 v2, s12, v2
	v_cmp_gt_i64_e64 s[12:13], 0, v[3:4]
	v_not_b32_e32 v4, v4
	v_ashrrev_i32_e32 v4, 31, v4
	v_and_b32_e32 v2, exec_lo, v2
	v_xor_b32_e32 v5, s13, v4
	v_xor_b32_e32 v4, s12, v4
	v_and_b32_e32 v2, v2, v4
	v_lshlrev_b32_e32 v4, 29, v12
	v_cmp_gt_i64_e64 s[12:13], 0, v[3:4]
	v_not_b32_e32 v4, v4
	v_and_b32_e32 v1, exec_hi, v1
	v_ashrrev_i32_e32 v4, 31, v4
	v_and_b32_e32 v1, v1, v5
	v_xor_b32_e32 v5, s13, v4
	v_xor_b32_e32 v4, s12, v4
	v_and_b32_e32 v2, v2, v4
	v_lshlrev_b32_e32 v4, 28, v12
	v_cmp_gt_i64_e64 s[12:13], 0, v[3:4]
	v_not_b32_e32 v4, v4
	v_ashrrev_i32_e32 v4, 31, v4
	v_and_b32_e32 v1, v1, v5
	v_xor_b32_e32 v5, s13, v4
	v_xor_b32_e32 v4, s12, v4
	v_and_b32_e32 v2, v2, v4
	v_lshlrev_b32_e32 v4, 27, v12
	v_cmp_gt_i64_e64 s[12:13], 0, v[3:4]
	v_not_b32_e32 v4, v4
	;; [unrolled: 8-line block ×4, first 2 shown]
	v_ashrrev_i32_e32 v4, 31, v4
	v_and_b32_e32 v1, v1, v5
	v_xor_b32_e32 v5, s13, v4
	v_xor_b32_e32 v4, s12, v4
	v_and_b32_e32 v1, v1, v5
	v_and_b32_e32 v5, v2, v4
	v_lshlrev_b32_e32 v4, 24, v12
	v_cmp_gt_i64_e64 s[12:13], 0, v[3:4]
	v_not_b32_e32 v2, v4
	v_ashrrev_i32_e32 v2, 31, v2
	v_xor_b32_e32 v4, s13, v2
	v_xor_b32_e32 v38, s12, v2
	; wave barrier
	ds_read_b32 v36, v37 offset:4
	v_and_b32_e32 v2, v1, v4
	v_and_b32_e32 v1, v5, v38
	v_mbcnt_lo_u32_b32 v4, v1, 0
	v_mbcnt_hi_u32_b32 v38, v2, v4
	v_cmp_ne_u64_e64 s[12:13], 0, v[1:2]
	v_cmp_eq_u32_e64 s[14:15], 0, v38
	s_and_b64 s[14:15], s[12:13], s[14:15]
	; wave barrier
	s_and_saveexec_b64 s[12:13], s[14:15]
	s_cbranch_execz .LBB246_16
; %bb.15:                               ;   in Loop: Header=BB246_2 Depth=1
	v_bcnt_u32_b32 v1, v1, 0
	v_bcnt_u32_b32 v1, v2, v1
	s_waitcnt lgkmcnt(0)
	v_add_u32_e32 v1, v36, v1
	ds_write_b32 v37, v1 offset:4
.LBB246_16:                             ;   in Loop: Header=BB246_2 Depth=1
	s_or_b64 exec, exec, s[12:13]
	v_and_b32_e32 v1, 0xff, v11
	v_lshl_add_u32 v40, v1, 2, v9
	v_and_b32_e32 v1, 1, v11
	v_add_co_u32_e64 v2, s[12:13], -1, v1
	v_addc_co_u32_e64 v4, s[12:13], 0, -1, s[12:13]
	v_cmp_ne_u32_e64 s[12:13], 0, v1
	v_xor_b32_e32 v1, s13, v4
	v_lshlrev_b32_e32 v4, 30, v11
	v_xor_b32_e32 v2, s12, v2
	v_cmp_gt_i64_e64 s[12:13], 0, v[3:4]
	v_not_b32_e32 v4, v4
	v_ashrrev_i32_e32 v4, 31, v4
	v_and_b32_e32 v2, exec_lo, v2
	v_xor_b32_e32 v5, s13, v4
	v_xor_b32_e32 v4, s12, v4
	v_and_b32_e32 v2, v2, v4
	v_lshlrev_b32_e32 v4, 29, v11
	v_cmp_gt_i64_e64 s[12:13], 0, v[3:4]
	v_not_b32_e32 v4, v4
	v_and_b32_e32 v1, exec_hi, v1
	v_ashrrev_i32_e32 v4, 31, v4
	v_and_b32_e32 v1, v1, v5
	v_xor_b32_e32 v5, s13, v4
	v_xor_b32_e32 v4, s12, v4
	v_and_b32_e32 v2, v2, v4
	v_lshlrev_b32_e32 v4, 28, v11
	v_cmp_gt_i64_e64 s[12:13], 0, v[3:4]
	v_not_b32_e32 v4, v4
	v_ashrrev_i32_e32 v4, 31, v4
	v_and_b32_e32 v1, v1, v5
	v_xor_b32_e32 v5, s13, v4
	v_xor_b32_e32 v4, s12, v4
	v_and_b32_e32 v2, v2, v4
	v_lshlrev_b32_e32 v4, 27, v11
	v_cmp_gt_i64_e64 s[12:13], 0, v[3:4]
	v_not_b32_e32 v4, v4
	;; [unrolled: 8-line block ×4, first 2 shown]
	v_ashrrev_i32_e32 v4, 31, v4
	v_and_b32_e32 v1, v1, v5
	v_xor_b32_e32 v5, s13, v4
	v_xor_b32_e32 v4, s12, v4
	v_and_b32_e32 v1, v1, v5
	v_and_b32_e32 v5, v2, v4
	v_lshlrev_b32_e32 v4, 24, v11
	v_cmp_gt_i64_e64 s[12:13], 0, v[3:4]
	v_not_b32_e32 v2, v4
	v_ashrrev_i32_e32 v2, 31, v2
	v_xor_b32_e32 v4, s13, v2
	v_xor_b32_e32 v41, s12, v2
	; wave barrier
	ds_read_b32 v39, v40 offset:4
	v_and_b32_e32 v2, v1, v4
	v_and_b32_e32 v1, v5, v41
	v_mbcnt_lo_u32_b32 v4, v1, 0
	v_mbcnt_hi_u32_b32 v41, v2, v4
	v_cmp_ne_u64_e64 s[12:13], 0, v[1:2]
	v_cmp_eq_u32_e64 s[14:15], 0, v41
	s_and_b64 s[14:15], s[12:13], s[14:15]
	; wave barrier
	s_and_saveexec_b64 s[12:13], s[14:15]
	s_cbranch_execz .LBB246_18
; %bb.17:                               ;   in Loop: Header=BB246_2 Depth=1
	v_bcnt_u32_b32 v1, v1, 0
	v_bcnt_u32_b32 v1, v2, v1
	s_waitcnt lgkmcnt(0)
	v_add_u32_e32 v1, v39, v1
	ds_write_b32 v40, v1 offset:4
.LBB246_18:                             ;   in Loop: Header=BB246_2 Depth=1
	s_or_b64 exec, exec, s[12:13]
	; wave barrier
	s_waitcnt lgkmcnt(0)
	; wave barrier
	ds_read2_b32 v[4:5], v8 offset0:1 offset1:2
	ds_read2_b32 v[1:2], v8 offset0:3 offset1:4
	s_waitcnt lgkmcnt(1)
	v_add_u32_e32 v42, v5, v4
	s_waitcnt lgkmcnt(0)
	v_add3_u32 v2, v42, v1, v2
	s_nop 1
	v_mov_b32_dpp v42, v2 row_shr:1 row_mask:0xf bank_mask:0xf
	v_cndmask_b32_e64 v42, v42, 0, vcc
	v_add_u32_e32 v2, v42, v2
	s_nop 1
	v_mov_b32_dpp v42, v2 row_shr:2 row_mask:0xf bank_mask:0xf
	v_cndmask_b32_e64 v42, 0, v42, s[0:1]
	v_add_u32_e32 v2, v2, v42
	s_nop 1
	v_mov_b32_dpp v42, v2 row_shr:4 row_mask:0xf bank_mask:0xf
	v_cndmask_b32_e64 v42, 0, v42, s[2:3]
	;; [unrolled: 4-line block ×3, first 2 shown]
	v_add_u32_e32 v2, v2, v42
	s_nop 1
	v_mov_b32_dpp v42, v2 row_bcast:15 row_mask:0xf bank_mask:0xf
	v_cndmask_b32_e64 v42, v42, 0, s[6:7]
	v_add_u32_e32 v2, v2, v42
	s_nop 1
	v_mov_b32_dpp v42, v2 row_bcast:31 row_mask:0xf bank_mask:0xf
	v_cndmask_b32_e64 v42, 0, v42, s[8:9]
	v_add_u32_e32 v2, v2, v42
	s_and_saveexec_b64 s[12:13], s[10:11]
	s_cbranch_execz .LBB246_1
; %bb.19:                               ;   in Loop: Header=BB246_2 Depth=1
	ds_write_b32 v3, v2
	s_branch .LBB246_1
.LBB246_20:
	s_add_u32 s0, s18, s20
	s_addc_u32 s1, s19, 0
	global_store_byte v0, v1, s[0:1]
	global_store_byte v0, v2, s[0:1] offset:64
	global_store_byte v0, v11, s[0:1] offset:128
	global_store_byte v0, v12, s[0:1] offset:192
	global_store_byte v0, v13, s[0:1] offset:256
	global_store_byte v0, v14, s[0:1] offset:320
	global_store_byte v0, v15, s[0:1] offset:384
	global_store_byte v0, v16, s[0:1] offset:448
	s_endpgm
	.section	.rodata,"a",@progbits
	.p2align	6, 0x0
	.amdhsa_kernel _Z16sort_keys_kernelI22helper_blocked_stripedaLj64ELj8ELj10EEvPKT0_PS1_
		.amdhsa_group_segment_fixed_size 1040
		.amdhsa_private_segment_fixed_size 0
		.amdhsa_kernarg_size 272
		.amdhsa_user_sgpr_count 6
		.amdhsa_user_sgpr_private_segment_buffer 1
		.amdhsa_user_sgpr_dispatch_ptr 0
		.amdhsa_user_sgpr_queue_ptr 0
		.amdhsa_user_sgpr_kernarg_segment_ptr 1
		.amdhsa_user_sgpr_dispatch_id 0
		.amdhsa_user_sgpr_flat_scratch_init 0
		.amdhsa_user_sgpr_private_segment_size 0
		.amdhsa_uses_dynamic_stack 0
		.amdhsa_system_sgpr_private_segment_wavefront_offset 0
		.amdhsa_system_sgpr_workgroup_id_x 1
		.amdhsa_system_sgpr_workgroup_id_y 0
		.amdhsa_system_sgpr_workgroup_id_z 0
		.amdhsa_system_sgpr_workgroup_info 0
		.amdhsa_system_vgpr_workitem_id 2
		.amdhsa_next_free_vgpr 43
		.amdhsa_next_free_sgpr 25
		.amdhsa_reserve_vcc 1
		.amdhsa_reserve_flat_scratch 0
		.amdhsa_float_round_mode_32 0
		.amdhsa_float_round_mode_16_64 0
		.amdhsa_float_denorm_mode_32 3
		.amdhsa_float_denorm_mode_16_64 3
		.amdhsa_dx10_clamp 1
		.amdhsa_ieee_mode 1
		.amdhsa_fp16_overflow 0
		.amdhsa_exception_fp_ieee_invalid_op 0
		.amdhsa_exception_fp_denorm_src 0
		.amdhsa_exception_fp_ieee_div_zero 0
		.amdhsa_exception_fp_ieee_overflow 0
		.amdhsa_exception_fp_ieee_underflow 0
		.amdhsa_exception_fp_ieee_inexact 0
		.amdhsa_exception_int_div_zero 0
	.end_amdhsa_kernel
	.section	.text._Z16sort_keys_kernelI22helper_blocked_stripedaLj64ELj8ELj10EEvPKT0_PS1_,"axG",@progbits,_Z16sort_keys_kernelI22helper_blocked_stripedaLj64ELj8ELj10EEvPKT0_PS1_,comdat
.Lfunc_end246:
	.size	_Z16sort_keys_kernelI22helper_blocked_stripedaLj64ELj8ELj10EEvPKT0_PS1_, .Lfunc_end246-_Z16sort_keys_kernelI22helper_blocked_stripedaLj64ELj8ELj10EEvPKT0_PS1_
                                        ; -- End function
	.set _Z16sort_keys_kernelI22helper_blocked_stripedaLj64ELj8ELj10EEvPKT0_PS1_.num_vgpr, 43
	.set _Z16sort_keys_kernelI22helper_blocked_stripedaLj64ELj8ELj10EEvPKT0_PS1_.num_agpr, 0
	.set _Z16sort_keys_kernelI22helper_blocked_stripedaLj64ELj8ELj10EEvPKT0_PS1_.numbered_sgpr, 25
	.set _Z16sort_keys_kernelI22helper_blocked_stripedaLj64ELj8ELj10EEvPKT0_PS1_.num_named_barrier, 0
	.set _Z16sort_keys_kernelI22helper_blocked_stripedaLj64ELj8ELj10EEvPKT0_PS1_.private_seg_size, 0
	.set _Z16sort_keys_kernelI22helper_blocked_stripedaLj64ELj8ELj10EEvPKT0_PS1_.uses_vcc, 1
	.set _Z16sort_keys_kernelI22helper_blocked_stripedaLj64ELj8ELj10EEvPKT0_PS1_.uses_flat_scratch, 0
	.set _Z16sort_keys_kernelI22helper_blocked_stripedaLj64ELj8ELj10EEvPKT0_PS1_.has_dyn_sized_stack, 0
	.set _Z16sort_keys_kernelI22helper_blocked_stripedaLj64ELj8ELj10EEvPKT0_PS1_.has_recursion, 0
	.set _Z16sort_keys_kernelI22helper_blocked_stripedaLj64ELj8ELj10EEvPKT0_PS1_.has_indirect_call, 0
	.section	.AMDGPU.csdata,"",@progbits
; Kernel info:
; codeLenInByte = 4412
; TotalNumSgprs: 29
; NumVgprs: 43
; ScratchSize: 0
; MemoryBound: 0
; FloatMode: 240
; IeeeMode: 1
; LDSByteSize: 1040 bytes/workgroup (compile time only)
; SGPRBlocks: 3
; VGPRBlocks: 10
; NumSGPRsForWavesPerEU: 29
; NumVGPRsForWavesPerEU: 43
; Occupancy: 5
; WaveLimiterHint : 0
; COMPUTE_PGM_RSRC2:SCRATCH_EN: 0
; COMPUTE_PGM_RSRC2:USER_SGPR: 6
; COMPUTE_PGM_RSRC2:TRAP_HANDLER: 0
; COMPUTE_PGM_RSRC2:TGID_X_EN: 1
; COMPUTE_PGM_RSRC2:TGID_Y_EN: 0
; COMPUTE_PGM_RSRC2:TGID_Z_EN: 0
; COMPUTE_PGM_RSRC2:TIDIG_COMP_CNT: 2
	.section	.text._Z17sort_pairs_kernelI22helper_blocked_stripedaLj64ELj8ELj10EEvPKT0_PS1_,"axG",@progbits,_Z17sort_pairs_kernelI22helper_blocked_stripedaLj64ELj8ELj10EEvPKT0_PS1_,comdat
	.protected	_Z17sort_pairs_kernelI22helper_blocked_stripedaLj64ELj8ELj10EEvPKT0_PS1_ ; -- Begin function _Z17sort_pairs_kernelI22helper_blocked_stripedaLj64ELj8ELj10EEvPKT0_PS1_
	.globl	_Z17sort_pairs_kernelI22helper_blocked_stripedaLj64ELj8ELj10EEvPKT0_PS1_
	.p2align	8
	.type	_Z17sort_pairs_kernelI22helper_blocked_stripedaLj64ELj8ELj10EEvPKT0_PS1_,@function
_Z17sort_pairs_kernelI22helper_blocked_stripedaLj64ELj8ELj10EEvPKT0_PS1_: ; @_Z17sort_pairs_kernelI22helper_blocked_stripedaLj64ELj8ELj10EEvPKT0_PS1_
; %bb.0:
	s_load_dwordx4 s[16:19], s[4:5], 0x0
	s_load_dword s25, s[4:5], 0x1c
	s_lshl_b32 s20, s6, 9
	v_lshlrev_b32_e32 v3, 3, v0
	v_mbcnt_lo_u32_b32 v6, -1, 0
	s_waitcnt lgkmcnt(0)
	s_add_u32 s0, s16, s20
	s_addc_u32 s1, s17, 0
	global_load_dwordx2 v[4:5], v3, s[0:1]
	s_lshr_b32 s27, s25, 16
	v_mbcnt_hi_u32_b32 v6, -1, v6
	s_and_b32 s25, s25, 0xffff
	v_mad_u32_u24 v1, v2, s27, v1
	v_subrev_co_u32_e64 v12, s[14:15], 1, v6
	v_and_b32_e32 v13, 64, v6
	v_mad_u32_u24 v1, v1, s25, v0
	s_movk_i32 s21, 0xff00
	v_mov_b32_e32 v11, 1
	v_and_b32_e32 v9, 15, v6
	v_and_b32_e32 v10, 16, v6
	v_cmp_lt_i32_e64 s[16:17], v12, v13
	v_lshrrev_b32_e32 v1, 4, v1
	v_cmp_eq_u32_e64 s[2:3], 0, v9
	v_cmp_lt_u32_e64 s[4:5], 1, v9
	v_cmp_lt_u32_e64 s[6:7], 3, v9
	;; [unrolled: 1-line block ×3, first 2 shown]
	v_cmp_eq_u32_e64 s[10:11], 0, v10
	v_cndmask_b32_e64 v9, v12, v6, s[16:17]
	v_and_b32_e32 v10, 0xffffffc, v1
	s_movk_i32 s26, 0x100
	v_cmp_eq_u32_e64 s[12:13], 0, v0
	v_mov_b32_e32 v3, 0
	s_mov_b32 s22, 10
	s_movk_i32 s23, 0x80
	s_movk_i32 s24, 0x8000
	v_lshlrev_b32_e32 v7, 4, v0
	v_cmp_eq_u32_e32 vcc, 63, v0
	v_lshlrev_b32_e32 v8, 3, v6
	v_cmp_lt_u32_e64 s[0:1], 31, v6
	v_lshlrev_b32_e32 v9, 2, v9
	s_or_b64 s[16:17], s[12:13], s[14:15]
	s_mov_b32 s25, 0xc0c0004
	s_waitcnt vmcnt(0)
	v_and_b32_e32 v1, 0xffffff00, v4
	v_add_u16_e32 v2, 1, v4
	v_and_b32_sdwa v12, v4, s21 dst_sel:DWORD dst_unused:UNUSED_PAD src0_sel:WORD_1 src1_sel:DWORD
	v_add_u16_sdwa v13, v4, v11 dst_sel:DWORD dst_unused:UNUSED_PAD src0_sel:WORD_1 src1_sel:DWORD
	v_and_b32_e32 v14, 0xffffff00, v5
	v_add_u16_e32 v15, 1, v5
	v_and_b32_sdwa v16, v5, s21 dst_sel:DWORD dst_unused:UNUSED_PAD src0_sel:WORD_1 src1_sel:DWORD
	v_add_u16_sdwa v11, v5, v11 dst_sel:DWORD dst_unused:UNUSED_PAD src0_sel:WORD_1 src1_sel:DWORD
	v_or_b32_sdwa v1, v1, v2 dst_sel:DWORD dst_unused:UNUSED_PAD src0_sel:DWORD src1_sel:BYTE_0
	v_or_b32_sdwa v2, v12, v13 dst_sel:DWORD dst_unused:UNUSED_PAD src0_sel:DWORD src1_sel:BYTE_0
	;; [unrolled: 1-line block ×4, first 2 shown]
	v_add_u16_e32 v1, 0x100, v1
	v_add_u16_sdwa v2, v2, s26 dst_sel:WORD_1 dst_unused:UNUSED_PAD src0_sel:DWORD src1_sel:DWORD
	v_add_u16_e32 v12, 0x100, v12
	v_add_u16_sdwa v11, v11, s26 dst_sel:WORD_1 dst_unused:UNUSED_PAD src0_sel:DWORD src1_sel:DWORD
	v_or_b32_e32 v1, v1, v2
	v_or_b32_e32 v2, v12, v11
	s_branch .LBB247_2
.LBB247_1:                              ;   in Loop: Header=BB247_2 Depth=1
	s_or_b64 exec, exec, s[12:13]
	ds_bpermute_b32 v2, v9, v2
	s_waitcnt lgkmcnt(0)
	; wave barrier
	s_add_i32 s22, s22, -1
	s_cmp_eq_u32 s22, 0
	v_cndmask_b32_e64 v2, v2, 0, s[16:17]
	v_add_u32_e32 v4, v2, v4
	v_add_u32_e32 v5, v4, v5
	;; [unrolled: 1-line block ×3, first 2 shown]
	ds_write2_b32 v7, v2, v4 offset0:1 offset1:2
	ds_write2_b32 v7, v5, v1 offset0:3 offset1:4
	s_waitcnt lgkmcnt(0)
	; wave barrier
	ds_read_b32 v1, v28 offset:4
	ds_read_b32 v2, v30 offset:4
	;; [unrolled: 1-line block ×8, first 2 shown]
	s_waitcnt lgkmcnt(7)
	v_add_u32_e32 v1, v1, v27
	s_waitcnt lgkmcnt(6)
	v_add3_u32 v2, v31, v29, v2
	s_waitcnt lgkmcnt(5)
	v_add3_u32 v4, v34, v32, v4
	;; [unrolled: 2-line block ×3, first 2 shown]
	s_waitcnt lgkmcnt(0)
	; wave barrier
	ds_write_b8 v1, v18
	ds_write_b8 v2, v17
	;; [unrolled: 1-line block ×4, first 2 shown]
	v_add3_u32 v15, v40, v38, v28
	ds_write_b8 v15, v14
	v_add3_u32 v14, v43, v41, v30
	ds_write_b8 v14, v13
	;; [unrolled: 2-line block ×4, first 2 shown]
	s_waitcnt lgkmcnt(0)
	; wave barrier
	ds_read_u8 v27, v0
	ds_read_u8 v28, v0 offset:64
	ds_read_u8 v29, v0 offset:128
	;; [unrolled: 1-line block ×7, first 2 shown]
	s_waitcnt lgkmcnt(0)
	; wave barrier
	ds_write_b8 v1, v19
	ds_write_b8 v2, v20
	;; [unrolled: 1-line block ×8, first 2 shown]
	v_xor_b32_e32 v20, 0xffffff80, v28
	v_xor_b32_e32 v22, 0xffffff80, v30
	s_waitcnt lgkmcnt(0)
	; wave barrier
	ds_read_u8 v11, v0
	ds_read_u8 v12, v0 offset:64
	ds_read_u8 v13, v0 offset:128
	ds_read_u8 v14, v0 offset:192
	ds_read_u8 v15, v0 offset:256
	ds_read_u8 v16, v0 offset:320
	ds_read_u8 v17, v0 offset:384
	ds_read_u8 v18, v0 offset:448
	v_xor_b32_e32 v19, 0xffffff80, v27
	v_xor_b32_e32 v21, 0xffffff80, v29
	v_lshlrev_b16_e32 v1, 8, v20
	v_lshlrev_b16_e32 v2, 8, v22
	v_xor_b32_e32 v24, 0xffffff80, v32
	v_xor_b32_e32 v26, 0xffffff80, v34
	v_or_b32_sdwa v1, v19, v1 dst_sel:DWORD dst_unused:UNUSED_PAD src0_sel:BYTE_0 src1_sel:DWORD
	v_or_b32_sdwa v2, v21, v2 dst_sel:WORD_1 dst_unused:UNUSED_PAD src0_sel:BYTE_0 src1_sel:DWORD
	v_xor_b32_e32 v23, 0xffffff80, v31
	v_xor_b32_e32 v25, 0xffffff80, v33
	v_or_b32_sdwa v4, v1, v2 dst_sel:DWORD dst_unused:UNUSED_PAD src0_sel:WORD_0 src1_sel:DWORD
	v_lshlrev_b16_e32 v1, 8, v24
	v_lshlrev_b16_e32 v2, 8, v26
	v_or_b32_sdwa v1, v23, v1 dst_sel:DWORD dst_unused:UNUSED_PAD src0_sel:BYTE_0 src1_sel:DWORD
	v_or_b32_sdwa v2, v25, v2 dst_sel:WORD_1 dst_unused:UNUSED_PAD src0_sel:BYTE_0 src1_sel:DWORD
	v_or_b32_sdwa v5, v1, v2 dst_sel:DWORD dst_unused:UNUSED_PAD src0_sel:WORD_0 src1_sel:DWORD
	s_waitcnt lgkmcnt(6)
	v_perm_b32 v1, v11, v12, s25
	s_waitcnt lgkmcnt(4)
	v_perm_b32 v2, v13, v14, s25
	v_lshl_or_b32 v1, v2, 16, v1
	s_waitcnt lgkmcnt(2)
	v_perm_b32 v2, v15, v16, s25
	s_waitcnt lgkmcnt(0)
	v_perm_b32 v27, v17, v18, s25
	v_lshl_or_b32 v2, v27, 16, v2
	s_cbranch_scc1 .LBB247_20
.LBB247_2:                              ; =>This Inner Loop Header: Depth=1
	v_and_b32_e32 v11, 0xffffff00, v4
	v_xor_b32_e32 v12, 0x80, v4
	v_or_b32_sdwa v11, v12, v11 dst_sel:DWORD dst_unused:UNUSED_PAD src0_sel:BYTE_0 src1_sel:DWORD
	v_and_b32_sdwa v12, v4, s21 dst_sel:DWORD dst_unused:UNUSED_PAD src0_sel:WORD_1 src1_sel:DWORD
	v_xor_b32_sdwa v4, v4, s23 dst_sel:DWORD dst_unused:UNUSED_PAD src0_sel:WORD_1 src1_sel:DWORD
	v_or_b32_sdwa v4, v4, v12 dst_sel:DWORD dst_unused:UNUSED_PAD src0_sel:BYTE_0 src1_sel:DWORD
	v_add_u16_e32 v11, 0x8000, v11
	v_add_u16_sdwa v4, v4, s24 dst_sel:WORD_1 dst_unused:UNUSED_PAD src0_sel:DWORD src1_sel:DWORD
	v_or_b32_e32 v4, v11, v4
	v_and_b32_e32 v11, 0xffffff00, v5
	v_xor_b32_e32 v12, 0x80, v5
	v_or_b32_sdwa v11, v12, v11 dst_sel:DWORD dst_unused:UNUSED_PAD src0_sel:BYTE_0 src1_sel:DWORD
	v_and_b32_sdwa v12, v5, s21 dst_sel:DWORD dst_unused:UNUSED_PAD src0_sel:WORD_1 src1_sel:DWORD
	v_xor_b32_sdwa v5, v5, s23 dst_sel:DWORD dst_unused:UNUSED_PAD src0_sel:WORD_1 src1_sel:DWORD
	v_or_b32_sdwa v5, v5, v12 dst_sel:DWORD dst_unused:UNUSED_PAD src0_sel:BYTE_0 src1_sel:DWORD
	v_add_u16_e32 v11, 0x8000, v11
	v_add_u16_sdwa v5, v5, s24 dst_sel:WORD_1 dst_unused:UNUSED_PAD src0_sel:DWORD src1_sel:DWORD
	v_or_b32_e32 v5, v11, v5
	ds_write_b64 v8, v[4:5]
	; wave barrier
	ds_read_u8 v18, v6
	ds_read_u8 v17, v6 offset:64
	ds_read_u8 v16, v6 offset:128
	ds_read_u8 v15, v6 offset:192
	ds_read_u8 v14, v6 offset:256
	ds_read_u8 v13, v6 offset:320
	ds_read_u8 v12, v6 offset:384
	ds_read_u8 v11, v6 offset:448
	; wave barrier
	ds_write_b64 v8, v[1:2]
	s_waitcnt lgkmcnt(8)
	v_and_b32_e32 v1, 1, v18
	v_add_co_u32_e64 v2, s[12:13], -1, v1
	v_addc_co_u32_e64 v4, s[12:13], 0, -1, s[12:13]
	v_cmp_ne_u32_e64 s[12:13], 0, v1
	v_xor_b32_e32 v1, s13, v4
	v_lshlrev_b32_e32 v4, 30, v18
	v_xor_b32_e32 v2, s12, v2
	v_cmp_gt_i64_e64 s[12:13], 0, v[3:4]
	v_not_b32_e32 v4, v4
	v_ashrrev_i32_e32 v4, 31, v4
	v_and_b32_e32 v2, exec_lo, v2
	v_xor_b32_e32 v5, s13, v4
	v_xor_b32_e32 v4, s12, v4
	v_and_b32_e32 v2, v2, v4
	v_lshlrev_b32_e32 v4, 29, v18
	v_cmp_gt_i64_e64 s[12:13], 0, v[3:4]
	v_not_b32_e32 v4, v4
	v_and_b32_e32 v1, exec_hi, v1
	v_ashrrev_i32_e32 v4, 31, v4
	v_and_b32_e32 v1, v1, v5
	v_xor_b32_e32 v5, s13, v4
	v_xor_b32_e32 v4, s12, v4
	v_and_b32_e32 v2, v2, v4
	v_lshlrev_b32_e32 v4, 28, v18
	v_cmp_gt_i64_e64 s[12:13], 0, v[3:4]
	v_not_b32_e32 v4, v4
	v_ashrrev_i32_e32 v4, 31, v4
	v_and_b32_e32 v1, v1, v5
	v_xor_b32_e32 v5, s13, v4
	v_xor_b32_e32 v4, s12, v4
	v_and_b32_e32 v2, v2, v4
	v_lshlrev_b32_e32 v4, 27, v18
	v_cmp_gt_i64_e64 s[12:13], 0, v[3:4]
	v_not_b32_e32 v4, v4
	;; [unrolled: 8-line block ×4, first 2 shown]
	v_ashrrev_i32_e32 v4, 31, v4
	v_and_b32_e32 v1, v1, v5
	v_xor_b32_e32 v5, s13, v4
	v_xor_b32_e32 v4, s12, v4
	v_and_b32_e32 v1, v1, v5
	v_and_b32_e32 v5, v2, v4
	v_lshlrev_b32_e32 v4, 24, v18
	v_cmp_gt_i64_e64 s[12:13], 0, v[3:4]
	v_not_b32_e32 v2, v4
	v_ashrrev_i32_e32 v2, 31, v2
	v_xor_b32_e32 v4, s13, v2
	v_xor_b32_e32 v19, s12, v2
	; wave barrier
	v_and_b32_e32 v2, v1, v4
	v_and_b32_e32 v1, v5, v19
	ds_read_u8 v19, v6
	ds_read_u8 v20, v6 offset:64
	ds_read_u8 v21, v6 offset:128
	;; [unrolled: 1-line block ×7, first 2 shown]
	v_and_b32_e32 v4, 0xff, v18
	v_lshl_add_u32 v28, v4, 2, v10
	v_mbcnt_lo_u32_b32 v4, v1, 0
	v_mbcnt_hi_u32_b32 v27, v2, v4
	v_cmp_ne_u64_e64 s[12:13], 0, v[1:2]
	v_cmp_eq_u32_e64 s[14:15], 0, v27
	s_and_b64 s[14:15], s[12:13], s[14:15]
	s_waitcnt lgkmcnt(0)
	; wave barrier
	ds_write2_b32 v7, v3, v3 offset0:1 offset1:2
	ds_write2_b32 v7, v3, v3 offset0:3 offset1:4
	s_waitcnt lgkmcnt(0)
	; wave barrier
	; wave barrier
	s_and_saveexec_b64 s[12:13], s[14:15]
; %bb.3:                                ;   in Loop: Header=BB247_2 Depth=1
	v_bcnt_u32_b32 v1, v1, 0
	v_bcnt_u32_b32 v1, v2, v1
	ds_write_b32 v28, v1 offset:4
; %bb.4:                                ;   in Loop: Header=BB247_2 Depth=1
	s_or_b64 exec, exec, s[12:13]
	v_and_b32_e32 v1, 0xff, v17
	v_lshl_add_u32 v30, v1, 2, v10
	v_and_b32_e32 v1, 1, v17
	v_add_co_u32_e64 v2, s[12:13], -1, v1
	v_addc_co_u32_e64 v4, s[12:13], 0, -1, s[12:13]
	v_cmp_ne_u32_e64 s[12:13], 0, v1
	v_xor_b32_e32 v1, s13, v4
	v_lshlrev_b32_e32 v4, 30, v17
	v_xor_b32_e32 v2, s12, v2
	v_cmp_gt_i64_e64 s[12:13], 0, v[3:4]
	v_not_b32_e32 v4, v4
	v_ashrrev_i32_e32 v4, 31, v4
	v_and_b32_e32 v2, exec_lo, v2
	v_xor_b32_e32 v5, s13, v4
	v_xor_b32_e32 v4, s12, v4
	v_and_b32_e32 v2, v2, v4
	v_lshlrev_b32_e32 v4, 29, v17
	v_cmp_gt_i64_e64 s[12:13], 0, v[3:4]
	v_not_b32_e32 v4, v4
	v_and_b32_e32 v1, exec_hi, v1
	v_ashrrev_i32_e32 v4, 31, v4
	v_and_b32_e32 v1, v1, v5
	v_xor_b32_e32 v5, s13, v4
	v_xor_b32_e32 v4, s12, v4
	v_and_b32_e32 v2, v2, v4
	v_lshlrev_b32_e32 v4, 28, v17
	v_cmp_gt_i64_e64 s[12:13], 0, v[3:4]
	v_not_b32_e32 v4, v4
	v_ashrrev_i32_e32 v4, 31, v4
	v_and_b32_e32 v1, v1, v5
	v_xor_b32_e32 v5, s13, v4
	v_xor_b32_e32 v4, s12, v4
	v_and_b32_e32 v2, v2, v4
	v_lshlrev_b32_e32 v4, 27, v17
	v_cmp_gt_i64_e64 s[12:13], 0, v[3:4]
	v_not_b32_e32 v4, v4
	;; [unrolled: 8-line block ×4, first 2 shown]
	v_ashrrev_i32_e32 v4, 31, v4
	v_and_b32_e32 v1, v1, v5
	v_xor_b32_e32 v5, s13, v4
	v_xor_b32_e32 v4, s12, v4
	v_and_b32_e32 v1, v1, v5
	v_and_b32_e32 v5, v2, v4
	v_lshlrev_b32_e32 v4, 24, v17
	v_cmp_gt_i64_e64 s[12:13], 0, v[3:4]
	v_not_b32_e32 v2, v4
	v_ashrrev_i32_e32 v2, 31, v2
	v_xor_b32_e32 v4, s13, v2
	v_xor_b32_e32 v31, s12, v2
	; wave barrier
	ds_read_b32 v29, v30 offset:4
	v_and_b32_e32 v2, v1, v4
	v_and_b32_e32 v1, v5, v31
	v_mbcnt_lo_u32_b32 v4, v1, 0
	v_mbcnt_hi_u32_b32 v31, v2, v4
	v_cmp_ne_u64_e64 s[12:13], 0, v[1:2]
	v_cmp_eq_u32_e64 s[14:15], 0, v31
	s_and_b64 s[14:15], s[12:13], s[14:15]
	; wave barrier
	s_and_saveexec_b64 s[12:13], s[14:15]
	s_cbranch_execz .LBB247_6
; %bb.5:                                ;   in Loop: Header=BB247_2 Depth=1
	v_bcnt_u32_b32 v1, v1, 0
	v_bcnt_u32_b32 v1, v2, v1
	s_waitcnt lgkmcnt(0)
	v_add_u32_e32 v1, v29, v1
	ds_write_b32 v30, v1 offset:4
.LBB247_6:                              ;   in Loop: Header=BB247_2 Depth=1
	s_or_b64 exec, exec, s[12:13]
	v_and_b32_e32 v1, 0xff, v16
	v_lshl_add_u32 v33, v1, 2, v10
	v_and_b32_e32 v1, 1, v16
	v_add_co_u32_e64 v2, s[12:13], -1, v1
	v_addc_co_u32_e64 v4, s[12:13], 0, -1, s[12:13]
	v_cmp_ne_u32_e64 s[12:13], 0, v1
	v_xor_b32_e32 v1, s13, v4
	v_lshlrev_b32_e32 v4, 30, v16
	v_xor_b32_e32 v2, s12, v2
	v_cmp_gt_i64_e64 s[12:13], 0, v[3:4]
	v_not_b32_e32 v4, v4
	v_ashrrev_i32_e32 v4, 31, v4
	v_and_b32_e32 v2, exec_lo, v2
	v_xor_b32_e32 v5, s13, v4
	v_xor_b32_e32 v4, s12, v4
	v_and_b32_e32 v2, v2, v4
	v_lshlrev_b32_e32 v4, 29, v16
	v_cmp_gt_i64_e64 s[12:13], 0, v[3:4]
	v_not_b32_e32 v4, v4
	v_and_b32_e32 v1, exec_hi, v1
	v_ashrrev_i32_e32 v4, 31, v4
	v_and_b32_e32 v1, v1, v5
	v_xor_b32_e32 v5, s13, v4
	v_xor_b32_e32 v4, s12, v4
	v_and_b32_e32 v2, v2, v4
	v_lshlrev_b32_e32 v4, 28, v16
	v_cmp_gt_i64_e64 s[12:13], 0, v[3:4]
	v_not_b32_e32 v4, v4
	v_ashrrev_i32_e32 v4, 31, v4
	v_and_b32_e32 v1, v1, v5
	v_xor_b32_e32 v5, s13, v4
	v_xor_b32_e32 v4, s12, v4
	v_and_b32_e32 v2, v2, v4
	v_lshlrev_b32_e32 v4, 27, v16
	v_cmp_gt_i64_e64 s[12:13], 0, v[3:4]
	v_not_b32_e32 v4, v4
	;; [unrolled: 8-line block ×4, first 2 shown]
	v_ashrrev_i32_e32 v4, 31, v4
	v_and_b32_e32 v1, v1, v5
	v_xor_b32_e32 v5, s13, v4
	v_xor_b32_e32 v4, s12, v4
	v_and_b32_e32 v1, v1, v5
	v_and_b32_e32 v5, v2, v4
	v_lshlrev_b32_e32 v4, 24, v16
	v_cmp_gt_i64_e64 s[12:13], 0, v[3:4]
	v_not_b32_e32 v2, v4
	v_ashrrev_i32_e32 v2, 31, v2
	v_xor_b32_e32 v4, s13, v2
	v_xor_b32_e32 v34, s12, v2
	; wave barrier
	ds_read_b32 v32, v33 offset:4
	v_and_b32_e32 v2, v1, v4
	v_and_b32_e32 v1, v5, v34
	v_mbcnt_lo_u32_b32 v4, v1, 0
	v_mbcnt_hi_u32_b32 v34, v2, v4
	v_cmp_ne_u64_e64 s[12:13], 0, v[1:2]
	v_cmp_eq_u32_e64 s[14:15], 0, v34
	s_and_b64 s[14:15], s[12:13], s[14:15]
	; wave barrier
	s_and_saveexec_b64 s[12:13], s[14:15]
	s_cbranch_execz .LBB247_8
; %bb.7:                                ;   in Loop: Header=BB247_2 Depth=1
	v_bcnt_u32_b32 v1, v1, 0
	v_bcnt_u32_b32 v1, v2, v1
	s_waitcnt lgkmcnt(0)
	v_add_u32_e32 v1, v32, v1
	ds_write_b32 v33, v1 offset:4
.LBB247_8:                              ;   in Loop: Header=BB247_2 Depth=1
	s_or_b64 exec, exec, s[12:13]
	v_and_b32_e32 v1, 0xff, v15
	v_lshl_add_u32 v36, v1, 2, v10
	v_and_b32_e32 v1, 1, v15
	v_add_co_u32_e64 v2, s[12:13], -1, v1
	v_addc_co_u32_e64 v4, s[12:13], 0, -1, s[12:13]
	v_cmp_ne_u32_e64 s[12:13], 0, v1
	v_xor_b32_e32 v1, s13, v4
	v_lshlrev_b32_e32 v4, 30, v15
	v_xor_b32_e32 v2, s12, v2
	v_cmp_gt_i64_e64 s[12:13], 0, v[3:4]
	v_not_b32_e32 v4, v4
	v_ashrrev_i32_e32 v4, 31, v4
	v_and_b32_e32 v2, exec_lo, v2
	v_xor_b32_e32 v5, s13, v4
	v_xor_b32_e32 v4, s12, v4
	v_and_b32_e32 v2, v2, v4
	v_lshlrev_b32_e32 v4, 29, v15
	v_cmp_gt_i64_e64 s[12:13], 0, v[3:4]
	v_not_b32_e32 v4, v4
	v_and_b32_e32 v1, exec_hi, v1
	v_ashrrev_i32_e32 v4, 31, v4
	v_and_b32_e32 v1, v1, v5
	v_xor_b32_e32 v5, s13, v4
	v_xor_b32_e32 v4, s12, v4
	v_and_b32_e32 v2, v2, v4
	v_lshlrev_b32_e32 v4, 28, v15
	v_cmp_gt_i64_e64 s[12:13], 0, v[3:4]
	v_not_b32_e32 v4, v4
	v_ashrrev_i32_e32 v4, 31, v4
	v_and_b32_e32 v1, v1, v5
	v_xor_b32_e32 v5, s13, v4
	v_xor_b32_e32 v4, s12, v4
	v_and_b32_e32 v2, v2, v4
	v_lshlrev_b32_e32 v4, 27, v15
	v_cmp_gt_i64_e64 s[12:13], 0, v[3:4]
	v_not_b32_e32 v4, v4
	;; [unrolled: 8-line block ×4, first 2 shown]
	v_ashrrev_i32_e32 v4, 31, v4
	v_and_b32_e32 v1, v1, v5
	v_xor_b32_e32 v5, s13, v4
	v_xor_b32_e32 v4, s12, v4
	v_and_b32_e32 v1, v1, v5
	v_and_b32_e32 v5, v2, v4
	v_lshlrev_b32_e32 v4, 24, v15
	v_cmp_gt_i64_e64 s[12:13], 0, v[3:4]
	v_not_b32_e32 v2, v4
	v_ashrrev_i32_e32 v2, 31, v2
	v_xor_b32_e32 v4, s13, v2
	v_xor_b32_e32 v37, s12, v2
	; wave barrier
	ds_read_b32 v35, v36 offset:4
	v_and_b32_e32 v2, v1, v4
	v_and_b32_e32 v1, v5, v37
	v_mbcnt_lo_u32_b32 v4, v1, 0
	v_mbcnt_hi_u32_b32 v37, v2, v4
	v_cmp_ne_u64_e64 s[12:13], 0, v[1:2]
	v_cmp_eq_u32_e64 s[14:15], 0, v37
	s_and_b64 s[14:15], s[12:13], s[14:15]
	; wave barrier
	s_and_saveexec_b64 s[12:13], s[14:15]
	s_cbranch_execz .LBB247_10
; %bb.9:                                ;   in Loop: Header=BB247_2 Depth=1
	v_bcnt_u32_b32 v1, v1, 0
	v_bcnt_u32_b32 v1, v2, v1
	s_waitcnt lgkmcnt(0)
	v_add_u32_e32 v1, v35, v1
	ds_write_b32 v36, v1 offset:4
.LBB247_10:                             ;   in Loop: Header=BB247_2 Depth=1
	s_or_b64 exec, exec, s[12:13]
	v_and_b32_e32 v1, 0xff, v14
	v_lshl_add_u32 v39, v1, 2, v10
	v_and_b32_e32 v1, 1, v14
	v_add_co_u32_e64 v2, s[12:13], -1, v1
	v_addc_co_u32_e64 v4, s[12:13], 0, -1, s[12:13]
	v_cmp_ne_u32_e64 s[12:13], 0, v1
	v_xor_b32_e32 v1, s13, v4
	v_lshlrev_b32_e32 v4, 30, v14
	v_xor_b32_e32 v2, s12, v2
	v_cmp_gt_i64_e64 s[12:13], 0, v[3:4]
	v_not_b32_e32 v4, v4
	v_ashrrev_i32_e32 v4, 31, v4
	v_and_b32_e32 v2, exec_lo, v2
	v_xor_b32_e32 v5, s13, v4
	v_xor_b32_e32 v4, s12, v4
	v_and_b32_e32 v2, v2, v4
	v_lshlrev_b32_e32 v4, 29, v14
	v_cmp_gt_i64_e64 s[12:13], 0, v[3:4]
	v_not_b32_e32 v4, v4
	v_and_b32_e32 v1, exec_hi, v1
	v_ashrrev_i32_e32 v4, 31, v4
	v_and_b32_e32 v1, v1, v5
	v_xor_b32_e32 v5, s13, v4
	v_xor_b32_e32 v4, s12, v4
	v_and_b32_e32 v2, v2, v4
	v_lshlrev_b32_e32 v4, 28, v14
	v_cmp_gt_i64_e64 s[12:13], 0, v[3:4]
	v_not_b32_e32 v4, v4
	v_ashrrev_i32_e32 v4, 31, v4
	v_and_b32_e32 v1, v1, v5
	v_xor_b32_e32 v5, s13, v4
	v_xor_b32_e32 v4, s12, v4
	v_and_b32_e32 v2, v2, v4
	v_lshlrev_b32_e32 v4, 27, v14
	v_cmp_gt_i64_e64 s[12:13], 0, v[3:4]
	v_not_b32_e32 v4, v4
	;; [unrolled: 8-line block ×4, first 2 shown]
	v_ashrrev_i32_e32 v4, 31, v4
	v_and_b32_e32 v1, v1, v5
	v_xor_b32_e32 v5, s13, v4
	v_xor_b32_e32 v4, s12, v4
	v_and_b32_e32 v1, v1, v5
	v_and_b32_e32 v5, v2, v4
	v_lshlrev_b32_e32 v4, 24, v14
	v_cmp_gt_i64_e64 s[12:13], 0, v[3:4]
	v_not_b32_e32 v2, v4
	v_ashrrev_i32_e32 v2, 31, v2
	v_xor_b32_e32 v4, s13, v2
	v_xor_b32_e32 v40, s12, v2
	; wave barrier
	ds_read_b32 v38, v39 offset:4
	v_and_b32_e32 v2, v1, v4
	v_and_b32_e32 v1, v5, v40
	v_mbcnt_lo_u32_b32 v4, v1, 0
	v_mbcnt_hi_u32_b32 v40, v2, v4
	v_cmp_ne_u64_e64 s[12:13], 0, v[1:2]
	v_cmp_eq_u32_e64 s[14:15], 0, v40
	s_and_b64 s[14:15], s[12:13], s[14:15]
	; wave barrier
	s_and_saveexec_b64 s[12:13], s[14:15]
	s_cbranch_execz .LBB247_12
; %bb.11:                               ;   in Loop: Header=BB247_2 Depth=1
	v_bcnt_u32_b32 v1, v1, 0
	v_bcnt_u32_b32 v1, v2, v1
	s_waitcnt lgkmcnt(0)
	v_add_u32_e32 v1, v38, v1
	ds_write_b32 v39, v1 offset:4
.LBB247_12:                             ;   in Loop: Header=BB247_2 Depth=1
	s_or_b64 exec, exec, s[12:13]
	v_and_b32_e32 v1, 0xff, v13
	v_lshl_add_u32 v42, v1, 2, v10
	v_and_b32_e32 v1, 1, v13
	v_add_co_u32_e64 v2, s[12:13], -1, v1
	v_addc_co_u32_e64 v4, s[12:13], 0, -1, s[12:13]
	v_cmp_ne_u32_e64 s[12:13], 0, v1
	v_xor_b32_e32 v1, s13, v4
	v_lshlrev_b32_e32 v4, 30, v13
	v_xor_b32_e32 v2, s12, v2
	v_cmp_gt_i64_e64 s[12:13], 0, v[3:4]
	v_not_b32_e32 v4, v4
	v_ashrrev_i32_e32 v4, 31, v4
	v_and_b32_e32 v2, exec_lo, v2
	v_xor_b32_e32 v5, s13, v4
	v_xor_b32_e32 v4, s12, v4
	v_and_b32_e32 v2, v2, v4
	v_lshlrev_b32_e32 v4, 29, v13
	v_cmp_gt_i64_e64 s[12:13], 0, v[3:4]
	v_not_b32_e32 v4, v4
	v_and_b32_e32 v1, exec_hi, v1
	v_ashrrev_i32_e32 v4, 31, v4
	v_and_b32_e32 v1, v1, v5
	v_xor_b32_e32 v5, s13, v4
	v_xor_b32_e32 v4, s12, v4
	v_and_b32_e32 v2, v2, v4
	v_lshlrev_b32_e32 v4, 28, v13
	v_cmp_gt_i64_e64 s[12:13], 0, v[3:4]
	v_not_b32_e32 v4, v4
	v_ashrrev_i32_e32 v4, 31, v4
	v_and_b32_e32 v1, v1, v5
	v_xor_b32_e32 v5, s13, v4
	v_xor_b32_e32 v4, s12, v4
	v_and_b32_e32 v2, v2, v4
	v_lshlrev_b32_e32 v4, 27, v13
	v_cmp_gt_i64_e64 s[12:13], 0, v[3:4]
	v_not_b32_e32 v4, v4
	;; [unrolled: 8-line block ×4, first 2 shown]
	v_ashrrev_i32_e32 v4, 31, v4
	v_and_b32_e32 v1, v1, v5
	v_xor_b32_e32 v5, s13, v4
	v_xor_b32_e32 v4, s12, v4
	v_and_b32_e32 v1, v1, v5
	v_and_b32_e32 v5, v2, v4
	v_lshlrev_b32_e32 v4, 24, v13
	v_cmp_gt_i64_e64 s[12:13], 0, v[3:4]
	v_not_b32_e32 v2, v4
	v_ashrrev_i32_e32 v2, 31, v2
	v_xor_b32_e32 v4, s13, v2
	v_xor_b32_e32 v43, s12, v2
	; wave barrier
	ds_read_b32 v41, v42 offset:4
	v_and_b32_e32 v2, v1, v4
	v_and_b32_e32 v1, v5, v43
	v_mbcnt_lo_u32_b32 v4, v1, 0
	v_mbcnt_hi_u32_b32 v43, v2, v4
	v_cmp_ne_u64_e64 s[12:13], 0, v[1:2]
	v_cmp_eq_u32_e64 s[14:15], 0, v43
	s_and_b64 s[14:15], s[12:13], s[14:15]
	; wave barrier
	s_and_saveexec_b64 s[12:13], s[14:15]
	s_cbranch_execz .LBB247_14
; %bb.13:                               ;   in Loop: Header=BB247_2 Depth=1
	v_bcnt_u32_b32 v1, v1, 0
	v_bcnt_u32_b32 v1, v2, v1
	s_waitcnt lgkmcnt(0)
	v_add_u32_e32 v1, v41, v1
	ds_write_b32 v42, v1 offset:4
.LBB247_14:                             ;   in Loop: Header=BB247_2 Depth=1
	s_or_b64 exec, exec, s[12:13]
	v_and_b32_e32 v1, 0xff, v12
	v_lshl_add_u32 v45, v1, 2, v10
	v_and_b32_e32 v1, 1, v12
	v_add_co_u32_e64 v2, s[12:13], -1, v1
	v_addc_co_u32_e64 v4, s[12:13], 0, -1, s[12:13]
	v_cmp_ne_u32_e64 s[12:13], 0, v1
	v_xor_b32_e32 v1, s13, v4
	v_lshlrev_b32_e32 v4, 30, v12
	v_xor_b32_e32 v2, s12, v2
	v_cmp_gt_i64_e64 s[12:13], 0, v[3:4]
	v_not_b32_e32 v4, v4
	v_ashrrev_i32_e32 v4, 31, v4
	v_and_b32_e32 v2, exec_lo, v2
	v_xor_b32_e32 v5, s13, v4
	v_xor_b32_e32 v4, s12, v4
	v_and_b32_e32 v2, v2, v4
	v_lshlrev_b32_e32 v4, 29, v12
	v_cmp_gt_i64_e64 s[12:13], 0, v[3:4]
	v_not_b32_e32 v4, v4
	v_and_b32_e32 v1, exec_hi, v1
	v_ashrrev_i32_e32 v4, 31, v4
	v_and_b32_e32 v1, v1, v5
	v_xor_b32_e32 v5, s13, v4
	v_xor_b32_e32 v4, s12, v4
	v_and_b32_e32 v2, v2, v4
	v_lshlrev_b32_e32 v4, 28, v12
	v_cmp_gt_i64_e64 s[12:13], 0, v[3:4]
	v_not_b32_e32 v4, v4
	v_ashrrev_i32_e32 v4, 31, v4
	v_and_b32_e32 v1, v1, v5
	v_xor_b32_e32 v5, s13, v4
	v_xor_b32_e32 v4, s12, v4
	v_and_b32_e32 v2, v2, v4
	v_lshlrev_b32_e32 v4, 27, v12
	v_cmp_gt_i64_e64 s[12:13], 0, v[3:4]
	v_not_b32_e32 v4, v4
	;; [unrolled: 8-line block ×4, first 2 shown]
	v_ashrrev_i32_e32 v4, 31, v4
	v_and_b32_e32 v1, v1, v5
	v_xor_b32_e32 v5, s13, v4
	v_xor_b32_e32 v4, s12, v4
	v_and_b32_e32 v1, v1, v5
	v_and_b32_e32 v5, v2, v4
	v_lshlrev_b32_e32 v4, 24, v12
	v_cmp_gt_i64_e64 s[12:13], 0, v[3:4]
	v_not_b32_e32 v2, v4
	v_ashrrev_i32_e32 v2, 31, v2
	v_xor_b32_e32 v4, s13, v2
	v_xor_b32_e32 v46, s12, v2
	; wave barrier
	ds_read_b32 v44, v45 offset:4
	v_and_b32_e32 v2, v1, v4
	v_and_b32_e32 v1, v5, v46
	v_mbcnt_lo_u32_b32 v4, v1, 0
	v_mbcnt_hi_u32_b32 v46, v2, v4
	v_cmp_ne_u64_e64 s[12:13], 0, v[1:2]
	v_cmp_eq_u32_e64 s[14:15], 0, v46
	s_and_b64 s[14:15], s[12:13], s[14:15]
	; wave barrier
	s_and_saveexec_b64 s[12:13], s[14:15]
	s_cbranch_execz .LBB247_16
; %bb.15:                               ;   in Loop: Header=BB247_2 Depth=1
	v_bcnt_u32_b32 v1, v1, 0
	v_bcnt_u32_b32 v1, v2, v1
	s_waitcnt lgkmcnt(0)
	v_add_u32_e32 v1, v44, v1
	ds_write_b32 v45, v1 offset:4
.LBB247_16:                             ;   in Loop: Header=BB247_2 Depth=1
	s_or_b64 exec, exec, s[12:13]
	v_and_b32_e32 v1, 0xff, v11
	v_lshl_add_u32 v48, v1, 2, v10
	v_and_b32_e32 v1, 1, v11
	v_add_co_u32_e64 v2, s[12:13], -1, v1
	v_addc_co_u32_e64 v4, s[12:13], 0, -1, s[12:13]
	v_cmp_ne_u32_e64 s[12:13], 0, v1
	v_xor_b32_e32 v1, s13, v4
	v_lshlrev_b32_e32 v4, 30, v11
	v_xor_b32_e32 v2, s12, v2
	v_cmp_gt_i64_e64 s[12:13], 0, v[3:4]
	v_not_b32_e32 v4, v4
	v_ashrrev_i32_e32 v4, 31, v4
	v_and_b32_e32 v2, exec_lo, v2
	v_xor_b32_e32 v5, s13, v4
	v_xor_b32_e32 v4, s12, v4
	v_and_b32_e32 v2, v2, v4
	v_lshlrev_b32_e32 v4, 29, v11
	v_cmp_gt_i64_e64 s[12:13], 0, v[3:4]
	v_not_b32_e32 v4, v4
	v_and_b32_e32 v1, exec_hi, v1
	v_ashrrev_i32_e32 v4, 31, v4
	v_and_b32_e32 v1, v1, v5
	v_xor_b32_e32 v5, s13, v4
	v_xor_b32_e32 v4, s12, v4
	v_and_b32_e32 v2, v2, v4
	v_lshlrev_b32_e32 v4, 28, v11
	v_cmp_gt_i64_e64 s[12:13], 0, v[3:4]
	v_not_b32_e32 v4, v4
	v_ashrrev_i32_e32 v4, 31, v4
	v_and_b32_e32 v1, v1, v5
	v_xor_b32_e32 v5, s13, v4
	v_xor_b32_e32 v4, s12, v4
	v_and_b32_e32 v2, v2, v4
	v_lshlrev_b32_e32 v4, 27, v11
	v_cmp_gt_i64_e64 s[12:13], 0, v[3:4]
	v_not_b32_e32 v4, v4
	;; [unrolled: 8-line block ×4, first 2 shown]
	v_ashrrev_i32_e32 v4, 31, v4
	v_and_b32_e32 v1, v1, v5
	v_xor_b32_e32 v5, s13, v4
	v_xor_b32_e32 v4, s12, v4
	v_and_b32_e32 v1, v1, v5
	v_and_b32_e32 v5, v2, v4
	v_lshlrev_b32_e32 v4, 24, v11
	v_cmp_gt_i64_e64 s[12:13], 0, v[3:4]
	v_not_b32_e32 v2, v4
	v_ashrrev_i32_e32 v2, 31, v2
	v_xor_b32_e32 v4, s13, v2
	v_xor_b32_e32 v49, s12, v2
	; wave barrier
	ds_read_b32 v47, v48 offset:4
	v_and_b32_e32 v2, v1, v4
	v_and_b32_e32 v1, v5, v49
	v_mbcnt_lo_u32_b32 v4, v1, 0
	v_mbcnt_hi_u32_b32 v49, v2, v4
	v_cmp_ne_u64_e64 s[12:13], 0, v[1:2]
	v_cmp_eq_u32_e64 s[14:15], 0, v49
	s_and_b64 s[14:15], s[12:13], s[14:15]
	; wave barrier
	s_and_saveexec_b64 s[12:13], s[14:15]
	s_cbranch_execz .LBB247_18
; %bb.17:                               ;   in Loop: Header=BB247_2 Depth=1
	v_bcnt_u32_b32 v1, v1, 0
	v_bcnt_u32_b32 v1, v2, v1
	s_waitcnt lgkmcnt(0)
	v_add_u32_e32 v1, v47, v1
	ds_write_b32 v48, v1 offset:4
.LBB247_18:                             ;   in Loop: Header=BB247_2 Depth=1
	s_or_b64 exec, exec, s[12:13]
	; wave barrier
	s_waitcnt lgkmcnt(0)
	; wave barrier
	ds_read2_b32 v[4:5], v7 offset0:1 offset1:2
	ds_read2_b32 v[1:2], v7 offset0:3 offset1:4
	s_waitcnt lgkmcnt(1)
	v_add_u32_e32 v50, v5, v4
	s_waitcnt lgkmcnt(0)
	v_add3_u32 v2, v50, v1, v2
	s_nop 1
	v_mov_b32_dpp v50, v2 row_shr:1 row_mask:0xf bank_mask:0xf
	v_cndmask_b32_e64 v50, v50, 0, s[2:3]
	v_add_u32_e32 v2, v50, v2
	s_nop 1
	v_mov_b32_dpp v50, v2 row_shr:2 row_mask:0xf bank_mask:0xf
	v_cndmask_b32_e64 v50, 0, v50, s[4:5]
	v_add_u32_e32 v2, v2, v50
	s_nop 1
	v_mov_b32_dpp v50, v2 row_shr:4 row_mask:0xf bank_mask:0xf
	v_cndmask_b32_e64 v50, 0, v50, s[6:7]
	v_add_u32_e32 v2, v2, v50
	s_nop 1
	v_mov_b32_dpp v50, v2 row_shr:8 row_mask:0xf bank_mask:0xf
	v_cndmask_b32_e64 v50, 0, v50, s[8:9]
	v_add_u32_e32 v2, v2, v50
	s_nop 1
	v_mov_b32_dpp v50, v2 row_bcast:15 row_mask:0xf bank_mask:0xf
	v_cndmask_b32_e64 v50, v50, 0, s[10:11]
	v_add_u32_e32 v2, v2, v50
	s_nop 1
	v_mov_b32_dpp v50, v2 row_bcast:31 row_mask:0xf bank_mask:0xf
	v_cndmask_b32_e64 v50, 0, v50, s[0:1]
	v_add_u32_e32 v2, v2, v50
	s_and_saveexec_b64 s[12:13], vcc
	s_cbranch_execz .LBB247_1
; %bb.19:                               ;   in Loop: Header=BB247_2 Depth=1
	ds_write_b32 v3, v2
	s_branch .LBB247_1
.LBB247_20:
	s_add_u32 s0, s18, s20
	v_add_u16_e32 v1, v19, v11
	s_addc_u32 s1, s19, 0
	v_add_u16_e32 v2, v20, v12
	v_add_u16_e32 v3, v21, v13
	;; [unrolled: 1-line block ×7, first 2 shown]
	global_store_byte v0, v1, s[0:1]
	global_store_byte v0, v2, s[0:1] offset:64
	global_store_byte v0, v3, s[0:1] offset:128
	;; [unrolled: 1-line block ×7, first 2 shown]
	s_endpgm
	.section	.rodata,"a",@progbits
	.p2align	6, 0x0
	.amdhsa_kernel _Z17sort_pairs_kernelI22helper_blocked_stripedaLj64ELj8ELj10EEvPKT0_PS1_
		.amdhsa_group_segment_fixed_size 1040
		.amdhsa_private_segment_fixed_size 0
		.amdhsa_kernarg_size 272
		.amdhsa_user_sgpr_count 6
		.amdhsa_user_sgpr_private_segment_buffer 1
		.amdhsa_user_sgpr_dispatch_ptr 0
		.amdhsa_user_sgpr_queue_ptr 0
		.amdhsa_user_sgpr_kernarg_segment_ptr 1
		.amdhsa_user_sgpr_dispatch_id 0
		.amdhsa_user_sgpr_flat_scratch_init 0
		.amdhsa_user_sgpr_private_segment_size 0
		.amdhsa_uses_dynamic_stack 0
		.amdhsa_system_sgpr_private_segment_wavefront_offset 0
		.amdhsa_system_sgpr_workgroup_id_x 1
		.amdhsa_system_sgpr_workgroup_id_y 0
		.amdhsa_system_sgpr_workgroup_id_z 0
		.amdhsa_system_sgpr_workgroup_info 0
		.amdhsa_system_vgpr_workitem_id 2
		.amdhsa_next_free_vgpr 51
		.amdhsa_next_free_sgpr 28
		.amdhsa_reserve_vcc 1
		.amdhsa_reserve_flat_scratch 0
		.amdhsa_float_round_mode_32 0
		.amdhsa_float_round_mode_16_64 0
		.amdhsa_float_denorm_mode_32 3
		.amdhsa_float_denorm_mode_16_64 3
		.amdhsa_dx10_clamp 1
		.amdhsa_ieee_mode 1
		.amdhsa_fp16_overflow 0
		.amdhsa_exception_fp_ieee_invalid_op 0
		.amdhsa_exception_fp_denorm_src 0
		.amdhsa_exception_fp_ieee_div_zero 0
		.amdhsa_exception_fp_ieee_overflow 0
		.amdhsa_exception_fp_ieee_underflow 0
		.amdhsa_exception_fp_ieee_inexact 0
		.amdhsa_exception_int_div_zero 0
	.end_amdhsa_kernel
	.section	.text._Z17sort_pairs_kernelI22helper_blocked_stripedaLj64ELj8ELj10EEvPKT0_PS1_,"axG",@progbits,_Z17sort_pairs_kernelI22helper_blocked_stripedaLj64ELj8ELj10EEvPKT0_PS1_,comdat
.Lfunc_end247:
	.size	_Z17sort_pairs_kernelI22helper_blocked_stripedaLj64ELj8ELj10EEvPKT0_PS1_, .Lfunc_end247-_Z17sort_pairs_kernelI22helper_blocked_stripedaLj64ELj8ELj10EEvPKT0_PS1_
                                        ; -- End function
	.set _Z17sort_pairs_kernelI22helper_blocked_stripedaLj64ELj8ELj10EEvPKT0_PS1_.num_vgpr, 51
	.set _Z17sort_pairs_kernelI22helper_blocked_stripedaLj64ELj8ELj10EEvPKT0_PS1_.num_agpr, 0
	.set _Z17sort_pairs_kernelI22helper_blocked_stripedaLj64ELj8ELj10EEvPKT0_PS1_.numbered_sgpr, 28
	.set _Z17sort_pairs_kernelI22helper_blocked_stripedaLj64ELj8ELj10EEvPKT0_PS1_.num_named_barrier, 0
	.set _Z17sort_pairs_kernelI22helper_blocked_stripedaLj64ELj8ELj10EEvPKT0_PS1_.private_seg_size, 0
	.set _Z17sort_pairs_kernelI22helper_blocked_stripedaLj64ELj8ELj10EEvPKT0_PS1_.uses_vcc, 1
	.set _Z17sort_pairs_kernelI22helper_blocked_stripedaLj64ELj8ELj10EEvPKT0_PS1_.uses_flat_scratch, 0
	.set _Z17sort_pairs_kernelI22helper_blocked_stripedaLj64ELj8ELj10EEvPKT0_PS1_.has_dyn_sized_stack, 0
	.set _Z17sort_pairs_kernelI22helper_blocked_stripedaLj64ELj8ELj10EEvPKT0_PS1_.has_recursion, 0
	.set _Z17sort_pairs_kernelI22helper_blocked_stripedaLj64ELj8ELj10EEvPKT0_PS1_.has_indirect_call, 0
	.section	.AMDGPU.csdata,"",@progbits
; Kernel info:
; codeLenInByte = 4856
; TotalNumSgprs: 32
; NumVgprs: 51
; ScratchSize: 0
; MemoryBound: 0
; FloatMode: 240
; IeeeMode: 1
; LDSByteSize: 1040 bytes/workgroup (compile time only)
; SGPRBlocks: 3
; VGPRBlocks: 12
; NumSGPRsForWavesPerEU: 32
; NumVGPRsForWavesPerEU: 51
; Occupancy: 4
; WaveLimiterHint : 0
; COMPUTE_PGM_RSRC2:SCRATCH_EN: 0
; COMPUTE_PGM_RSRC2:USER_SGPR: 6
; COMPUTE_PGM_RSRC2:TRAP_HANDLER: 0
; COMPUTE_PGM_RSRC2:TGID_X_EN: 1
; COMPUTE_PGM_RSRC2:TGID_Y_EN: 0
; COMPUTE_PGM_RSRC2:TGID_Z_EN: 0
; COMPUTE_PGM_RSRC2:TIDIG_COMP_CNT: 2
	.section	.text._Z16sort_keys_kernelI22helper_blocked_stripedaLj128ELj1ELj10EEvPKT0_PS1_,"axG",@progbits,_Z16sort_keys_kernelI22helper_blocked_stripedaLj128ELj1ELj10EEvPKT0_PS1_,comdat
	.protected	_Z16sort_keys_kernelI22helper_blocked_stripedaLj128ELj1ELj10EEvPKT0_PS1_ ; -- Begin function _Z16sort_keys_kernelI22helper_blocked_stripedaLj128ELj1ELj10EEvPKT0_PS1_
	.globl	_Z16sort_keys_kernelI22helper_blocked_stripedaLj128ELj1ELj10EEvPKT0_PS1_
	.p2align	8
	.type	_Z16sort_keys_kernelI22helper_blocked_stripedaLj128ELj1ELj10EEvPKT0_PS1_,@function
_Z16sort_keys_kernelI22helper_blocked_stripedaLj128ELj1ELj10EEvPKT0_PS1_: ; @_Z16sort_keys_kernelI22helper_blocked_stripedaLj128ELj1ELj10EEvPKT0_PS1_
; %bb.0:
	s_load_dwordx4 s[24:27], s[4:5], 0x0
	s_load_dword s22, s[4:5], 0x1c
	s_lshl_b32 s28, s6, 7
	v_mbcnt_lo_u32_b32 v4, -1, 0
	v_mbcnt_hi_u32_b32 v4, -1, v4
	s_waitcnt lgkmcnt(0)
	s_add_u32 s0, s24, s28
	s_addc_u32 s1, s25, 0
	global_load_ubyte v3, v0, s[0:1]
	v_or_b32_e32 v6, 63, v0
	s_lshr_b32 s23, s22, 16
	s_mov_b32 s10, 0
	v_cmp_eq_u32_e64 s[6:7], v0, v6
	v_subrev_co_u32_e64 v6, s[8:9], 1, v4
	v_and_b32_e32 v16, 64, v4
	s_and_b32 s22, s22, 0xffff
	v_mad_u32_u24 v1, v2, s23, v1
	v_lshrrev_b32_e32 v7, 4, v0
	s_mov_b32 s12, s10
	v_cmp_lt_i32_e64 s[20:21], v6, v16
	v_mad_u32_u24 v1, v1, s22, v0
	v_mul_u32_u24_e32 v13, 3, v0
	s_mov_b32 s11, s10
	s_mov_b32 s13, s10
	v_and_b32_e32 v14, 15, v4
	v_and_b32_e32 v15, 16, v4
	v_cmp_lt_u32_e64 s[4:5], 31, v4
	v_and_b32_e32 v12, 4, v7
	v_and_b32_e32 v17, 1, v4
	v_mov_b32_e32 v7, s10
	v_mov_b32_e32 v9, s12
	v_cndmask_b32_e64 v4, v6, v4, s[20:21]
	v_lshrrev_b32_e32 v1, 4, v1
	v_mov_b32_e32 v5, 0
	s_mov_b32 s29, 10
	v_lshlrev_b32_e32 v11, 4, v0
	v_cmp_gt_u32_e32 vcc, 2, v0
	v_cmp_lt_u32_e64 s[0:1], 63, v0
	v_cmp_eq_u32_e64 s[2:3], 0, v0
	v_mov_b32_e32 v8, s11
	v_mov_b32_e32 v10, s13
	v_add_u32_e32 v13, v0, v13
	v_cmp_eq_u32_e64 s[10:11], 0, v14
	v_cmp_lt_u32_e64 s[12:13], 1, v14
	v_cmp_lt_u32_e64 s[14:15], 3, v14
	v_cmp_lt_u32_e64 s[16:17], 7, v14
	v_cmp_eq_u32_e64 s[18:19], 0, v15
	v_cmp_eq_u32_e64 s[20:21], 0, v17
	v_add_u32_e32 v14, -4, v12
	v_lshlrev_b32_e32 v15, 2, v4
	v_and_b32_e32 v16, 0xffffffc, v1
	v_mov_b32_e32 v17, 3
	s_waitcnt vmcnt(0)
	v_xor_b32_e32 v18, 0xffffff80, v3
	s_branch .LBB248_2
.LBB248_1:                              ;   in Loop: Header=BB248_2 Depth=1
	s_or_b64 exec, exec, s[22:23]
	s_waitcnt lgkmcnt(0)
	v_add_u32_e32 v4, v20, v4
	ds_bpermute_b32 v4, v15, v4
	s_add_i32 s29, s29, -1
	s_cmp_eq_u32 s29, 0
	s_waitcnt lgkmcnt(0)
	v_cndmask_b32_e64 v4, v4, v20, s[8:9]
	v_cndmask_b32_e64 v20, v4, 0, s[2:3]
	v_add_u32_e32 v21, v20, v1
	v_add_u32_e32 v1, v21, v2
	;; [unrolled: 1-line block ×3, first 2 shown]
	ds_write2_b64 v11, v[20:21], v[1:2] offset0:1 offset1:2
	s_waitcnt lgkmcnt(0)
	s_barrier
	ds_read_b32 v1, v19 offset:8
	s_waitcnt lgkmcnt(0)
	s_barrier
	v_add_u32_e32 v1, v1, v6
	ds_write_b8 v1, v18
	s_waitcnt lgkmcnt(0)
	s_barrier
	ds_read_u8 v18, v0
	s_cbranch_scc1 .LBB248_10
.LBB248_2:                              ; =>This Inner Loop Header: Depth=1
	s_waitcnt lgkmcnt(0)
	v_and_b32_e32 v1, 1, v18
	v_add_co_u32_e64 v2, s[22:23], -1, v1
	v_addc_co_u32_e64 v4, s[22:23], 0, -1, s[22:23]
	v_cmp_ne_u32_e64 s[22:23], 0, v1
	v_lshlrev_b32_e32 v6, 30, v18
	v_xor_b32_e32 v1, s23, v4
	v_xor_b32_e32 v2, s22, v2
	v_cmp_gt_i64_e64 s[22:23], 0, v[5:6]
	v_not_b32_e32 v4, v6
	v_ashrrev_i32_e32 v4, 31, v4
	v_and_b32_e32 v1, exec_hi, v1
	v_xor_b32_e32 v6, s23, v4
	v_and_b32_e32 v2, exec_lo, v2
	v_xor_b32_e32 v4, s22, v4
	v_and_b32_e32 v1, v1, v6
	v_lshlrev_b32_e32 v6, 29, v18
	v_and_b32_e32 v2, v2, v4
	v_cmp_gt_i64_e64 s[22:23], 0, v[5:6]
	v_not_b32_e32 v4, v6
	v_ashrrev_i32_e32 v4, 31, v4
	v_xor_b32_e32 v6, s23, v4
	v_xor_b32_e32 v4, s22, v4
	v_and_b32_e32 v1, v1, v6
	v_lshlrev_b32_e32 v6, 28, v18
	v_and_b32_e32 v2, v2, v4
	v_cmp_gt_i64_e64 s[22:23], 0, v[5:6]
	v_not_b32_e32 v4, v6
	v_ashrrev_i32_e32 v4, 31, v4
	v_xor_b32_e32 v6, s23, v4
	v_xor_b32_e32 v4, s22, v4
	v_and_b32_e32 v1, v1, v6
	v_lshlrev_b32_e32 v6, 27, v18
	v_and_b32_e32 v2, v2, v4
	v_cmp_gt_i64_e64 s[22:23], 0, v[5:6]
	v_not_b32_e32 v4, v6
	v_ashrrev_i32_e32 v4, 31, v4
	v_xor_b32_e32 v6, s23, v4
	v_xor_b32_e32 v4, s22, v4
	v_and_b32_e32 v1, v1, v6
	v_lshlrev_b32_e32 v6, 26, v18
	v_and_b32_e32 v2, v2, v4
	v_cmp_gt_i64_e64 s[22:23], 0, v[5:6]
	v_not_b32_e32 v4, v6
	v_ashrrev_i32_e32 v4, 31, v4
	v_xor_b32_e32 v6, s23, v4
	v_xor_b32_e32 v4, s22, v4
	v_and_b32_e32 v1, v1, v6
	v_lshlrev_b32_e32 v6, 25, v18
	v_and_b32_e32 v2, v2, v4
	v_cmp_gt_i64_e64 s[22:23], 0, v[5:6]
	v_not_b32_e32 v4, v6
	v_ashrrev_i32_e32 v4, 31, v4
	v_xor_b32_e32 v6, s23, v4
	v_xor_b32_e32 v4, s22, v4
	v_and_b32_e32 v1, v1, v6
	v_lshlrev_b32_e32 v6, 24, v18
	v_and_b32_e32 v4, v2, v4
	v_cmp_gt_i64_e64 s[22:23], 0, v[5:6]
	v_not_b32_e32 v2, v6
	v_ashrrev_i32_e32 v2, 31, v2
	v_xor_b32_e32 v6, s23, v2
	v_xor_b32_e32 v19, s22, v2
	v_and_b32_e32 v2, v1, v6
	v_and_b32_e32 v1, v4, v19
	v_mbcnt_lo_u32_b32 v4, v1, 0
	v_mbcnt_hi_u32_b32 v6, v2, v4
	v_cmp_ne_u64_e64 s[22:23], 0, v[1:2]
	v_lshlrev_b32_sdwa v3, v17, v18 dst_sel:DWORD dst_unused:UNUSED_PAD src0_sel:DWORD src1_sel:BYTE_0
	v_cmp_eq_u32_e64 s[24:25], 0, v6
	s_and_b64 s[24:25], s[22:23], s[24:25]
	v_add_u32_e32 v19, v16, v3
	ds_write2_b64 v11, v[7:8], v[9:10] offset0:1 offset1:2
	s_waitcnt lgkmcnt(0)
	s_barrier
	; wave barrier
	s_and_saveexec_b64 s[22:23], s[24:25]
; %bb.3:                                ;   in Loop: Header=BB248_2 Depth=1
	v_bcnt_u32_b32 v1, v1, 0
	v_bcnt_u32_b32 v1, v2, v1
	ds_write_b32 v19, v1 offset:8
; %bb.4:                                ;   in Loop: Header=BB248_2 Depth=1
	s_or_b64 exec, exec, s[22:23]
	; wave barrier
	s_waitcnt lgkmcnt(0)
	s_barrier
	ds_read2_b64 v[1:4], v11 offset0:1 offset1:2
	s_waitcnt lgkmcnt(0)
	v_add_u32_e32 v20, v2, v1
	v_add3_u32 v4, v20, v3, v4
	s_nop 1
	v_mov_b32_dpp v20, v4 row_shr:1 row_mask:0xf bank_mask:0xf
	v_cndmask_b32_e64 v20, v20, 0, s[10:11]
	v_add_u32_e32 v4, v20, v4
	s_nop 1
	v_mov_b32_dpp v20, v4 row_shr:2 row_mask:0xf bank_mask:0xf
	v_cndmask_b32_e64 v20, 0, v20, s[12:13]
	v_add_u32_e32 v4, v4, v20
	;; [unrolled: 4-line block ×4, first 2 shown]
	s_nop 1
	v_mov_b32_dpp v20, v4 row_bcast:15 row_mask:0xf bank_mask:0xf
	v_cndmask_b32_e64 v20, v20, 0, s[18:19]
	v_add_u32_e32 v4, v4, v20
	s_nop 1
	v_mov_b32_dpp v20, v4 row_bcast:31 row_mask:0xf bank_mask:0xf
	v_cndmask_b32_e64 v20, 0, v20, s[4:5]
	v_add_u32_e32 v4, v4, v20
	s_and_saveexec_b64 s[22:23], s[6:7]
; %bb.5:                                ;   in Loop: Header=BB248_2 Depth=1
	ds_write_b32 v12, v4
; %bb.6:                                ;   in Loop: Header=BB248_2 Depth=1
	s_or_b64 exec, exec, s[22:23]
	s_waitcnt lgkmcnt(0)
	s_barrier
	s_and_saveexec_b64 s[22:23], vcc
	s_cbranch_execz .LBB248_8
; %bb.7:                                ;   in Loop: Header=BB248_2 Depth=1
	ds_read_b32 v20, v13
	s_waitcnt lgkmcnt(0)
	s_nop 0
	v_mov_b32_dpp v21, v20 row_shr:1 row_mask:0xf bank_mask:0xf
	v_cndmask_b32_e64 v21, v21, 0, s[20:21]
	v_add_u32_e32 v20, v21, v20
	ds_write_b32 v13, v20
.LBB248_8:                              ;   in Loop: Header=BB248_2 Depth=1
	s_or_b64 exec, exec, s[22:23]
	v_mov_b32_e32 v20, 0
	s_waitcnt lgkmcnt(0)
	s_barrier
	s_and_saveexec_b64 s[22:23], s[0:1]
	s_cbranch_execz .LBB248_1
; %bb.9:                                ;   in Loop: Header=BB248_2 Depth=1
	ds_read_b32 v20, v14
	s_branch .LBB248_1
.LBB248_10:
	s_add_u32 s0, s26, s28
	s_addc_u32 s1, s27, 0
	v_mov_b32_e32 v1, s1
	v_add_co_u32_e32 v0, vcc, s0, v0
	s_waitcnt lgkmcnt(0)
	v_xor_b32_e32 v2, 0x80, v18
	v_addc_co_u32_e32 v1, vcc, 0, v1, vcc
	global_store_byte v[0:1], v2, off
	s_endpgm
	.section	.rodata,"a",@progbits
	.p2align	6, 0x0
	.amdhsa_kernel _Z16sort_keys_kernelI22helper_blocked_stripedaLj128ELj1ELj10EEvPKT0_PS1_
		.amdhsa_group_segment_fixed_size 2064
		.amdhsa_private_segment_fixed_size 0
		.amdhsa_kernarg_size 272
		.amdhsa_user_sgpr_count 6
		.amdhsa_user_sgpr_private_segment_buffer 1
		.amdhsa_user_sgpr_dispatch_ptr 0
		.amdhsa_user_sgpr_queue_ptr 0
		.amdhsa_user_sgpr_kernarg_segment_ptr 1
		.amdhsa_user_sgpr_dispatch_id 0
		.amdhsa_user_sgpr_flat_scratch_init 0
		.amdhsa_user_sgpr_private_segment_size 0
		.amdhsa_uses_dynamic_stack 0
		.amdhsa_system_sgpr_private_segment_wavefront_offset 0
		.amdhsa_system_sgpr_workgroup_id_x 1
		.amdhsa_system_sgpr_workgroup_id_y 0
		.amdhsa_system_sgpr_workgroup_id_z 0
		.amdhsa_system_sgpr_workgroup_info 0
		.amdhsa_system_vgpr_workitem_id 2
		.amdhsa_next_free_vgpr 29
		.amdhsa_next_free_sgpr 61
		.amdhsa_reserve_vcc 1
		.amdhsa_reserve_flat_scratch 0
		.amdhsa_float_round_mode_32 0
		.amdhsa_float_round_mode_16_64 0
		.amdhsa_float_denorm_mode_32 3
		.amdhsa_float_denorm_mode_16_64 3
		.amdhsa_dx10_clamp 1
		.amdhsa_ieee_mode 1
		.amdhsa_fp16_overflow 0
		.amdhsa_exception_fp_ieee_invalid_op 0
		.amdhsa_exception_fp_denorm_src 0
		.amdhsa_exception_fp_ieee_div_zero 0
		.amdhsa_exception_fp_ieee_overflow 0
		.amdhsa_exception_fp_ieee_underflow 0
		.amdhsa_exception_fp_ieee_inexact 0
		.amdhsa_exception_int_div_zero 0
	.end_amdhsa_kernel
	.section	.text._Z16sort_keys_kernelI22helper_blocked_stripedaLj128ELj1ELj10EEvPKT0_PS1_,"axG",@progbits,_Z16sort_keys_kernelI22helper_blocked_stripedaLj128ELj1ELj10EEvPKT0_PS1_,comdat
.Lfunc_end248:
	.size	_Z16sort_keys_kernelI22helper_blocked_stripedaLj128ELj1ELj10EEvPKT0_PS1_, .Lfunc_end248-_Z16sort_keys_kernelI22helper_blocked_stripedaLj128ELj1ELj10EEvPKT0_PS1_
                                        ; -- End function
	.set _Z16sort_keys_kernelI22helper_blocked_stripedaLj128ELj1ELj10EEvPKT0_PS1_.num_vgpr, 22
	.set _Z16sort_keys_kernelI22helper_blocked_stripedaLj128ELj1ELj10EEvPKT0_PS1_.num_agpr, 0
	.set _Z16sort_keys_kernelI22helper_blocked_stripedaLj128ELj1ELj10EEvPKT0_PS1_.numbered_sgpr, 30
	.set _Z16sort_keys_kernelI22helper_blocked_stripedaLj128ELj1ELj10EEvPKT0_PS1_.num_named_barrier, 0
	.set _Z16sort_keys_kernelI22helper_blocked_stripedaLj128ELj1ELj10EEvPKT0_PS1_.private_seg_size, 0
	.set _Z16sort_keys_kernelI22helper_blocked_stripedaLj128ELj1ELj10EEvPKT0_PS1_.uses_vcc, 1
	.set _Z16sort_keys_kernelI22helper_blocked_stripedaLj128ELj1ELj10EEvPKT0_PS1_.uses_flat_scratch, 0
	.set _Z16sort_keys_kernelI22helper_blocked_stripedaLj128ELj1ELj10EEvPKT0_PS1_.has_dyn_sized_stack, 0
	.set _Z16sort_keys_kernelI22helper_blocked_stripedaLj128ELj1ELj10EEvPKT0_PS1_.has_recursion, 0
	.set _Z16sort_keys_kernelI22helper_blocked_stripedaLj128ELj1ELj10EEvPKT0_PS1_.has_indirect_call, 0
	.section	.AMDGPU.csdata,"",@progbits
; Kernel info:
; codeLenInByte = 1164
; TotalNumSgprs: 34
; NumVgprs: 22
; ScratchSize: 0
; MemoryBound: 0
; FloatMode: 240
; IeeeMode: 1
; LDSByteSize: 2064 bytes/workgroup (compile time only)
; SGPRBlocks: 8
; VGPRBlocks: 7
; NumSGPRsForWavesPerEU: 65
; NumVGPRsForWavesPerEU: 29
; Occupancy: 8
; WaveLimiterHint : 0
; COMPUTE_PGM_RSRC2:SCRATCH_EN: 0
; COMPUTE_PGM_RSRC2:USER_SGPR: 6
; COMPUTE_PGM_RSRC2:TRAP_HANDLER: 0
; COMPUTE_PGM_RSRC2:TGID_X_EN: 1
; COMPUTE_PGM_RSRC2:TGID_Y_EN: 0
; COMPUTE_PGM_RSRC2:TGID_Z_EN: 0
; COMPUTE_PGM_RSRC2:TIDIG_COMP_CNT: 2
	.section	.text._Z17sort_pairs_kernelI22helper_blocked_stripedaLj128ELj1ELj10EEvPKT0_PS1_,"axG",@progbits,_Z17sort_pairs_kernelI22helper_blocked_stripedaLj128ELj1ELj10EEvPKT0_PS1_,comdat
	.protected	_Z17sort_pairs_kernelI22helper_blocked_stripedaLj128ELj1ELj10EEvPKT0_PS1_ ; -- Begin function _Z17sort_pairs_kernelI22helper_blocked_stripedaLj128ELj1ELj10EEvPKT0_PS1_
	.globl	_Z17sort_pairs_kernelI22helper_blocked_stripedaLj128ELj1ELj10EEvPKT0_PS1_
	.p2align	8
	.type	_Z17sort_pairs_kernelI22helper_blocked_stripedaLj128ELj1ELj10EEvPKT0_PS1_,@function
_Z17sort_pairs_kernelI22helper_blocked_stripedaLj128ELj1ELj10EEvPKT0_PS1_: ; @_Z17sort_pairs_kernelI22helper_blocked_stripedaLj128ELj1ELj10EEvPKT0_PS1_
; %bb.0:
	s_load_dwordx4 s[24:27], s[4:5], 0x0
	s_load_dword s22, s[4:5], 0x1c
	s_lshl_b32 s28, s6, 7
	v_mbcnt_lo_u32_b32 v4, -1, 0
	v_mbcnt_hi_u32_b32 v4, -1, v4
	s_waitcnt lgkmcnt(0)
	s_add_u32 s0, s24, s28
	s_addc_u32 s1, s25, 0
	global_load_ubyte v3, v0, s[0:1]
	v_or_b32_e32 v6, 63, v0
	s_lshr_b32 s23, s22, 16
	s_mov_b32 s10, 0
	v_cmp_eq_u32_e64 s[6:7], v0, v6
	v_subrev_co_u32_e64 v6, s[8:9], 1, v4
	v_and_b32_e32 v16, 64, v4
	s_and_b32 s22, s22, 0xffff
	v_mad_u32_u24 v1, v2, s23, v1
	v_lshrrev_b32_e32 v7, 4, v0
	s_mov_b32 s12, s10
	v_cmp_lt_i32_e64 s[20:21], v6, v16
	v_mad_u32_u24 v1, v1, s22, v0
	v_mul_u32_u24_e32 v13, 3, v0
	s_mov_b32 s11, s10
	s_mov_b32 s13, s10
	v_and_b32_e32 v14, 15, v4
	v_and_b32_e32 v15, 16, v4
	v_cmp_lt_u32_e64 s[4:5], 31, v4
	v_and_b32_e32 v12, 4, v7
	v_and_b32_e32 v17, 1, v4
	v_mov_b32_e32 v7, s10
	v_mov_b32_e32 v9, s12
	v_cndmask_b32_e64 v4, v6, v4, s[20:21]
	v_lshrrev_b32_e32 v1, 4, v1
	v_mov_b32_e32 v5, 0
	s_mov_b32 s29, 10
	v_lshlrev_b32_e32 v11, 4, v0
	v_cmp_gt_u32_e32 vcc, 2, v0
	v_cmp_lt_u32_e64 s[0:1], 63, v0
	v_cmp_eq_u32_e64 s[2:3], 0, v0
	v_mov_b32_e32 v8, s11
	v_mov_b32_e32 v10, s13
	v_add_u32_e32 v13, v0, v13
	v_cmp_eq_u32_e64 s[10:11], 0, v14
	v_cmp_lt_u32_e64 s[12:13], 1, v14
	v_cmp_lt_u32_e64 s[14:15], 3, v14
	;; [unrolled: 1-line block ×3, first 2 shown]
	v_cmp_eq_u32_e64 s[18:19], 0, v15
	v_cmp_eq_u32_e64 s[20:21], 0, v17
	v_add_u32_e32 v14, -4, v12
	v_lshlrev_b32_e32 v15, 2, v4
	v_and_b32_e32 v16, 0xffffffc, v1
	v_mov_b32_e32 v17, 3
	s_waitcnt vmcnt(0)
	v_add_u16_e32 v18, 1, v3
	v_xor_b32_e32 v19, 0xffffff80, v3
	s_branch .LBB249_2
.LBB249_1:                              ;   in Loop: Header=BB249_2 Depth=1
	s_or_b64 exec, exec, s[22:23]
	s_waitcnt lgkmcnt(0)
	v_add_u32_e32 v4, v21, v4
	ds_bpermute_b32 v4, v15, v4
	s_add_i32 s29, s29, -1
	s_cmp_eq_u32 s29, 0
	s_waitcnt lgkmcnt(0)
	v_cndmask_b32_e64 v4, v4, v21, s[8:9]
	v_cndmask_b32_e64 v21, v4, 0, s[2:3]
	v_add_u32_e32 v22, v21, v1
	v_add_u32_e32 v1, v22, v2
	v_add_u32_e32 v2, v1, v3
	ds_write2_b64 v11, v[21:22], v[1:2] offset0:1 offset1:2
	s_waitcnt lgkmcnt(0)
	s_barrier
	ds_read_b32 v1, v20 offset:8
	s_waitcnt lgkmcnt(0)
	s_barrier
	v_add_u32_e32 v1, v1, v6
	ds_write_b8 v1, v19
	s_waitcnt lgkmcnt(0)
	s_barrier
	ds_read_u8 v19, v0
	s_waitcnt lgkmcnt(0)
	s_barrier
	ds_write_b8 v1, v18
	s_waitcnt lgkmcnt(0)
	s_barrier
	ds_read_u8 v18, v0
	s_cbranch_scc1 .LBB249_10
.LBB249_2:                              ; =>This Inner Loop Header: Depth=1
	v_and_b32_e32 v1, 1, v19
	v_add_co_u32_e64 v2, s[22:23], -1, v1
	v_addc_co_u32_e64 v4, s[22:23], 0, -1, s[22:23]
	v_cmp_ne_u32_e64 s[22:23], 0, v1
	v_lshlrev_b32_e32 v6, 30, v19
	v_xor_b32_e32 v1, s23, v4
	v_xor_b32_e32 v2, s22, v2
	v_cmp_gt_i64_e64 s[22:23], 0, v[5:6]
	v_not_b32_e32 v4, v6
	v_ashrrev_i32_e32 v4, 31, v4
	v_and_b32_e32 v1, exec_hi, v1
	v_xor_b32_e32 v6, s23, v4
	v_and_b32_e32 v2, exec_lo, v2
	v_xor_b32_e32 v4, s22, v4
	v_and_b32_e32 v1, v1, v6
	v_lshlrev_b32_e32 v6, 29, v19
	v_and_b32_e32 v2, v2, v4
	v_cmp_gt_i64_e64 s[22:23], 0, v[5:6]
	v_not_b32_e32 v4, v6
	v_ashrrev_i32_e32 v4, 31, v4
	v_xor_b32_e32 v6, s23, v4
	v_xor_b32_e32 v4, s22, v4
	v_and_b32_e32 v1, v1, v6
	v_lshlrev_b32_e32 v6, 28, v19
	v_and_b32_e32 v2, v2, v4
	v_cmp_gt_i64_e64 s[22:23], 0, v[5:6]
	v_not_b32_e32 v4, v6
	v_ashrrev_i32_e32 v4, 31, v4
	v_xor_b32_e32 v6, s23, v4
	;; [unrolled: 8-line block ×6, first 2 shown]
	v_xor_b32_e32 v20, s22, v2
	v_and_b32_e32 v2, v1, v6
	v_and_b32_e32 v1, v4, v20
	v_mbcnt_lo_u32_b32 v4, v1, 0
	v_mbcnt_hi_u32_b32 v6, v2, v4
	v_cmp_ne_u64_e64 s[22:23], 0, v[1:2]
	v_lshlrev_b32_sdwa v3, v17, v19 dst_sel:DWORD dst_unused:UNUSED_PAD src0_sel:DWORD src1_sel:BYTE_0
	v_cmp_eq_u32_e64 s[24:25], 0, v6
	s_and_b64 s[24:25], s[22:23], s[24:25]
	v_add_u32_e32 v20, v16, v3
	ds_write2_b64 v11, v[7:8], v[9:10] offset0:1 offset1:2
	s_waitcnt lgkmcnt(0)
	s_barrier
	; wave barrier
	s_and_saveexec_b64 s[22:23], s[24:25]
; %bb.3:                                ;   in Loop: Header=BB249_2 Depth=1
	v_bcnt_u32_b32 v1, v1, 0
	v_bcnt_u32_b32 v1, v2, v1
	ds_write_b32 v20, v1 offset:8
; %bb.4:                                ;   in Loop: Header=BB249_2 Depth=1
	s_or_b64 exec, exec, s[22:23]
	; wave barrier
	s_waitcnt lgkmcnt(0)
	s_barrier
	ds_read2_b64 v[1:4], v11 offset0:1 offset1:2
	s_waitcnt lgkmcnt(0)
	v_add_u32_e32 v21, v2, v1
	v_add3_u32 v4, v21, v3, v4
	s_nop 1
	v_mov_b32_dpp v21, v4 row_shr:1 row_mask:0xf bank_mask:0xf
	v_cndmask_b32_e64 v21, v21, 0, s[10:11]
	v_add_u32_e32 v4, v21, v4
	s_nop 1
	v_mov_b32_dpp v21, v4 row_shr:2 row_mask:0xf bank_mask:0xf
	v_cndmask_b32_e64 v21, 0, v21, s[12:13]
	v_add_u32_e32 v4, v4, v21
	;; [unrolled: 4-line block ×4, first 2 shown]
	s_nop 1
	v_mov_b32_dpp v21, v4 row_bcast:15 row_mask:0xf bank_mask:0xf
	v_cndmask_b32_e64 v21, v21, 0, s[18:19]
	v_add_u32_e32 v4, v4, v21
	s_nop 1
	v_mov_b32_dpp v21, v4 row_bcast:31 row_mask:0xf bank_mask:0xf
	v_cndmask_b32_e64 v21, 0, v21, s[4:5]
	v_add_u32_e32 v4, v4, v21
	s_and_saveexec_b64 s[22:23], s[6:7]
; %bb.5:                                ;   in Loop: Header=BB249_2 Depth=1
	ds_write_b32 v12, v4
; %bb.6:                                ;   in Loop: Header=BB249_2 Depth=1
	s_or_b64 exec, exec, s[22:23]
	s_waitcnt lgkmcnt(0)
	s_barrier
	s_and_saveexec_b64 s[22:23], vcc
	s_cbranch_execz .LBB249_8
; %bb.7:                                ;   in Loop: Header=BB249_2 Depth=1
	ds_read_b32 v21, v13
	s_waitcnt lgkmcnt(0)
	s_nop 0
	v_mov_b32_dpp v22, v21 row_shr:1 row_mask:0xf bank_mask:0xf
	v_cndmask_b32_e64 v22, v22, 0, s[20:21]
	v_add_u32_e32 v21, v22, v21
	ds_write_b32 v13, v21
.LBB249_8:                              ;   in Loop: Header=BB249_2 Depth=1
	s_or_b64 exec, exec, s[22:23]
	v_mov_b32_e32 v21, 0
	s_waitcnt lgkmcnt(0)
	s_barrier
	s_and_saveexec_b64 s[22:23], s[0:1]
	s_cbranch_execz .LBB249_1
; %bb.9:                                ;   in Loop: Header=BB249_2 Depth=1
	ds_read_b32 v21, v14
	s_branch .LBB249_1
.LBB249_10:
	s_add_u32 s0, s26, s28
	s_waitcnt lgkmcnt(0)
	v_add_u16_e32 v1, v18, v19
	s_addc_u32 s1, s27, 0
	v_add_u16_e32 v2, 0xff80, v1
	v_mov_b32_e32 v1, s1
	v_add_co_u32_e32 v0, vcc, s0, v0
	v_addc_co_u32_e32 v1, vcc, 0, v1, vcc
	global_store_byte v[0:1], v2, off
	s_endpgm
	.section	.rodata,"a",@progbits
	.p2align	6, 0x0
	.amdhsa_kernel _Z17sort_pairs_kernelI22helper_blocked_stripedaLj128ELj1ELj10EEvPKT0_PS1_
		.amdhsa_group_segment_fixed_size 2064
		.amdhsa_private_segment_fixed_size 0
		.amdhsa_kernarg_size 272
		.amdhsa_user_sgpr_count 6
		.amdhsa_user_sgpr_private_segment_buffer 1
		.amdhsa_user_sgpr_dispatch_ptr 0
		.amdhsa_user_sgpr_queue_ptr 0
		.amdhsa_user_sgpr_kernarg_segment_ptr 1
		.amdhsa_user_sgpr_dispatch_id 0
		.amdhsa_user_sgpr_flat_scratch_init 0
		.amdhsa_user_sgpr_private_segment_size 0
		.amdhsa_uses_dynamic_stack 0
		.amdhsa_system_sgpr_private_segment_wavefront_offset 0
		.amdhsa_system_sgpr_workgroup_id_x 1
		.amdhsa_system_sgpr_workgroup_id_y 0
		.amdhsa_system_sgpr_workgroup_id_z 0
		.amdhsa_system_sgpr_workgroup_info 0
		.amdhsa_system_vgpr_workitem_id 2
		.amdhsa_next_free_vgpr 29
		.amdhsa_next_free_sgpr 61
		.amdhsa_reserve_vcc 1
		.amdhsa_reserve_flat_scratch 0
		.amdhsa_float_round_mode_32 0
		.amdhsa_float_round_mode_16_64 0
		.amdhsa_float_denorm_mode_32 3
		.amdhsa_float_denorm_mode_16_64 3
		.amdhsa_dx10_clamp 1
		.amdhsa_ieee_mode 1
		.amdhsa_fp16_overflow 0
		.amdhsa_exception_fp_ieee_invalid_op 0
		.amdhsa_exception_fp_denorm_src 0
		.amdhsa_exception_fp_ieee_div_zero 0
		.amdhsa_exception_fp_ieee_overflow 0
		.amdhsa_exception_fp_ieee_underflow 0
		.amdhsa_exception_fp_ieee_inexact 0
		.amdhsa_exception_int_div_zero 0
	.end_amdhsa_kernel
	.section	.text._Z17sort_pairs_kernelI22helper_blocked_stripedaLj128ELj1ELj10EEvPKT0_PS1_,"axG",@progbits,_Z17sort_pairs_kernelI22helper_blocked_stripedaLj128ELj1ELj10EEvPKT0_PS1_,comdat
.Lfunc_end249:
	.size	_Z17sort_pairs_kernelI22helper_blocked_stripedaLj128ELj1ELj10EEvPKT0_PS1_, .Lfunc_end249-_Z17sort_pairs_kernelI22helper_blocked_stripedaLj128ELj1ELj10EEvPKT0_PS1_
                                        ; -- End function
	.set _Z17sort_pairs_kernelI22helper_blocked_stripedaLj128ELj1ELj10EEvPKT0_PS1_.num_vgpr, 23
	.set _Z17sort_pairs_kernelI22helper_blocked_stripedaLj128ELj1ELj10EEvPKT0_PS1_.num_agpr, 0
	.set _Z17sort_pairs_kernelI22helper_blocked_stripedaLj128ELj1ELj10EEvPKT0_PS1_.numbered_sgpr, 30
	.set _Z17sort_pairs_kernelI22helper_blocked_stripedaLj128ELj1ELj10EEvPKT0_PS1_.num_named_barrier, 0
	.set _Z17sort_pairs_kernelI22helper_blocked_stripedaLj128ELj1ELj10EEvPKT0_PS1_.private_seg_size, 0
	.set _Z17sort_pairs_kernelI22helper_blocked_stripedaLj128ELj1ELj10EEvPKT0_PS1_.uses_vcc, 1
	.set _Z17sort_pairs_kernelI22helper_blocked_stripedaLj128ELj1ELj10EEvPKT0_PS1_.uses_flat_scratch, 0
	.set _Z17sort_pairs_kernelI22helper_blocked_stripedaLj128ELj1ELj10EEvPKT0_PS1_.has_dyn_sized_stack, 0
	.set _Z17sort_pairs_kernelI22helper_blocked_stripedaLj128ELj1ELj10EEvPKT0_PS1_.has_recursion, 0
	.set _Z17sort_pairs_kernelI22helper_blocked_stripedaLj128ELj1ELj10EEvPKT0_PS1_.has_indirect_call, 0
	.section	.AMDGPU.csdata,"",@progbits
; Kernel info:
; codeLenInByte = 1200
; TotalNumSgprs: 34
; NumVgprs: 23
; ScratchSize: 0
; MemoryBound: 0
; FloatMode: 240
; IeeeMode: 1
; LDSByteSize: 2064 bytes/workgroup (compile time only)
; SGPRBlocks: 8
; VGPRBlocks: 7
; NumSGPRsForWavesPerEU: 65
; NumVGPRsForWavesPerEU: 29
; Occupancy: 8
; WaveLimiterHint : 0
; COMPUTE_PGM_RSRC2:SCRATCH_EN: 0
; COMPUTE_PGM_RSRC2:USER_SGPR: 6
; COMPUTE_PGM_RSRC2:TRAP_HANDLER: 0
; COMPUTE_PGM_RSRC2:TGID_X_EN: 1
; COMPUTE_PGM_RSRC2:TGID_Y_EN: 0
; COMPUTE_PGM_RSRC2:TGID_Z_EN: 0
; COMPUTE_PGM_RSRC2:TIDIG_COMP_CNT: 2
	.section	.text._Z16sort_keys_kernelI22helper_blocked_stripedaLj128ELj3ELj10EEvPKT0_PS1_,"axG",@progbits,_Z16sort_keys_kernelI22helper_blocked_stripedaLj128ELj3ELj10EEvPKT0_PS1_,comdat
	.protected	_Z16sort_keys_kernelI22helper_blocked_stripedaLj128ELj3ELj10EEvPKT0_PS1_ ; -- Begin function _Z16sort_keys_kernelI22helper_blocked_stripedaLj128ELj3ELj10EEvPKT0_PS1_
	.globl	_Z16sort_keys_kernelI22helper_blocked_stripedaLj128ELj3ELj10EEvPKT0_PS1_
	.p2align	8
	.type	_Z16sort_keys_kernelI22helper_blocked_stripedaLj128ELj3ELj10EEvPKT0_PS1_,@function
_Z16sort_keys_kernelI22helper_blocked_stripedaLj128ELj3ELj10EEvPKT0_PS1_: ; @_Z16sort_keys_kernelI22helper_blocked_stripedaLj128ELj3ELj10EEvPKT0_PS1_
; %bb.0:
	s_load_dwordx4 s[24:27], s[4:5], 0x0
	s_load_dword s22, s[4:5], 0x1c
	s_mul_i32 s28, s6, 0x180
	v_mul_u32_u24_e32 v11, 3, v0
	v_mbcnt_lo_u32_b32 v6, -1, 0
	s_waitcnt lgkmcnt(0)
	s_add_u32 s0, s24, s28
	s_addc_u32 s1, s25, 0
	global_load_ushort v3, v11, s[0:1]
	global_load_sbyte v4, v11, s[0:1] offset:2
	v_mbcnt_hi_u32_b32 v6, -1, v6
	s_lshr_b32 s23, s22, 16
	s_mov_b32 s10, 0
	v_subrev_co_u32_e64 v18, s[8:9], 1, v6
	v_and_b32_e32 v19, 64, v6
	s_and_b32 s22, s22, 0xffff
	v_mad_u32_u24 v1, v2, s23, v1
	v_lshrrev_b32_e32 v7, 6, v0
	v_or_b32_e32 v8, 63, v0
	s_mov_b32 s12, s10
	v_and_b32_e32 v17, 16, v6
	v_cmp_lt_i32_e64 s[20:21], v18, v19
	v_mad_u32_u24 v1, v1, s22, v0
	s_mov_b32 s11, s10
	s_mov_b32 s13, s10
	v_mul_u32_u24_e32 v16, 0xc0, v7
	v_mul_u32_u24_e32 v15, 3, v6
	v_and_b32_e32 v14, 15, v6
	v_cmp_eq_u32_e64 s[6:7], v0, v8
	v_lshlrev_b32_e32 v13, 2, v7
	v_and_b32_e32 v20, 1, v6
	v_mov_b32_e32 v7, s10
	v_mov_b32_e32 v9, s12
	v_cmp_eq_u32_e64 s[18:19], 0, v17
	v_cndmask_b32_e64 v17, v18, v6, s[20:21]
	v_lshrrev_b32_e32 v1, 4, v1
	s_mov_b32 s29, 10
	v_mov_b32_e32 v5, 0
	v_lshlrev_b32_e32 v12, 4, v0
	v_cmp_gt_u32_e32 vcc, 2, v0
	v_cmp_lt_u32_e64 s[0:1], 63, v0
	v_cmp_eq_u32_e64 s[2:3], 0, v0
	v_cmp_lt_u32_e64 s[4:5], 31, v6
	v_mov_b32_e32 v8, s11
	v_mov_b32_e32 v10, s13
	v_cmp_eq_u32_e64 s[10:11], 0, v14
	v_cmp_lt_u32_e64 s[12:13], 1, v14
	v_cmp_lt_u32_e64 s[14:15], 3, v14
	;; [unrolled: 1-line block ×3, first 2 shown]
	v_cmp_eq_u32_e64 s[20:21], 0, v20
	v_add_u32_e32 v14, -4, v13
	v_add_u32_e32 v15, v15, v16
	v_add_u32_e32 v16, v6, v16
	v_lshlrev_b32_e32 v17, 2, v17
	v_and_b32_e32 v18, 0xffffffc, v1
	v_mov_b32_e32 v19, 3
	s_waitcnt vmcnt(1)
	v_lshrrev_b32_e32 v1, 8, v3
	s_branch .LBB250_2
.LBB250_1:                              ;   in Loop: Header=BB250_2 Depth=1
	s_or_b64 exec, exec, s[22:23]
	s_waitcnt lgkmcnt(0)
	v_add_u32_e32 v4, v30, v4
	ds_bpermute_b32 v4, v17, v4
	s_add_i32 s29, s29, -1
	s_cmp_eq_u32 s29, 0
	s_waitcnt lgkmcnt(0)
	v_cndmask_b32_e64 v4, v4, v30, s[8:9]
	v_cndmask_b32_e64 v30, v4, 0, s[2:3]
	v_add_u32_e32 v31, v30, v1
	v_add_u32_e32 v1, v31, v2
	;; [unrolled: 1-line block ×3, first 2 shown]
	ds_write2_b64 v12, v[30:31], v[1:2] offset0:1 offset1:2
	s_waitcnt lgkmcnt(0)
	s_barrier
	ds_read_b32 v1, v24 offset:8
	ds_read_b32 v2, v26 offset:8
	ds_read_b32 v3, v29 offset:8
	s_waitcnt lgkmcnt(0)
	s_barrier
	v_add_u32_e32 v1, v1, v23
	ds_write_b8 v1, v22
	v_add3_u32 v1, v27, v25, v2
	ds_write_b8 v1, v21
	v_add3_u32 v1, v6, v28, v3
	ds_write_b8 v1, v20
	s_waitcnt lgkmcnt(0)
	s_barrier
	ds_read_u8 v1, v0
	ds_read_u8 v2, v0 offset:128
	ds_read_u8 v4, v0 offset:256
	s_waitcnt lgkmcnt(2)
	v_xor_b32_e32 v3, 0xffffff80, v1
	s_waitcnt lgkmcnt(1)
	v_xor_b32_e32 v1, 0xffffff80, v2
	s_waitcnt lgkmcnt(0)
	v_xor_b32_e32 v4, 0xffffff80, v4
	s_cbranch_scc1 .LBB250_14
.LBB250_2:                              ; =>This Inner Loop Header: Depth=1
	v_xor_b32_e32 v2, 0x80, v3
	v_xor_b32_e32 v1, 0x80, v1
	s_waitcnt vmcnt(0)
	v_xor_b32_e32 v3, 0x80, v4
	ds_write_b8 v15, v2
	ds_write_b8 v15, v1 offset:1
	ds_write_b8 v15, v3 offset:2
	; wave barrier
	ds_read_u8 v22, v16
	ds_read_u8 v21, v16 offset:64
	ds_read_u8 v20, v16 offset:128
	; wave barrier
	s_waitcnt lgkmcnt(2)
	v_and_b32_e32 v1, 1, v22
	v_add_co_u32_e64 v2, s[22:23], -1, v1
	v_addc_co_u32_e64 v4, s[22:23], 0, -1, s[22:23]
	v_cmp_ne_u32_e64 s[22:23], 0, v1
	v_lshlrev_b32_e32 v6, 30, v22
	v_xor_b32_e32 v1, s23, v4
	v_xor_b32_e32 v2, s22, v2
	v_cmp_gt_i64_e64 s[22:23], 0, v[5:6]
	v_not_b32_e32 v4, v6
	v_ashrrev_i32_e32 v4, 31, v4
	v_and_b32_e32 v1, exec_hi, v1
	v_xor_b32_e32 v6, s23, v4
	v_and_b32_e32 v2, exec_lo, v2
	v_xor_b32_e32 v4, s22, v4
	v_and_b32_e32 v1, v1, v6
	v_lshlrev_b32_e32 v6, 29, v22
	v_and_b32_e32 v2, v2, v4
	v_cmp_gt_i64_e64 s[22:23], 0, v[5:6]
	v_not_b32_e32 v4, v6
	v_ashrrev_i32_e32 v4, 31, v4
	v_xor_b32_e32 v6, s23, v4
	v_xor_b32_e32 v4, s22, v4
	v_and_b32_e32 v1, v1, v6
	v_lshlrev_b32_e32 v6, 28, v22
	v_and_b32_e32 v2, v2, v4
	v_cmp_gt_i64_e64 s[22:23], 0, v[5:6]
	v_not_b32_e32 v4, v6
	v_ashrrev_i32_e32 v4, 31, v4
	v_xor_b32_e32 v6, s23, v4
	;; [unrolled: 8-line block ×6, first 2 shown]
	v_xor_b32_e32 v23, s22, v2
	v_and_b32_e32 v2, v1, v6
	v_and_b32_e32 v1, v4, v23
	v_mbcnt_lo_u32_b32 v4, v1, 0
	v_mbcnt_hi_u32_b32 v23, v2, v4
	v_cmp_ne_u64_e64 s[22:23], 0, v[1:2]
	v_lshlrev_b32_sdwa v3, v19, v22 dst_sel:DWORD dst_unused:UNUSED_PAD src0_sel:DWORD src1_sel:BYTE_0
	v_cmp_eq_u32_e64 s[24:25], 0, v23
	s_and_b64 s[24:25], s[22:23], s[24:25]
	v_add_u32_e32 v24, v18, v3
	; wave barrier
	s_waitcnt lgkmcnt(0)
	s_barrier
	ds_write2_b64 v12, v[7:8], v[9:10] offset0:1 offset1:2
	s_waitcnt lgkmcnt(0)
	s_barrier
	; wave barrier
	s_and_saveexec_b64 s[22:23], s[24:25]
; %bb.3:                                ;   in Loop: Header=BB250_2 Depth=1
	v_bcnt_u32_b32 v1, v1, 0
	v_bcnt_u32_b32 v1, v2, v1
	ds_write_b32 v24, v1 offset:8
; %bb.4:                                ;   in Loop: Header=BB250_2 Depth=1
	s_or_b64 exec, exec, s[22:23]
	v_lshlrev_b32_sdwa v1, v19, v21 dst_sel:DWORD dst_unused:UNUSED_PAD src0_sel:DWORD src1_sel:BYTE_0
	v_add_u32_e32 v26, v18, v1
	v_and_b32_e32 v1, 1, v21
	v_add_co_u32_e64 v2, s[22:23], -1, v1
	v_addc_co_u32_e64 v3, s[22:23], 0, -1, s[22:23]
	v_cmp_ne_u32_e64 s[22:23], 0, v1
	v_lshlrev_b32_e32 v6, 30, v21
	v_xor_b32_e32 v1, s23, v3
	v_xor_b32_e32 v2, s22, v2
	v_cmp_gt_i64_e64 s[22:23], 0, v[5:6]
	v_not_b32_e32 v3, v6
	v_ashrrev_i32_e32 v3, 31, v3
	v_and_b32_e32 v2, exec_lo, v2
	v_xor_b32_e32 v4, s23, v3
	v_xor_b32_e32 v3, s22, v3
	v_lshlrev_b32_e32 v6, 29, v21
	v_and_b32_e32 v2, v2, v3
	v_cmp_gt_i64_e64 s[22:23], 0, v[5:6]
	v_not_b32_e32 v3, v6
	v_and_b32_e32 v1, exec_hi, v1
	v_ashrrev_i32_e32 v3, 31, v3
	v_and_b32_e32 v1, v1, v4
	v_xor_b32_e32 v4, s23, v3
	v_xor_b32_e32 v3, s22, v3
	v_lshlrev_b32_e32 v6, 28, v21
	v_and_b32_e32 v2, v2, v3
	v_cmp_gt_i64_e64 s[22:23], 0, v[5:6]
	v_not_b32_e32 v3, v6
	v_ashrrev_i32_e32 v3, 31, v3
	v_and_b32_e32 v1, v1, v4
	v_xor_b32_e32 v4, s23, v3
	v_xor_b32_e32 v3, s22, v3
	v_lshlrev_b32_e32 v6, 27, v21
	v_and_b32_e32 v2, v2, v3
	v_cmp_gt_i64_e64 s[22:23], 0, v[5:6]
	v_not_b32_e32 v3, v6
	;; [unrolled: 8-line block ×5, first 2 shown]
	v_ashrrev_i32_e32 v2, 31, v2
	v_and_b32_e32 v1, v1, v4
	v_xor_b32_e32 v4, s23, v2
	v_xor_b32_e32 v6, s22, v2
	; wave barrier
	ds_read_b32 v25, v26 offset:8
	v_and_b32_e32 v2, v1, v4
	v_and_b32_e32 v1, v3, v6
	v_mbcnt_lo_u32_b32 v3, v1, 0
	v_mbcnt_hi_u32_b32 v27, v2, v3
	v_cmp_ne_u64_e64 s[22:23], 0, v[1:2]
	v_cmp_eq_u32_e64 s[24:25], 0, v27
	s_and_b64 s[24:25], s[22:23], s[24:25]
	; wave barrier
	s_and_saveexec_b64 s[22:23], s[24:25]
	s_cbranch_execz .LBB250_6
; %bb.5:                                ;   in Loop: Header=BB250_2 Depth=1
	v_bcnt_u32_b32 v1, v1, 0
	v_bcnt_u32_b32 v1, v2, v1
	s_waitcnt lgkmcnt(0)
	v_add_u32_e32 v1, v25, v1
	ds_write_b32 v26, v1 offset:8
.LBB250_6:                              ;   in Loop: Header=BB250_2 Depth=1
	s_or_b64 exec, exec, s[22:23]
	v_lshlrev_b32_sdwa v1, v19, v20 dst_sel:DWORD dst_unused:UNUSED_PAD src0_sel:DWORD src1_sel:BYTE_0
	v_add_u32_e32 v29, v18, v1
	v_and_b32_e32 v1, 1, v20
	v_add_co_u32_e64 v2, s[22:23], -1, v1
	v_addc_co_u32_e64 v3, s[22:23], 0, -1, s[22:23]
	v_cmp_ne_u32_e64 s[22:23], 0, v1
	v_lshlrev_b32_e32 v6, 30, v20
	v_xor_b32_e32 v1, s23, v3
	v_xor_b32_e32 v2, s22, v2
	v_cmp_gt_i64_e64 s[22:23], 0, v[5:6]
	v_not_b32_e32 v3, v6
	v_ashrrev_i32_e32 v3, 31, v3
	v_and_b32_e32 v2, exec_lo, v2
	v_xor_b32_e32 v4, s23, v3
	v_xor_b32_e32 v3, s22, v3
	v_lshlrev_b32_e32 v6, 29, v20
	v_and_b32_e32 v2, v2, v3
	v_cmp_gt_i64_e64 s[22:23], 0, v[5:6]
	v_not_b32_e32 v3, v6
	v_and_b32_e32 v1, exec_hi, v1
	v_ashrrev_i32_e32 v3, 31, v3
	v_and_b32_e32 v1, v1, v4
	v_xor_b32_e32 v4, s23, v3
	v_xor_b32_e32 v3, s22, v3
	v_lshlrev_b32_e32 v6, 28, v20
	v_and_b32_e32 v2, v2, v3
	v_cmp_gt_i64_e64 s[22:23], 0, v[5:6]
	v_not_b32_e32 v3, v6
	v_ashrrev_i32_e32 v3, 31, v3
	v_and_b32_e32 v1, v1, v4
	v_xor_b32_e32 v4, s23, v3
	v_xor_b32_e32 v3, s22, v3
	v_lshlrev_b32_e32 v6, 27, v20
	v_and_b32_e32 v2, v2, v3
	v_cmp_gt_i64_e64 s[22:23], 0, v[5:6]
	v_not_b32_e32 v3, v6
	;; [unrolled: 8-line block ×5, first 2 shown]
	v_ashrrev_i32_e32 v2, 31, v2
	v_and_b32_e32 v1, v1, v4
	v_xor_b32_e32 v4, s23, v2
	v_xor_b32_e32 v6, s22, v2
	; wave barrier
	ds_read_b32 v28, v29 offset:8
	v_and_b32_e32 v2, v1, v4
	v_and_b32_e32 v1, v3, v6
	v_mbcnt_lo_u32_b32 v3, v1, 0
	v_mbcnt_hi_u32_b32 v6, v2, v3
	v_cmp_ne_u64_e64 s[22:23], 0, v[1:2]
	v_cmp_eq_u32_e64 s[24:25], 0, v6
	s_and_b64 s[24:25], s[22:23], s[24:25]
	; wave barrier
	s_and_saveexec_b64 s[22:23], s[24:25]
	s_cbranch_execz .LBB250_8
; %bb.7:                                ;   in Loop: Header=BB250_2 Depth=1
	v_bcnt_u32_b32 v1, v1, 0
	v_bcnt_u32_b32 v1, v2, v1
	s_waitcnt lgkmcnt(0)
	v_add_u32_e32 v1, v28, v1
	ds_write_b32 v29, v1 offset:8
.LBB250_8:                              ;   in Loop: Header=BB250_2 Depth=1
	s_or_b64 exec, exec, s[22:23]
	; wave barrier
	s_waitcnt lgkmcnt(0)
	s_barrier
	ds_read2_b64 v[1:4], v12 offset0:1 offset1:2
	s_waitcnt lgkmcnt(0)
	v_add_u32_e32 v30, v2, v1
	v_add3_u32 v4, v30, v3, v4
	s_nop 1
	v_mov_b32_dpp v30, v4 row_shr:1 row_mask:0xf bank_mask:0xf
	v_cndmask_b32_e64 v30, v30, 0, s[10:11]
	v_add_u32_e32 v4, v30, v4
	s_nop 1
	v_mov_b32_dpp v30, v4 row_shr:2 row_mask:0xf bank_mask:0xf
	v_cndmask_b32_e64 v30, 0, v30, s[12:13]
	v_add_u32_e32 v4, v4, v30
	;; [unrolled: 4-line block ×4, first 2 shown]
	s_nop 1
	v_mov_b32_dpp v30, v4 row_bcast:15 row_mask:0xf bank_mask:0xf
	v_cndmask_b32_e64 v30, v30, 0, s[18:19]
	v_add_u32_e32 v4, v4, v30
	s_nop 1
	v_mov_b32_dpp v30, v4 row_bcast:31 row_mask:0xf bank_mask:0xf
	v_cndmask_b32_e64 v30, 0, v30, s[4:5]
	v_add_u32_e32 v4, v4, v30
	s_and_saveexec_b64 s[22:23], s[6:7]
; %bb.9:                                ;   in Loop: Header=BB250_2 Depth=1
	ds_write_b32 v13, v4
; %bb.10:                               ;   in Loop: Header=BB250_2 Depth=1
	s_or_b64 exec, exec, s[22:23]
	s_waitcnt lgkmcnt(0)
	s_barrier
	s_and_saveexec_b64 s[22:23], vcc
	s_cbranch_execz .LBB250_12
; %bb.11:                               ;   in Loop: Header=BB250_2 Depth=1
	v_add_u32_e32 v30, v0, v11
	ds_read_b32 v31, v30
	s_waitcnt lgkmcnt(0)
	s_nop 0
	v_mov_b32_dpp v32, v31 row_shr:1 row_mask:0xf bank_mask:0xf
	v_cndmask_b32_e64 v32, v32, 0, s[20:21]
	v_add_u32_e32 v31, v32, v31
	ds_write_b32 v30, v31
.LBB250_12:                             ;   in Loop: Header=BB250_2 Depth=1
	s_or_b64 exec, exec, s[22:23]
	v_mov_b32_e32 v30, 0
	s_waitcnt lgkmcnt(0)
	s_barrier
	s_and_saveexec_b64 s[22:23], s[0:1]
	s_cbranch_execz .LBB250_1
; %bb.13:                               ;   in Loop: Header=BB250_2 Depth=1
	ds_read_b32 v30, v14
	s_branch .LBB250_1
.LBB250_14:
	s_add_u32 s0, s26, s28
	s_addc_u32 s1, s27, 0
	global_store_byte v0, v3, s[0:1]
	global_store_byte v0, v1, s[0:1] offset:128
	global_store_byte v0, v4, s[0:1] offset:256
	s_endpgm
	.section	.rodata,"a",@progbits
	.p2align	6, 0x0
	.amdhsa_kernel _Z16sort_keys_kernelI22helper_blocked_stripedaLj128ELj3ELj10EEvPKT0_PS1_
		.amdhsa_group_segment_fixed_size 2064
		.amdhsa_private_segment_fixed_size 0
		.amdhsa_kernarg_size 272
		.amdhsa_user_sgpr_count 6
		.amdhsa_user_sgpr_private_segment_buffer 1
		.amdhsa_user_sgpr_dispatch_ptr 0
		.amdhsa_user_sgpr_queue_ptr 0
		.amdhsa_user_sgpr_kernarg_segment_ptr 1
		.amdhsa_user_sgpr_dispatch_id 0
		.amdhsa_user_sgpr_flat_scratch_init 0
		.amdhsa_user_sgpr_private_segment_size 0
		.amdhsa_uses_dynamic_stack 0
		.amdhsa_system_sgpr_private_segment_wavefront_offset 0
		.amdhsa_system_sgpr_workgroup_id_x 1
		.amdhsa_system_sgpr_workgroup_id_y 0
		.amdhsa_system_sgpr_workgroup_id_z 0
		.amdhsa_system_sgpr_workgroup_info 0
		.amdhsa_system_vgpr_workitem_id 2
		.amdhsa_next_free_vgpr 33
		.amdhsa_next_free_sgpr 61
		.amdhsa_reserve_vcc 1
		.amdhsa_reserve_flat_scratch 0
		.amdhsa_float_round_mode_32 0
		.amdhsa_float_round_mode_16_64 0
		.amdhsa_float_denorm_mode_32 3
		.amdhsa_float_denorm_mode_16_64 3
		.amdhsa_dx10_clamp 1
		.amdhsa_ieee_mode 1
		.amdhsa_fp16_overflow 0
		.amdhsa_exception_fp_ieee_invalid_op 0
		.amdhsa_exception_fp_denorm_src 0
		.amdhsa_exception_fp_ieee_div_zero 0
		.amdhsa_exception_fp_ieee_overflow 0
		.amdhsa_exception_fp_ieee_underflow 0
		.amdhsa_exception_fp_ieee_inexact 0
		.amdhsa_exception_int_div_zero 0
	.end_amdhsa_kernel
	.section	.text._Z16sort_keys_kernelI22helper_blocked_stripedaLj128ELj3ELj10EEvPKT0_PS1_,"axG",@progbits,_Z16sort_keys_kernelI22helper_blocked_stripedaLj128ELj3ELj10EEvPKT0_PS1_,comdat
.Lfunc_end250:
	.size	_Z16sort_keys_kernelI22helper_blocked_stripedaLj128ELj3ELj10EEvPKT0_PS1_, .Lfunc_end250-_Z16sort_keys_kernelI22helper_blocked_stripedaLj128ELj3ELj10EEvPKT0_PS1_
                                        ; -- End function
	.set _Z16sort_keys_kernelI22helper_blocked_stripedaLj128ELj3ELj10EEvPKT0_PS1_.num_vgpr, 33
	.set _Z16sort_keys_kernelI22helper_blocked_stripedaLj128ELj3ELj10EEvPKT0_PS1_.num_agpr, 0
	.set _Z16sort_keys_kernelI22helper_blocked_stripedaLj128ELj3ELj10EEvPKT0_PS1_.numbered_sgpr, 30
	.set _Z16sort_keys_kernelI22helper_blocked_stripedaLj128ELj3ELj10EEvPKT0_PS1_.num_named_barrier, 0
	.set _Z16sort_keys_kernelI22helper_blocked_stripedaLj128ELj3ELj10EEvPKT0_PS1_.private_seg_size, 0
	.set _Z16sort_keys_kernelI22helper_blocked_stripedaLj128ELj3ELj10EEvPKT0_PS1_.uses_vcc, 1
	.set _Z16sort_keys_kernelI22helper_blocked_stripedaLj128ELj3ELj10EEvPKT0_PS1_.uses_flat_scratch, 0
	.set _Z16sort_keys_kernelI22helper_blocked_stripedaLj128ELj3ELj10EEvPKT0_PS1_.has_dyn_sized_stack, 0
	.set _Z16sort_keys_kernelI22helper_blocked_stripedaLj128ELj3ELj10EEvPKT0_PS1_.has_recursion, 0
	.set _Z16sort_keys_kernelI22helper_blocked_stripedaLj128ELj3ELj10EEvPKT0_PS1_.has_indirect_call, 0
	.section	.AMDGPU.csdata,"",@progbits
; Kernel info:
; codeLenInByte = 2160
; TotalNumSgprs: 34
; NumVgprs: 33
; ScratchSize: 0
; MemoryBound: 0
; FloatMode: 240
; IeeeMode: 1
; LDSByteSize: 2064 bytes/workgroup (compile time only)
; SGPRBlocks: 8
; VGPRBlocks: 8
; NumSGPRsForWavesPerEU: 65
; NumVGPRsForWavesPerEU: 33
; Occupancy: 7
; WaveLimiterHint : 1
; COMPUTE_PGM_RSRC2:SCRATCH_EN: 0
; COMPUTE_PGM_RSRC2:USER_SGPR: 6
; COMPUTE_PGM_RSRC2:TRAP_HANDLER: 0
; COMPUTE_PGM_RSRC2:TGID_X_EN: 1
; COMPUTE_PGM_RSRC2:TGID_Y_EN: 0
; COMPUTE_PGM_RSRC2:TGID_Z_EN: 0
; COMPUTE_PGM_RSRC2:TIDIG_COMP_CNT: 2
	.section	.text._Z17sort_pairs_kernelI22helper_blocked_stripedaLj128ELj3ELj10EEvPKT0_PS1_,"axG",@progbits,_Z17sort_pairs_kernelI22helper_blocked_stripedaLj128ELj3ELj10EEvPKT0_PS1_,comdat
	.protected	_Z17sort_pairs_kernelI22helper_blocked_stripedaLj128ELj3ELj10EEvPKT0_PS1_ ; -- Begin function _Z17sort_pairs_kernelI22helper_blocked_stripedaLj128ELj3ELj10EEvPKT0_PS1_
	.globl	_Z17sort_pairs_kernelI22helper_blocked_stripedaLj128ELj3ELj10EEvPKT0_PS1_
	.p2align	8
	.type	_Z17sort_pairs_kernelI22helper_blocked_stripedaLj128ELj3ELj10EEvPKT0_PS1_,@function
_Z17sort_pairs_kernelI22helper_blocked_stripedaLj128ELj3ELj10EEvPKT0_PS1_: ; @_Z17sort_pairs_kernelI22helper_blocked_stripedaLj128ELj3ELj10EEvPKT0_PS1_
; %bb.0:
	s_load_dwordx4 s[24:27], s[4:5], 0x0
	s_load_dword s22, s[4:5], 0x1c
	s_mul_i32 s28, s6, 0x180
	v_mul_u32_u24_e32 v11, 3, v0
	v_mbcnt_lo_u32_b32 v7, -1, 0
	s_waitcnt lgkmcnt(0)
	s_add_u32 s0, s24, s28
	s_addc_u32 s1, s25, 0
	global_load_ushort v3, v11, s[0:1]
	global_load_sbyte v4, v11, s[0:1] offset:2
	s_mov_b32 s10, 0
	v_mbcnt_hi_u32_b32 v15, -1, v7
	s_lshr_b32 s23, s22, 16
	v_lshrrev_b32_e32 v7, 6, v0
	v_or_b32_e32 v8, 63, v0
	s_mov_b32 s12, s10
	v_subrev_co_u32_e64 v19, s[8:9], 1, v15
	v_and_b32_e32 v20, 64, v15
	s_and_b32 s22, s22, 0xffff
	v_mad_u32_u24 v1, v2, s23, v1
	s_mov_b32 s11, s10
	s_mov_b32 s13, s10
	v_mul_u32_u24_e32 v16, 0xc0, v7
	v_and_b32_e32 v17, 15, v15
	v_cmp_eq_u32_e64 s[6:7], v0, v8
	v_lshlrev_b32_e32 v13, 2, v7
	v_mov_b32_e32 v7, s10
	v_mov_b32_e32 v9, s12
	v_cmp_lt_i32_e64 s[20:21], v19, v20
	v_mad_u32_u24 v1, v1, s22, v0
	v_mul_u32_u24_e32 v14, 3, v15
	v_mov_b32_e32 v8, s11
	v_mov_b32_e32 v10, s13
	v_cmp_eq_u32_e64 s[10:11], 0, v17
	v_cmp_lt_u32_e64 s[12:13], 1, v17
	v_cmp_lt_u32_e64 s[14:15], 3, v17
	;; [unrolled: 1-line block ×3, first 2 shown]
	v_cndmask_b32_e64 v17, v19, v15, s[20:21]
	v_lshrrev_b32_e32 v1, 4, v1
	v_and_b32_e32 v18, 16, v15
	v_cmp_lt_u32_e64 s[4:5], 31, v15
	v_and_b32_e32 v21, 1, v15
	v_add_u32_e32 v14, v14, v16
	v_add_u32_e32 v15, v15, v16
	v_lshlrev_b32_e32 v16, 2, v17
	v_and_b32_e32 v17, 0xffffffc, v1
	v_mov_b32_e32 v6, 8
	v_cmp_eq_u32_e64 s[18:19], 0, v18
	s_mov_b32 s29, 10
	v_mov_b32_e32 v5, 0
	s_mov_b32 s30, 0xc0c0004
	v_lshlrev_b32_e32 v12, 4, v0
	v_cmp_gt_u32_e32 vcc, 2, v0
	v_cmp_lt_u32_e64 s[0:1], 63, v0
	v_cmp_eq_u32_e64 s[2:3], 0, v0
	v_cmp_eq_u32_e64 s[20:21], 0, v21
	s_waitcnt vmcnt(1)
	v_lshrrev_b32_e32 v2, 8, v3
	v_add_u16_e32 v1, 1, v3
	v_lshlrev_b16_e32 v19, 8, v2
	v_or_b32_sdwa v1, v19, v1 dst_sel:DWORD dst_unused:UNUSED_PAD src0_sel:DWORD src1_sel:BYTE_0
	s_waitcnt vmcnt(0)
	v_add_u16_e32 v18, 1, v4
	v_add_u16_e32 v1, 0x100, v1
	v_and_b32_e32 v18, 0xff, v18
	v_lshrrev_b32_sdwa v6, v6, v1 dst_sel:BYTE_1 dst_unused:UNUSED_PAD src0_sel:DWORD src1_sel:DWORD
	v_lshlrev_b32_e32 v18, 16, v18
	v_or_b32_sdwa v1, v1, v6 dst_sel:DWORD dst_unused:UNUSED_PAD src0_sel:BYTE_0 src1_sel:DWORD
	v_or_b32_sdwa v1, v1, v18 dst_sel:DWORD dst_unused:UNUSED_PAD src0_sel:WORD_0 src1_sel:DWORD
	v_mov_b32_e32 v18, 3
	s_branch .LBB251_2
.LBB251_1:                              ;   in Loop: Header=BB251_2 Depth=1
	s_or_b64 exec, exec, s[22:23]
	s_waitcnt lgkmcnt(0)
	v_add_u32_e32 v4, v32, v4
	ds_bpermute_b32 v4, v16, v4
	s_add_i32 s29, s29, -1
	s_cmp_eq_u32 s29, 0
	s_waitcnt lgkmcnt(0)
	v_cndmask_b32_e64 v4, v4, v32, s[8:9]
	v_cndmask_b32_e64 v32, v4, 0, s[2:3]
	v_add_u32_e32 v33, v32, v1
	v_add_u32_e32 v1, v33, v2
	;; [unrolled: 1-line block ×3, first 2 shown]
	ds_write2_b64 v12, v[32:33], v[1:2] offset0:1 offset1:2
	s_waitcnt lgkmcnt(0)
	s_barrier
	ds_read_b32 v1, v26 offset:8
	ds_read_b32 v2, v28 offset:8
	;; [unrolled: 1-line block ×3, first 2 shown]
	s_waitcnt lgkmcnt(0)
	s_barrier
	v_add_u32_e32 v1, v1, v25
	v_add3_u32 v2, v29, v27, v2
	v_add3_u32 v3, v6, v30, v3
	ds_write_b8 v1, v21
	ds_write_b8 v2, v20
	;; [unrolled: 1-line block ×3, first 2 shown]
	s_waitcnt lgkmcnt(0)
	s_barrier
	ds_read_u8 v4, v0
	ds_read_u8 v21, v0 offset:128
	ds_read_u8 v25, v0 offset:256
	s_waitcnt lgkmcnt(0)
	s_barrier
	ds_write_b8 v1, v22
	ds_write_b8 v2, v23
	;; [unrolled: 1-line block ×3, first 2 shown]
	s_waitcnt lgkmcnt(0)
	s_barrier
	ds_read_u8 v6, v0
	ds_read_u8 v19, v0 offset:128
	ds_read_u8 v20, v0 offset:256
	v_xor_b32_e32 v3, 0xffffff80, v4
	v_xor_b32_e32 v4, 0xffffff80, v25
	s_waitcnt lgkmcnt(1)
	v_perm_b32 v1, v6, v19, s30
	s_waitcnt lgkmcnt(0)
	v_lshlrev_b32_e32 v2, 16, v20
	v_or_b32_e32 v1, v1, v2
	v_xor_b32_e32 v2, 0xffffff80, v21
	s_cbranch_scc1 .LBB251_14
.LBB251_2:                              ; =>This Inner Loop Header: Depth=1
	v_xor_b32_e32 v3, 0x80, v3
	v_xor_b32_e32 v2, 0x80, v2
	;; [unrolled: 1-line block ×3, first 2 shown]
	ds_write_b8 v14, v3
	ds_write_b8 v14, v2 offset:1
	ds_write_b8 v14, v4 offset:2
	; wave barrier
	ds_read_u8 v21, v15
	ds_read_u8 v20, v15 offset:64
	ds_read_u8 v19, v15 offset:128
	v_lshrrev_b32_e32 v2, 8, v1
	; wave barrier
	ds_write_b8 v14, v1
	ds_write_b8 v14, v2 offset:1
	ds_write_b8_d16_hi v14, v1 offset:2
	s_waitcnt lgkmcnt(5)
	v_and_b32_e32 v1, 1, v21
	v_add_co_u32_e64 v2, s[22:23], -1, v1
	v_addc_co_u32_e64 v4, s[22:23], 0, -1, s[22:23]
	v_cmp_ne_u32_e64 s[22:23], 0, v1
	v_lshlrev_b32_e32 v6, 30, v21
	v_xor_b32_e32 v1, s23, v4
	v_xor_b32_e32 v2, s22, v2
	v_cmp_gt_i64_e64 s[22:23], 0, v[5:6]
	v_not_b32_e32 v4, v6
	v_ashrrev_i32_e32 v4, 31, v4
	v_and_b32_e32 v1, exec_hi, v1
	v_xor_b32_e32 v6, s23, v4
	v_and_b32_e32 v2, exec_lo, v2
	v_xor_b32_e32 v4, s22, v4
	v_and_b32_e32 v1, v1, v6
	v_lshlrev_b32_e32 v6, 29, v21
	v_and_b32_e32 v2, v2, v4
	v_cmp_gt_i64_e64 s[22:23], 0, v[5:6]
	v_not_b32_e32 v4, v6
	v_ashrrev_i32_e32 v4, 31, v4
	v_xor_b32_e32 v6, s23, v4
	v_xor_b32_e32 v4, s22, v4
	v_and_b32_e32 v1, v1, v6
	v_lshlrev_b32_e32 v6, 28, v21
	v_and_b32_e32 v2, v2, v4
	v_cmp_gt_i64_e64 s[22:23], 0, v[5:6]
	v_not_b32_e32 v4, v6
	v_ashrrev_i32_e32 v4, 31, v4
	v_xor_b32_e32 v6, s23, v4
	;; [unrolled: 8-line block ×5, first 2 shown]
	v_xor_b32_e32 v4, s22, v4
	v_and_b32_e32 v1, v1, v6
	v_lshlrev_b32_e32 v6, 24, v21
	v_and_b32_e32 v4, v2, v4
	v_cmp_gt_i64_e64 s[22:23], 0, v[5:6]
	v_not_b32_e32 v2, v6
	v_ashrrev_i32_e32 v2, 31, v2
	; wave barrier
	ds_read_u8 v22, v15
	ds_read_u8 v23, v15 offset:64
	ds_read_u8 v24, v15 offset:128
	v_xor_b32_e32 v6, s23, v2
	v_xor_b32_e32 v25, s22, v2
	v_and_b32_e32 v2, v1, v6
	v_and_b32_e32 v1, v4, v25
	v_mbcnt_lo_u32_b32 v4, v1, 0
	v_mbcnt_hi_u32_b32 v25, v2, v4
	v_cmp_ne_u64_e64 s[22:23], 0, v[1:2]
	v_lshlrev_b32_sdwa v3, v18, v21 dst_sel:DWORD dst_unused:UNUSED_PAD src0_sel:DWORD src1_sel:BYTE_0
	v_cmp_eq_u32_e64 s[24:25], 0, v25
	s_and_b64 s[24:25], s[22:23], s[24:25]
	v_add_u32_e32 v26, v17, v3
	s_waitcnt lgkmcnt(0)
	s_barrier
	ds_write2_b64 v12, v[7:8], v[9:10] offset0:1 offset1:2
	s_waitcnt lgkmcnt(0)
	s_barrier
	; wave barrier
	s_and_saveexec_b64 s[22:23], s[24:25]
; %bb.3:                                ;   in Loop: Header=BB251_2 Depth=1
	v_bcnt_u32_b32 v1, v1, 0
	v_bcnt_u32_b32 v1, v2, v1
	ds_write_b32 v26, v1 offset:8
; %bb.4:                                ;   in Loop: Header=BB251_2 Depth=1
	s_or_b64 exec, exec, s[22:23]
	v_lshlrev_b32_sdwa v1, v18, v20 dst_sel:DWORD dst_unused:UNUSED_PAD src0_sel:DWORD src1_sel:BYTE_0
	v_add_u32_e32 v28, v17, v1
	v_and_b32_e32 v1, 1, v20
	v_add_co_u32_e64 v2, s[22:23], -1, v1
	v_addc_co_u32_e64 v3, s[22:23], 0, -1, s[22:23]
	v_cmp_ne_u32_e64 s[22:23], 0, v1
	v_lshlrev_b32_e32 v6, 30, v20
	v_xor_b32_e32 v1, s23, v3
	v_xor_b32_e32 v2, s22, v2
	v_cmp_gt_i64_e64 s[22:23], 0, v[5:6]
	v_not_b32_e32 v3, v6
	v_ashrrev_i32_e32 v3, 31, v3
	v_and_b32_e32 v2, exec_lo, v2
	v_xor_b32_e32 v4, s23, v3
	v_xor_b32_e32 v3, s22, v3
	v_lshlrev_b32_e32 v6, 29, v20
	v_and_b32_e32 v2, v2, v3
	v_cmp_gt_i64_e64 s[22:23], 0, v[5:6]
	v_not_b32_e32 v3, v6
	v_and_b32_e32 v1, exec_hi, v1
	v_ashrrev_i32_e32 v3, 31, v3
	v_and_b32_e32 v1, v1, v4
	v_xor_b32_e32 v4, s23, v3
	v_xor_b32_e32 v3, s22, v3
	v_lshlrev_b32_e32 v6, 28, v20
	v_and_b32_e32 v2, v2, v3
	v_cmp_gt_i64_e64 s[22:23], 0, v[5:6]
	v_not_b32_e32 v3, v6
	v_ashrrev_i32_e32 v3, 31, v3
	v_and_b32_e32 v1, v1, v4
	v_xor_b32_e32 v4, s23, v3
	v_xor_b32_e32 v3, s22, v3
	v_lshlrev_b32_e32 v6, 27, v20
	v_and_b32_e32 v2, v2, v3
	v_cmp_gt_i64_e64 s[22:23], 0, v[5:6]
	v_not_b32_e32 v3, v6
	v_ashrrev_i32_e32 v3, 31, v3
	v_and_b32_e32 v1, v1, v4
	v_xor_b32_e32 v4, s23, v3
	v_xor_b32_e32 v3, s22, v3
	v_lshlrev_b32_e32 v6, 26, v20
	v_and_b32_e32 v2, v2, v3
	v_cmp_gt_i64_e64 s[22:23], 0, v[5:6]
	v_not_b32_e32 v3, v6
	v_ashrrev_i32_e32 v3, 31, v3
	v_and_b32_e32 v1, v1, v4
	v_xor_b32_e32 v4, s23, v3
	v_xor_b32_e32 v3, s22, v3
	v_lshlrev_b32_e32 v6, 25, v20
	v_and_b32_e32 v2, v2, v3
	v_cmp_gt_i64_e64 s[22:23], 0, v[5:6]
	v_not_b32_e32 v3, v6
	v_ashrrev_i32_e32 v3, 31, v3
	v_and_b32_e32 v1, v1, v4
	v_xor_b32_e32 v4, s23, v3
	v_xor_b32_e32 v3, s22, v3
	v_lshlrev_b32_e32 v6, 24, v20
	v_and_b32_e32 v3, v2, v3
	v_cmp_gt_i64_e64 s[22:23], 0, v[5:6]
	v_not_b32_e32 v2, v6
	v_ashrrev_i32_e32 v2, 31, v2
	v_and_b32_e32 v1, v1, v4
	v_xor_b32_e32 v4, s23, v2
	v_xor_b32_e32 v6, s22, v2
	; wave barrier
	ds_read_b32 v27, v28 offset:8
	v_and_b32_e32 v2, v1, v4
	v_and_b32_e32 v1, v3, v6
	v_mbcnt_lo_u32_b32 v3, v1, 0
	v_mbcnt_hi_u32_b32 v29, v2, v3
	v_cmp_ne_u64_e64 s[22:23], 0, v[1:2]
	v_cmp_eq_u32_e64 s[24:25], 0, v29
	s_and_b64 s[24:25], s[22:23], s[24:25]
	; wave barrier
	s_and_saveexec_b64 s[22:23], s[24:25]
	s_cbranch_execz .LBB251_6
; %bb.5:                                ;   in Loop: Header=BB251_2 Depth=1
	v_bcnt_u32_b32 v1, v1, 0
	v_bcnt_u32_b32 v1, v2, v1
	s_waitcnt lgkmcnt(0)
	v_add_u32_e32 v1, v27, v1
	ds_write_b32 v28, v1 offset:8
.LBB251_6:                              ;   in Loop: Header=BB251_2 Depth=1
	s_or_b64 exec, exec, s[22:23]
	v_lshlrev_b32_sdwa v1, v18, v19 dst_sel:DWORD dst_unused:UNUSED_PAD src0_sel:DWORD src1_sel:BYTE_0
	v_add_u32_e32 v31, v17, v1
	v_and_b32_e32 v1, 1, v19
	v_add_co_u32_e64 v2, s[22:23], -1, v1
	v_addc_co_u32_e64 v3, s[22:23], 0, -1, s[22:23]
	v_cmp_ne_u32_e64 s[22:23], 0, v1
	v_lshlrev_b32_e32 v6, 30, v19
	v_xor_b32_e32 v1, s23, v3
	v_xor_b32_e32 v2, s22, v2
	v_cmp_gt_i64_e64 s[22:23], 0, v[5:6]
	v_not_b32_e32 v3, v6
	v_ashrrev_i32_e32 v3, 31, v3
	v_and_b32_e32 v2, exec_lo, v2
	v_xor_b32_e32 v4, s23, v3
	v_xor_b32_e32 v3, s22, v3
	v_lshlrev_b32_e32 v6, 29, v19
	v_and_b32_e32 v2, v2, v3
	v_cmp_gt_i64_e64 s[22:23], 0, v[5:6]
	v_not_b32_e32 v3, v6
	v_and_b32_e32 v1, exec_hi, v1
	v_ashrrev_i32_e32 v3, 31, v3
	v_and_b32_e32 v1, v1, v4
	v_xor_b32_e32 v4, s23, v3
	v_xor_b32_e32 v3, s22, v3
	v_lshlrev_b32_e32 v6, 28, v19
	v_and_b32_e32 v2, v2, v3
	v_cmp_gt_i64_e64 s[22:23], 0, v[5:6]
	v_not_b32_e32 v3, v6
	v_ashrrev_i32_e32 v3, 31, v3
	v_and_b32_e32 v1, v1, v4
	v_xor_b32_e32 v4, s23, v3
	v_xor_b32_e32 v3, s22, v3
	v_lshlrev_b32_e32 v6, 27, v19
	v_and_b32_e32 v2, v2, v3
	v_cmp_gt_i64_e64 s[22:23], 0, v[5:6]
	v_not_b32_e32 v3, v6
	;; [unrolled: 8-line block ×5, first 2 shown]
	v_ashrrev_i32_e32 v2, 31, v2
	v_and_b32_e32 v1, v1, v4
	v_xor_b32_e32 v4, s23, v2
	v_xor_b32_e32 v6, s22, v2
	; wave barrier
	ds_read_b32 v30, v31 offset:8
	v_and_b32_e32 v2, v1, v4
	v_and_b32_e32 v1, v3, v6
	v_mbcnt_lo_u32_b32 v3, v1, 0
	v_mbcnt_hi_u32_b32 v6, v2, v3
	v_cmp_ne_u64_e64 s[22:23], 0, v[1:2]
	v_cmp_eq_u32_e64 s[24:25], 0, v6
	s_and_b64 s[24:25], s[22:23], s[24:25]
	; wave barrier
	s_and_saveexec_b64 s[22:23], s[24:25]
	s_cbranch_execz .LBB251_8
; %bb.7:                                ;   in Loop: Header=BB251_2 Depth=1
	v_bcnt_u32_b32 v1, v1, 0
	v_bcnt_u32_b32 v1, v2, v1
	s_waitcnt lgkmcnt(0)
	v_add_u32_e32 v1, v30, v1
	ds_write_b32 v31, v1 offset:8
.LBB251_8:                              ;   in Loop: Header=BB251_2 Depth=1
	s_or_b64 exec, exec, s[22:23]
	; wave barrier
	s_waitcnt lgkmcnt(0)
	s_barrier
	ds_read2_b64 v[1:4], v12 offset0:1 offset1:2
	s_waitcnt lgkmcnt(0)
	v_add_u32_e32 v32, v2, v1
	v_add3_u32 v4, v32, v3, v4
	s_nop 1
	v_mov_b32_dpp v32, v4 row_shr:1 row_mask:0xf bank_mask:0xf
	v_cndmask_b32_e64 v32, v32, 0, s[10:11]
	v_add_u32_e32 v4, v32, v4
	s_nop 1
	v_mov_b32_dpp v32, v4 row_shr:2 row_mask:0xf bank_mask:0xf
	v_cndmask_b32_e64 v32, 0, v32, s[12:13]
	v_add_u32_e32 v4, v4, v32
	;; [unrolled: 4-line block ×4, first 2 shown]
	s_nop 1
	v_mov_b32_dpp v32, v4 row_bcast:15 row_mask:0xf bank_mask:0xf
	v_cndmask_b32_e64 v32, v32, 0, s[18:19]
	v_add_u32_e32 v4, v4, v32
	s_nop 1
	v_mov_b32_dpp v32, v4 row_bcast:31 row_mask:0xf bank_mask:0xf
	v_cndmask_b32_e64 v32, 0, v32, s[4:5]
	v_add_u32_e32 v4, v4, v32
	s_and_saveexec_b64 s[22:23], s[6:7]
; %bb.9:                                ;   in Loop: Header=BB251_2 Depth=1
	ds_write_b32 v13, v4
; %bb.10:                               ;   in Loop: Header=BB251_2 Depth=1
	s_or_b64 exec, exec, s[22:23]
	s_waitcnt lgkmcnt(0)
	s_barrier
	s_and_saveexec_b64 s[22:23], vcc
	s_cbranch_execz .LBB251_12
; %bb.11:                               ;   in Loop: Header=BB251_2 Depth=1
	v_add_u32_e32 v32, v0, v11
	ds_read_b32 v33, v32
	s_waitcnt lgkmcnt(0)
	s_nop 0
	v_mov_b32_dpp v34, v33 row_shr:1 row_mask:0xf bank_mask:0xf
	v_cndmask_b32_e64 v34, v34, 0, s[20:21]
	v_add_u32_e32 v33, v34, v33
	ds_write_b32 v32, v33
.LBB251_12:                             ;   in Loop: Header=BB251_2 Depth=1
	s_or_b64 exec, exec, s[22:23]
	v_mov_b32_e32 v32, 0
	s_waitcnt lgkmcnt(0)
	s_barrier
	s_and_saveexec_b64 s[22:23], s[0:1]
	s_cbranch_execz .LBB251_1
; %bb.13:                               ;   in Loop: Header=BB251_2 Depth=1
	v_add_u32_e32 v32, -4, v13
	ds_read_b32 v32, v32
	s_branch .LBB251_1
.LBB251_14:
	s_add_u32 s0, s26, s28
	v_add_u16_e32 v1, v3, v6
	s_addc_u32 s1, s27, 0
	v_add_u16_e32 v2, v2, v19
	v_add_u16_e32 v3, v4, v20
	global_store_byte v0, v1, s[0:1]
	global_store_byte v0, v2, s[0:1] offset:128
	global_store_byte v0, v3, s[0:1] offset:256
	s_endpgm
	.section	.rodata,"a",@progbits
	.p2align	6, 0x0
	.amdhsa_kernel _Z17sort_pairs_kernelI22helper_blocked_stripedaLj128ELj3ELj10EEvPKT0_PS1_
		.amdhsa_group_segment_fixed_size 2064
		.amdhsa_private_segment_fixed_size 0
		.amdhsa_kernarg_size 272
		.amdhsa_user_sgpr_count 6
		.amdhsa_user_sgpr_private_segment_buffer 1
		.amdhsa_user_sgpr_dispatch_ptr 0
		.amdhsa_user_sgpr_queue_ptr 0
		.amdhsa_user_sgpr_kernarg_segment_ptr 1
		.amdhsa_user_sgpr_dispatch_id 0
		.amdhsa_user_sgpr_flat_scratch_init 0
		.amdhsa_user_sgpr_private_segment_size 0
		.amdhsa_uses_dynamic_stack 0
		.amdhsa_system_sgpr_private_segment_wavefront_offset 0
		.amdhsa_system_sgpr_workgroup_id_x 1
		.amdhsa_system_sgpr_workgroup_id_y 0
		.amdhsa_system_sgpr_workgroup_id_z 0
		.amdhsa_system_sgpr_workgroup_info 0
		.amdhsa_system_vgpr_workitem_id 2
		.amdhsa_next_free_vgpr 35
		.amdhsa_next_free_sgpr 61
		.amdhsa_reserve_vcc 1
		.amdhsa_reserve_flat_scratch 0
		.amdhsa_float_round_mode_32 0
		.amdhsa_float_round_mode_16_64 0
		.amdhsa_float_denorm_mode_32 3
		.amdhsa_float_denorm_mode_16_64 3
		.amdhsa_dx10_clamp 1
		.amdhsa_ieee_mode 1
		.amdhsa_fp16_overflow 0
		.amdhsa_exception_fp_ieee_invalid_op 0
		.amdhsa_exception_fp_denorm_src 0
		.amdhsa_exception_fp_ieee_div_zero 0
		.amdhsa_exception_fp_ieee_overflow 0
		.amdhsa_exception_fp_ieee_underflow 0
		.amdhsa_exception_fp_ieee_inexact 0
		.amdhsa_exception_int_div_zero 0
	.end_amdhsa_kernel
	.section	.text._Z17sort_pairs_kernelI22helper_blocked_stripedaLj128ELj3ELj10EEvPKT0_PS1_,"axG",@progbits,_Z17sort_pairs_kernelI22helper_blocked_stripedaLj128ELj3ELj10EEvPKT0_PS1_,comdat
.Lfunc_end251:
	.size	_Z17sort_pairs_kernelI22helper_blocked_stripedaLj128ELj3ELj10EEvPKT0_PS1_, .Lfunc_end251-_Z17sort_pairs_kernelI22helper_blocked_stripedaLj128ELj3ELj10EEvPKT0_PS1_
                                        ; -- End function
	.set _Z17sort_pairs_kernelI22helper_blocked_stripedaLj128ELj3ELj10EEvPKT0_PS1_.num_vgpr, 35
	.set _Z17sort_pairs_kernelI22helper_blocked_stripedaLj128ELj3ELj10EEvPKT0_PS1_.num_agpr, 0
	.set _Z17sort_pairs_kernelI22helper_blocked_stripedaLj128ELj3ELj10EEvPKT0_PS1_.numbered_sgpr, 31
	.set _Z17sort_pairs_kernelI22helper_blocked_stripedaLj128ELj3ELj10EEvPKT0_PS1_.num_named_barrier, 0
	.set _Z17sort_pairs_kernelI22helper_blocked_stripedaLj128ELj3ELj10EEvPKT0_PS1_.private_seg_size, 0
	.set _Z17sort_pairs_kernelI22helper_blocked_stripedaLj128ELj3ELj10EEvPKT0_PS1_.uses_vcc, 1
	.set _Z17sort_pairs_kernelI22helper_blocked_stripedaLj128ELj3ELj10EEvPKT0_PS1_.uses_flat_scratch, 0
	.set _Z17sort_pairs_kernelI22helper_blocked_stripedaLj128ELj3ELj10EEvPKT0_PS1_.has_dyn_sized_stack, 0
	.set _Z17sort_pairs_kernelI22helper_blocked_stripedaLj128ELj3ELj10EEvPKT0_PS1_.has_recursion, 0
	.set _Z17sort_pairs_kernelI22helper_blocked_stripedaLj128ELj3ELj10EEvPKT0_PS1_.has_indirect_call, 0
	.section	.AMDGPU.csdata,"",@progbits
; Kernel info:
; codeLenInByte = 2376
; TotalNumSgprs: 35
; NumVgprs: 35
; ScratchSize: 0
; MemoryBound: 0
; FloatMode: 240
; IeeeMode: 1
; LDSByteSize: 2064 bytes/workgroup (compile time only)
; SGPRBlocks: 8
; VGPRBlocks: 8
; NumSGPRsForWavesPerEU: 65
; NumVGPRsForWavesPerEU: 35
; Occupancy: 7
; WaveLimiterHint : 1
; COMPUTE_PGM_RSRC2:SCRATCH_EN: 0
; COMPUTE_PGM_RSRC2:USER_SGPR: 6
; COMPUTE_PGM_RSRC2:TRAP_HANDLER: 0
; COMPUTE_PGM_RSRC2:TGID_X_EN: 1
; COMPUTE_PGM_RSRC2:TGID_Y_EN: 0
; COMPUTE_PGM_RSRC2:TGID_Z_EN: 0
; COMPUTE_PGM_RSRC2:TIDIG_COMP_CNT: 2
	.section	.text._Z16sort_keys_kernelI22helper_blocked_stripedaLj128ELj4ELj10EEvPKT0_PS1_,"axG",@progbits,_Z16sort_keys_kernelI22helper_blocked_stripedaLj128ELj4ELj10EEvPKT0_PS1_,comdat
	.protected	_Z16sort_keys_kernelI22helper_blocked_stripedaLj128ELj4ELj10EEvPKT0_PS1_ ; -- Begin function _Z16sort_keys_kernelI22helper_blocked_stripedaLj128ELj4ELj10EEvPKT0_PS1_
	.globl	_Z16sort_keys_kernelI22helper_blocked_stripedaLj128ELj4ELj10EEvPKT0_PS1_
	.p2align	8
	.type	_Z16sort_keys_kernelI22helper_blocked_stripedaLj128ELj4ELj10EEvPKT0_PS1_,@function
_Z16sort_keys_kernelI22helper_blocked_stripedaLj128ELj4ELj10EEvPKT0_PS1_: ; @_Z16sort_keys_kernelI22helper_blocked_stripedaLj128ELj4ELj10EEvPKT0_PS1_
; %bb.0:
	s_load_dwordx4 s[36:39], s[4:5], 0x0
	s_load_dword s30, s[4:5], 0x1c
	s_lshl_b32 s33, s6, 9
	v_lshlrev_b32_e32 v3, 2, v0
	s_mov_b32 s10, 0
	s_waitcnt lgkmcnt(0)
	s_add_u32 s0, s36, s33
	s_addc_u32 s1, s37, 0
	global_load_dword v3, v3, s[0:1]
	v_mbcnt_lo_u32_b32 v4, -1, 0
	v_mbcnt_hi_u32_b32 v4, -1, v4
	v_or_b32_e32 v6, 63, v0
	v_lshrrev_b32_e32 v7, 4, v0
	s_mov_b32 s12, s10
	s_lshr_b32 s31, s30, 16
	s_mov_b32 s11, s10
	s_mov_b32 s13, s10
	v_lshrrev_b32_e32 v14, 2, v4
	v_and_b32_e32 v15, 3, v4
	v_and_b32_e32 v16, 64, v4
	v_cmp_eq_u32_e64 s[6:7], v0, v6
	v_subrev_co_u32_e64 v6, s[8:9], 1, v4
	v_and_b32_e32 v12, 4, v7
	v_mov_b32_e32 v7, s10
	v_mov_b32_e32 v9, s12
	s_and_b32 s30, s30, 0xffff
	v_mad_u32_u24 v1, v2, s31, v1
	v_mov_b32_e32 v8, s11
	v_mov_b32_e32 v10, s13
	v_cmp_eq_u32_e64 s[10:11], 3, v15
	v_cmp_eq_u32_e64 s[12:13], 2, v15
	;; [unrolled: 1-line block ×4, first 2 shown]
	v_or_b32_e32 v15, v14, v16
	v_add_u32_e32 v20, 48, v14
	v_cmp_lt_i32_e64 s[28:29], v6, v16
	v_mad_u32_u24 v1, v1, s30, v0
	v_mul_u32_u24_e32 v13, 3, v0
	v_and_b32_e32 v17, 15, v4
	v_and_b32_e32 v18, 16, v4
	v_cmp_lt_u32_e64 s[4:5], 31, v4
	v_and_b32_e32 v19, 1, v4
	v_cndmask_b32_e64 v4, v6, v4, s[28:29]
	v_lshlrev_b32_e32 v15, 2, v15
	v_and_or_b32 v6, v20, 63, v16
	v_lshrrev_b32_e32 v1, 4, v1
	s_mov_b32 s36, 0xffff
	s_mov_b32 s37, 10
	s_movk_i32 s40, 0xff
	s_mov_b32 s41, 0x3020104
	s_mov_b32 s42, 0xffff0000
	;; [unrolled: 1-line block ×3, first 2 shown]
	v_mov_b32_e32 v5, 0
	v_lshlrev_b32_e32 v11, 4, v0
	v_cmp_gt_u32_e32 vcc, 2, v0
	v_cmp_lt_u32_e64 s[0:1], 63, v0
	v_cmp_eq_u32_e64 s[2:3], 0, v0
	v_add_u32_e32 v13, v0, v13
	v_cmp_eq_u32_e64 s[18:19], 0, v17
	v_cmp_lt_u32_e64 s[20:21], 1, v17
	v_cmp_lt_u32_e64 s[22:23], 3, v17
	v_cmp_lt_u32_e64 s[24:25], 7, v17
	v_cmp_eq_u32_e64 s[26:27], 0, v18
	v_cmp_eq_u32_e64 s[28:29], 0, v19
	v_add_u32_e32 v14, -4, v12
	v_lshlrev_b32_e32 v16, 2, v4
	v_add_u32_e32 v17, 64, v15
	v_or_b32_e32 v18, 0x80, v15
	v_lshlrev_b32_e32 v19, 2, v6
	v_and_b32_e32 v20, 0xffffffc, v1
	v_mov_b32_e32 v21, 3
	s_waitcnt vmcnt(0)
	v_lshrrev_b32_e32 v2, 24, v3
	v_lshrrev_b32_e32 v1, 16, v3
	;; [unrolled: 1-line block ×3, first 2 shown]
	s_branch .LBB252_2
.LBB252_1:                              ;   in Loop: Header=BB252_2 Depth=1
	s_or_b64 exec, exec, s[30:31]
	s_waitcnt lgkmcnt(0)
	v_add_u32_e32 v4, v36, v4
	ds_bpermute_b32 v4, v16, v4
	s_add_i32 s37, s37, -1
	s_cmp_eq_u32 s37, 0
	s_waitcnt lgkmcnt(0)
	v_cndmask_b32_e64 v4, v4, v36, s[8:9]
	v_cndmask_b32_e64 v36, v4, 0, s[2:3]
	v_add_u32_e32 v37, v36, v1
	v_add_u32_e32 v1, v37, v2
	;; [unrolled: 1-line block ×3, first 2 shown]
	ds_write2_b64 v11, v[36:37], v[1:2] offset0:1 offset1:2
	s_waitcnt lgkmcnt(0)
	s_barrier
	ds_read_b32 v1, v24 offset:8
	ds_read_b32 v2, v27 offset:8
	;; [unrolled: 1-line block ×4, first 2 shown]
	s_waitcnt lgkmcnt(0)
	v_add_u32_e32 v1, v1, v23
	s_barrier
	ds_write_b8 v1, v22
	v_add3_u32 v1, v28, v26, v2
	ds_write_b8 v1, v25
	v_add3_u32 v1, v32, v30, v3
	ds_write_b8 v1, v29
	v_add3_u32 v1, v6, v34, v4
	ds_write_b8 v1, v33
	s_waitcnt lgkmcnt(0)
	s_barrier
	ds_read_u8 v1, v0
	ds_read_u8 v2, v0 offset:128
	ds_read_u8 v6, v0 offset:256
	;; [unrolled: 1-line block ×3, first 2 shown]
	s_waitcnt lgkmcnt(3)
	v_xor_b32_e32 v3, 0xffffff80, v1
	s_waitcnt lgkmcnt(2)
	v_xor_b32_e32 v4, 0xffffff80, v2
	;; [unrolled: 2-line block ×4, first 2 shown]
	s_cbranch_scc1 .LBB252_16
.LBB252_2:                              ; =>This Inner Loop Header: Depth=1
	v_xor_b32_e32 v3, 0x80, v3
	v_xor_b32_e32 v4, 0x80, v4
	v_and_b32_e32 v3, 0xff, v3
	ds_bpermute_b32 v6, v15, v3
	v_xor_b32_e32 v1, 0x80, v1
	v_and_b32_e32 v4, 0xff, v4
	ds_bpermute_b32 v22, v15, v4
	v_and_b32_e32 v1, 0xff, v1
	ds_bpermute_b32 v23, v15, v1
	v_xor_b32_e32 v2, 0x80, v2
	v_and_b32_e32 v2, 0xff, v2
	s_waitcnt lgkmcnt(2)
	v_and_b32_e32 v6, 0xff, v6
	ds_bpermute_b32 v24, v15, v2
	v_cndmask_b32_e64 v6, 0, v6, s[16:17]
	s_waitcnt lgkmcnt(2)
	v_and_b32_e32 v22, 0xff, v22
	v_cndmask_b32_e64 v6, v6, v22, s[14:15]
	s_waitcnt lgkmcnt(1)
	v_and_b32_e32 v22, 0xff, v23
	ds_bpermute_b32 v23, v17, v3
	v_cndmask_b32_e64 v6, v6, v22, s[12:13]
	s_waitcnt lgkmcnt(1)
	v_perm_b32 v22, v24, v6, s41
	v_cndmask_b32_e64 v6, v6, v22, s[10:11]
	ds_bpermute_b32 v22, v17, v4
	s_waitcnt lgkmcnt(1)
	v_lshlrev_b16_e32 v23, 8, v23
	v_or_b32_sdwa v23, v6, v23 dst_sel:DWORD dst_unused:UNUSED_PAD src0_sel:BYTE_0 src1_sel:DWORD
	v_and_b32_e32 v23, 0xffff, v23
	v_cndmask_b32_e64 v6, v6, v23, s[16:17]
	ds_bpermute_b32 v23, v17, v1
	s_waitcnt lgkmcnt(1)
	v_lshlrev_b16_e32 v22, 8, v22
	v_or_b32_sdwa v22, v6, v22 dst_sel:DWORD dst_unused:UNUSED_PAD src0_sel:BYTE_0 src1_sel:DWORD
	v_and_b32_e32 v22, 0xffff, v22
	v_and_or_b32 v22, v6, s42, v22
	v_cndmask_b32_e64 v6, v6, v22, s[14:15]
	s_waitcnt lgkmcnt(0)
	v_lshlrev_b16_e32 v22, 8, v23
	ds_bpermute_b32 v23, v17, v2
	v_or_b32_sdwa v22, v6, v22 dst_sel:DWORD dst_unused:UNUSED_PAD src0_sel:BYTE_0 src1_sel:DWORD
	v_and_b32_e32 v22, 0xffff, v22
	v_and_or_b32 v22, v6, s42, v22
	v_cndmask_b32_e64 v6, v6, v22, s[12:13]
	s_waitcnt lgkmcnt(0)
	v_lshlrev_b16_e32 v22, 8, v23
	ds_bpermute_b32 v23, v18, v3
	v_or_b32_sdwa v22, v6, v22 dst_sel:DWORD dst_unused:UNUSED_PAD src0_sel:BYTE_0 src1_sel:DWORD
	v_and_b32_e32 v22, 0xffff, v22
	v_and_or_b32 v22, v6, s42, v22
	v_cndmask_b32_e64 v6, v6, v22, s[10:11]
	ds_bpermute_b32 v22, v18, v4
	s_waitcnt lgkmcnt(1)
	v_perm_b32 v23, v23, v6, s43
	v_lshlrev_b32_e32 v23, 16, v23
	v_and_or_b32 v23, v6, s36, v23
	v_cndmask_b32_e64 v6, v6, v23, s[16:17]
	ds_bpermute_b32 v23, v18, v1
	s_waitcnt lgkmcnt(1)
	v_perm_b32 v22, v22, v6, s43
	v_lshlrev_b32_e32 v22, 16, v22
	;; [unrolled: 6-line block ×4, first 2 shown]
	v_and_or_b32 v22, v6, s36, v22
	v_cndmask_b32_e64 v6, v6, v22, s[10:11]
	ds_bpermute_b32 v4, v19, v4
	v_and_b32_sdwa v22, v6, s40 dst_sel:DWORD dst_unused:UNUSED_PAD src0_sel:WORD_1 src1_sel:DWORD
	s_waitcnt lgkmcnt(1)
	v_lshlrev_b16_e32 v3, 8, v3
	v_or_b32_sdwa v3, v22, v3 dst_sel:WORD_1 dst_unused:UNUSED_PAD src0_sel:DWORD src1_sel:DWORD
	v_and_or_b32 v3, v6, s36, v3
	v_cndmask_b32_e64 v3, v6, v3, s[16:17]
	ds_bpermute_b32 v1, v19, v1
	v_and_b32_sdwa v6, v3, s40 dst_sel:DWORD dst_unused:UNUSED_PAD src0_sel:WORD_1 src1_sel:DWORD
	s_waitcnt lgkmcnt(1)
	v_lshlrev_b16_e32 v4, 8, v4
	v_or_b32_sdwa v4, v6, v4 dst_sel:WORD_1 dst_unused:UNUSED_PAD src0_sel:DWORD src1_sel:DWORD
	;; [unrolled: 7-line block ×3, first 2 shown]
	v_and_or_b32 v1, v3, s36, v1
	v_cndmask_b32_e64 v1, v3, v1, s[12:13]
	v_and_b32_sdwa v3, v1, s40 dst_sel:DWORD dst_unused:UNUSED_PAD src0_sel:WORD_1 src1_sel:DWORD
	s_waitcnt lgkmcnt(0)
	v_lshlrev_b16_e32 v2, 8, v2
	v_or_b32_sdwa v2, v3, v2 dst_sel:WORD_1 dst_unused:UNUSED_PAD src0_sel:DWORD src1_sel:DWORD
	v_and_or_b32 v2, v1, s36, v2
	v_cndmask_b32_e64 v22, v1, v2, s[10:11]
	v_and_b32_e32 v1, 1, v22
	v_add_co_u32_e64 v2, s[30:31], -1, v1
	v_addc_co_u32_e64 v4, s[30:31], 0, -1, s[30:31]
	v_cmp_ne_u32_e64 s[30:31], 0, v1
	v_lshlrev_b32_e32 v6, 30, v22
	v_xor_b32_e32 v1, s31, v4
	v_xor_b32_e32 v2, s30, v2
	v_cmp_gt_i64_e64 s[30:31], 0, v[5:6]
	v_not_b32_e32 v4, v6
	v_ashrrev_i32_e32 v4, 31, v4
	v_and_b32_e32 v1, exec_hi, v1
	v_xor_b32_e32 v6, s31, v4
	v_and_b32_e32 v2, exec_lo, v2
	v_xor_b32_e32 v4, s30, v4
	v_and_b32_e32 v1, v1, v6
	v_lshlrev_b32_e32 v6, 29, v22
	v_and_b32_e32 v2, v2, v4
	v_cmp_gt_i64_e64 s[30:31], 0, v[5:6]
	v_not_b32_e32 v4, v6
	v_ashrrev_i32_e32 v4, 31, v4
	v_xor_b32_e32 v6, s31, v4
	v_xor_b32_e32 v4, s30, v4
	v_and_b32_e32 v1, v1, v6
	v_lshlrev_b32_e32 v6, 28, v22
	v_and_b32_e32 v2, v2, v4
	v_cmp_gt_i64_e64 s[30:31], 0, v[5:6]
	v_not_b32_e32 v4, v6
	v_ashrrev_i32_e32 v4, 31, v4
	v_xor_b32_e32 v6, s31, v4
	;; [unrolled: 8-line block ×6, first 2 shown]
	v_xor_b32_e32 v23, s30, v2
	v_and_b32_e32 v2, v1, v6
	v_and_b32_e32 v1, v4, v23
	v_mbcnt_lo_u32_b32 v4, v1, 0
	v_mbcnt_hi_u32_b32 v23, v2, v4
	v_cmp_ne_u64_e64 s[30:31], 0, v[1:2]
	v_lshlrev_b32_sdwa v3, v21, v22 dst_sel:DWORD dst_unused:UNUSED_PAD src0_sel:DWORD src1_sel:BYTE_0
	v_cmp_eq_u32_e64 s[34:35], 0, v23
	s_and_b64 s[34:35], s[34:35], s[30:31]
	v_add_u32_e32 v24, v20, v3
	s_barrier
	ds_write2_b64 v11, v[7:8], v[9:10] offset0:1 offset1:2
	s_waitcnt lgkmcnt(0)
	s_barrier
	; wave barrier
	s_and_saveexec_b64 s[30:31], s[34:35]
; %bb.3:                                ;   in Loop: Header=BB252_2 Depth=1
	v_bcnt_u32_b32 v1, v1, 0
	v_bcnt_u32_b32 v1, v2, v1
	ds_write_b32 v24, v1 offset:8
; %bb.4:                                ;   in Loop: Header=BB252_2 Depth=1
	s_or_b64 exec, exec, s[30:31]
	v_lshlrev_b32_sdwa v1, v21, v22 dst_sel:DWORD dst_unused:UNUSED_PAD src0_sel:DWORD src1_sel:BYTE_1
	v_add_u32_e32 v27, v20, v1
	v_bfe_u32 v1, v22, 8, 1
	v_add_co_u32_e64 v2, s[30:31], -1, v1
	v_lshrrev_b32_e32 v25, 8, v22
	v_addc_co_u32_e64 v3, s[30:31], 0, -1, s[30:31]
	v_cmp_ne_u32_e64 s[30:31], 0, v1
	v_lshlrev_b32_e32 v6, 30, v25
	v_xor_b32_e32 v1, s31, v3
	v_xor_b32_e32 v2, s30, v2
	v_cmp_gt_i64_e64 s[30:31], 0, v[5:6]
	v_not_b32_e32 v3, v6
	v_ashrrev_i32_e32 v3, 31, v3
	v_and_b32_e32 v2, exec_lo, v2
	v_xor_b32_e32 v4, s31, v3
	v_xor_b32_e32 v3, s30, v3
	v_lshlrev_b32_e32 v6, 29, v25
	v_and_b32_e32 v2, v2, v3
	v_cmp_gt_i64_e64 s[30:31], 0, v[5:6]
	v_not_b32_e32 v3, v6
	v_and_b32_e32 v1, exec_hi, v1
	v_ashrrev_i32_e32 v3, 31, v3
	v_and_b32_e32 v1, v1, v4
	v_xor_b32_e32 v4, s31, v3
	v_xor_b32_e32 v3, s30, v3
	v_lshlrev_b32_e32 v6, 28, v25
	v_and_b32_e32 v2, v2, v3
	v_cmp_gt_i64_e64 s[30:31], 0, v[5:6]
	v_not_b32_e32 v3, v6
	v_ashrrev_i32_e32 v3, 31, v3
	v_and_b32_e32 v1, v1, v4
	v_xor_b32_e32 v4, s31, v3
	v_xor_b32_e32 v3, s30, v3
	v_lshlrev_b32_e32 v6, 27, v25
	v_and_b32_e32 v2, v2, v3
	v_cmp_gt_i64_e64 s[30:31], 0, v[5:6]
	v_not_b32_e32 v3, v6
	;; [unrolled: 8-line block ×5, first 2 shown]
	v_ashrrev_i32_e32 v2, 31, v2
	v_and_b32_e32 v1, v1, v4
	v_xor_b32_e32 v4, s31, v2
	v_xor_b32_e32 v6, s30, v2
	; wave barrier
	ds_read_b32 v26, v27 offset:8
	v_and_b32_e32 v2, v1, v4
	v_and_b32_e32 v1, v3, v6
	v_mbcnt_lo_u32_b32 v3, v1, 0
	v_mbcnt_hi_u32_b32 v28, v2, v3
	v_cmp_ne_u64_e64 s[30:31], 0, v[1:2]
	v_cmp_eq_u32_e64 s[34:35], 0, v28
	s_and_b64 s[34:35], s[30:31], s[34:35]
	; wave barrier
	s_and_saveexec_b64 s[30:31], s[34:35]
	s_cbranch_execz .LBB252_6
; %bb.5:                                ;   in Loop: Header=BB252_2 Depth=1
	v_bcnt_u32_b32 v1, v1, 0
	v_bcnt_u32_b32 v1, v2, v1
	s_waitcnt lgkmcnt(0)
	v_add_u32_e32 v1, v26, v1
	ds_write_b32 v27, v1 offset:8
.LBB252_6:                              ;   in Loop: Header=BB252_2 Depth=1
	s_or_b64 exec, exec, s[30:31]
	v_lshlrev_b32_sdwa v1, v21, v22 dst_sel:DWORD dst_unused:UNUSED_PAD src0_sel:DWORD src1_sel:BYTE_2
	v_add_u32_e32 v31, v20, v1
	v_bfe_u32 v1, v22, 16, 1
	v_add_co_u32_e64 v2, s[30:31], -1, v1
	v_lshrrev_b32_e32 v29, 16, v22
	v_addc_co_u32_e64 v3, s[30:31], 0, -1, s[30:31]
	v_cmp_ne_u32_e64 s[30:31], 0, v1
	v_lshlrev_b32_e32 v6, 30, v29
	v_xor_b32_e32 v1, s31, v3
	v_xor_b32_e32 v2, s30, v2
	v_cmp_gt_i64_e64 s[30:31], 0, v[5:6]
	v_not_b32_e32 v3, v6
	v_ashrrev_i32_e32 v3, 31, v3
	v_and_b32_e32 v2, exec_lo, v2
	v_xor_b32_e32 v4, s31, v3
	v_xor_b32_e32 v3, s30, v3
	v_lshlrev_b32_e32 v6, 29, v29
	v_and_b32_e32 v2, v2, v3
	v_cmp_gt_i64_e64 s[30:31], 0, v[5:6]
	v_not_b32_e32 v3, v6
	v_and_b32_e32 v1, exec_hi, v1
	v_ashrrev_i32_e32 v3, 31, v3
	v_and_b32_e32 v1, v1, v4
	v_xor_b32_e32 v4, s31, v3
	v_xor_b32_e32 v3, s30, v3
	v_lshlrev_b32_e32 v6, 28, v29
	v_and_b32_e32 v2, v2, v3
	v_cmp_gt_i64_e64 s[30:31], 0, v[5:6]
	v_not_b32_e32 v3, v6
	v_ashrrev_i32_e32 v3, 31, v3
	v_and_b32_e32 v1, v1, v4
	v_xor_b32_e32 v4, s31, v3
	v_xor_b32_e32 v3, s30, v3
	v_lshlrev_b32_e32 v6, 27, v29
	v_and_b32_e32 v2, v2, v3
	v_cmp_gt_i64_e64 s[30:31], 0, v[5:6]
	v_not_b32_e32 v3, v6
	;; [unrolled: 8-line block ×5, first 2 shown]
	v_ashrrev_i32_e32 v2, 31, v2
	v_and_b32_e32 v1, v1, v4
	v_xor_b32_e32 v4, s31, v2
	v_xor_b32_e32 v6, s30, v2
	; wave barrier
	ds_read_b32 v30, v31 offset:8
	v_and_b32_e32 v2, v1, v4
	v_and_b32_e32 v1, v3, v6
	v_mbcnt_lo_u32_b32 v3, v1, 0
	v_mbcnt_hi_u32_b32 v32, v2, v3
	v_cmp_ne_u64_e64 s[30:31], 0, v[1:2]
	v_cmp_eq_u32_e64 s[34:35], 0, v32
	s_and_b64 s[34:35], s[30:31], s[34:35]
	; wave barrier
	s_and_saveexec_b64 s[30:31], s[34:35]
	s_cbranch_execz .LBB252_8
; %bb.7:                                ;   in Loop: Header=BB252_2 Depth=1
	v_bcnt_u32_b32 v1, v1, 0
	v_bcnt_u32_b32 v1, v2, v1
	s_waitcnt lgkmcnt(0)
	v_add_u32_e32 v1, v30, v1
	ds_write_b32 v31, v1 offset:8
.LBB252_8:                              ;   in Loop: Header=BB252_2 Depth=1
	s_or_b64 exec, exec, s[30:31]
	v_lshrrev_b32_e32 v33, 24, v22
	v_lshlrev_b32_e32 v1, 3, v33
	v_add_u32_e32 v35, v20, v1
	v_bfe_u32 v1, v22, 24, 1
	v_add_co_u32_e64 v2, s[30:31], -1, v1
	v_addc_co_u32_e64 v3, s[30:31], 0, -1, s[30:31]
	v_cmp_ne_u32_e64 s[30:31], 0, v1
	v_lshlrev_b32_e32 v6, 30, v33
	v_xor_b32_e32 v1, s31, v3
	v_xor_b32_e32 v2, s30, v2
	v_cmp_gt_i64_e64 s[30:31], 0, v[5:6]
	v_not_b32_e32 v3, v6
	v_ashrrev_i32_e32 v3, 31, v3
	v_and_b32_e32 v2, exec_lo, v2
	v_xor_b32_e32 v4, s31, v3
	v_xor_b32_e32 v3, s30, v3
	v_lshlrev_b32_e32 v6, 29, v33
	v_and_b32_e32 v2, v2, v3
	v_cmp_gt_i64_e64 s[30:31], 0, v[5:6]
	v_not_b32_e32 v3, v6
	v_and_b32_e32 v1, exec_hi, v1
	v_ashrrev_i32_e32 v3, 31, v3
	v_and_b32_e32 v1, v1, v4
	v_xor_b32_e32 v4, s31, v3
	v_xor_b32_e32 v3, s30, v3
	v_lshlrev_b32_e32 v6, 28, v33
	v_and_b32_e32 v2, v2, v3
	v_cmp_gt_i64_e64 s[30:31], 0, v[5:6]
	v_not_b32_e32 v3, v6
	v_ashrrev_i32_e32 v3, 31, v3
	v_and_b32_e32 v1, v1, v4
	v_xor_b32_e32 v4, s31, v3
	v_xor_b32_e32 v3, s30, v3
	v_lshlrev_b32_e32 v6, 27, v33
	v_and_b32_e32 v2, v2, v3
	v_cmp_gt_i64_e64 s[30:31], 0, v[5:6]
	v_not_b32_e32 v3, v6
	;; [unrolled: 8-line block ×4, first 2 shown]
	v_ashrrev_i32_e32 v3, 31, v3
	v_and_b32_e32 v1, v1, v4
	v_xor_b32_e32 v4, s31, v3
	v_xor_b32_e32 v3, s30, v3
	v_and_b32_e32 v6, 0xff000000, v22
	v_and_b32_e32 v3, v2, v3
	v_cmp_gt_i64_e64 s[30:31], 0, v[5:6]
	v_not_b32_e32 v2, v6
	v_ashrrev_i32_e32 v2, 31, v2
	v_and_b32_e32 v1, v1, v4
	v_xor_b32_e32 v4, s31, v2
	v_xor_b32_e32 v6, s30, v2
	; wave barrier
	ds_read_b32 v34, v35 offset:8
	v_and_b32_e32 v2, v1, v4
	v_and_b32_e32 v1, v3, v6
	v_mbcnt_lo_u32_b32 v3, v1, 0
	v_mbcnt_hi_u32_b32 v6, v2, v3
	v_cmp_ne_u64_e64 s[30:31], 0, v[1:2]
	v_cmp_eq_u32_e64 s[34:35], 0, v6
	s_and_b64 s[34:35], s[30:31], s[34:35]
	; wave barrier
	s_and_saveexec_b64 s[30:31], s[34:35]
	s_cbranch_execz .LBB252_10
; %bb.9:                                ;   in Loop: Header=BB252_2 Depth=1
	v_bcnt_u32_b32 v1, v1, 0
	v_bcnt_u32_b32 v1, v2, v1
	s_waitcnt lgkmcnt(0)
	v_add_u32_e32 v1, v34, v1
	ds_write_b32 v35, v1 offset:8
.LBB252_10:                             ;   in Loop: Header=BB252_2 Depth=1
	s_or_b64 exec, exec, s[30:31]
	; wave barrier
	s_waitcnt lgkmcnt(0)
	s_barrier
	ds_read2_b64 v[1:4], v11 offset0:1 offset1:2
	s_waitcnt lgkmcnt(0)
	v_add_u32_e32 v36, v2, v1
	v_add3_u32 v4, v36, v3, v4
	s_nop 1
	v_mov_b32_dpp v36, v4 row_shr:1 row_mask:0xf bank_mask:0xf
	v_cndmask_b32_e64 v36, v36, 0, s[18:19]
	v_add_u32_e32 v4, v36, v4
	s_nop 1
	v_mov_b32_dpp v36, v4 row_shr:2 row_mask:0xf bank_mask:0xf
	v_cndmask_b32_e64 v36, 0, v36, s[20:21]
	v_add_u32_e32 v4, v4, v36
	;; [unrolled: 4-line block ×4, first 2 shown]
	s_nop 1
	v_mov_b32_dpp v36, v4 row_bcast:15 row_mask:0xf bank_mask:0xf
	v_cndmask_b32_e64 v36, v36, 0, s[26:27]
	v_add_u32_e32 v4, v4, v36
	s_nop 1
	v_mov_b32_dpp v36, v4 row_bcast:31 row_mask:0xf bank_mask:0xf
	v_cndmask_b32_e64 v36, 0, v36, s[4:5]
	v_add_u32_e32 v4, v4, v36
	s_and_saveexec_b64 s[30:31], s[6:7]
; %bb.11:                               ;   in Loop: Header=BB252_2 Depth=1
	ds_write_b32 v12, v4
; %bb.12:                               ;   in Loop: Header=BB252_2 Depth=1
	s_or_b64 exec, exec, s[30:31]
	s_waitcnt lgkmcnt(0)
	s_barrier
	s_and_saveexec_b64 s[30:31], vcc
	s_cbranch_execz .LBB252_14
; %bb.13:                               ;   in Loop: Header=BB252_2 Depth=1
	ds_read_b32 v36, v13
	s_waitcnt lgkmcnt(0)
	s_nop 0
	v_mov_b32_dpp v37, v36 row_shr:1 row_mask:0xf bank_mask:0xf
	v_cndmask_b32_e64 v37, v37, 0, s[28:29]
	v_add_u32_e32 v36, v37, v36
	ds_write_b32 v13, v36
.LBB252_14:                             ;   in Loop: Header=BB252_2 Depth=1
	s_or_b64 exec, exec, s[30:31]
	v_mov_b32_e32 v36, 0
	s_waitcnt lgkmcnt(0)
	s_barrier
	s_and_saveexec_b64 s[30:31], s[0:1]
	s_cbranch_execz .LBB252_1
; %bb.15:                               ;   in Loop: Header=BB252_2 Depth=1
	ds_read_b32 v36, v14
	s_branch .LBB252_1
.LBB252_16:
	s_add_u32 s0, s38, s33
	s_addc_u32 s1, s39, 0
	global_store_byte v0, v3, s[0:1]
	global_store_byte v0, v4, s[0:1] offset:128
	global_store_byte v0, v1, s[0:1] offset:256
	;; [unrolled: 1-line block ×3, first 2 shown]
	s_endpgm
	.section	.rodata,"a",@progbits
	.p2align	6, 0x0
	.amdhsa_kernel _Z16sort_keys_kernelI22helper_blocked_stripedaLj128ELj4ELj10EEvPKT0_PS1_
		.amdhsa_group_segment_fixed_size 2064
		.amdhsa_private_segment_fixed_size 0
		.amdhsa_kernarg_size 272
		.amdhsa_user_sgpr_count 6
		.amdhsa_user_sgpr_private_segment_buffer 1
		.amdhsa_user_sgpr_dispatch_ptr 0
		.amdhsa_user_sgpr_queue_ptr 0
		.amdhsa_user_sgpr_kernarg_segment_ptr 1
		.amdhsa_user_sgpr_dispatch_id 0
		.amdhsa_user_sgpr_flat_scratch_init 0
		.amdhsa_user_sgpr_private_segment_size 0
		.amdhsa_uses_dynamic_stack 0
		.amdhsa_system_sgpr_private_segment_wavefront_offset 0
		.amdhsa_system_sgpr_workgroup_id_x 1
		.amdhsa_system_sgpr_workgroup_id_y 0
		.amdhsa_system_sgpr_workgroup_id_z 0
		.amdhsa_system_sgpr_workgroup_info 0
		.amdhsa_system_vgpr_workitem_id 2
		.amdhsa_next_free_vgpr 38
		.amdhsa_next_free_sgpr 61
		.amdhsa_reserve_vcc 1
		.amdhsa_reserve_flat_scratch 0
		.amdhsa_float_round_mode_32 0
		.amdhsa_float_round_mode_16_64 0
		.amdhsa_float_denorm_mode_32 3
		.amdhsa_float_denorm_mode_16_64 3
		.amdhsa_dx10_clamp 1
		.amdhsa_ieee_mode 1
		.amdhsa_fp16_overflow 0
		.amdhsa_exception_fp_ieee_invalid_op 0
		.amdhsa_exception_fp_denorm_src 0
		.amdhsa_exception_fp_ieee_div_zero 0
		.amdhsa_exception_fp_ieee_overflow 0
		.amdhsa_exception_fp_ieee_underflow 0
		.amdhsa_exception_fp_ieee_inexact 0
		.amdhsa_exception_int_div_zero 0
	.end_amdhsa_kernel
	.section	.text._Z16sort_keys_kernelI22helper_blocked_stripedaLj128ELj4ELj10EEvPKT0_PS1_,"axG",@progbits,_Z16sort_keys_kernelI22helper_blocked_stripedaLj128ELj4ELj10EEvPKT0_PS1_,comdat
.Lfunc_end252:
	.size	_Z16sort_keys_kernelI22helper_blocked_stripedaLj128ELj4ELj10EEvPKT0_PS1_, .Lfunc_end252-_Z16sort_keys_kernelI22helper_blocked_stripedaLj128ELj4ELj10EEvPKT0_PS1_
                                        ; -- End function
	.set _Z16sort_keys_kernelI22helper_blocked_stripedaLj128ELj4ELj10EEvPKT0_PS1_.num_vgpr, 38
	.set _Z16sort_keys_kernelI22helper_blocked_stripedaLj128ELj4ELj10EEvPKT0_PS1_.num_agpr, 0
	.set _Z16sort_keys_kernelI22helper_blocked_stripedaLj128ELj4ELj10EEvPKT0_PS1_.numbered_sgpr, 44
	.set _Z16sort_keys_kernelI22helper_blocked_stripedaLj128ELj4ELj10EEvPKT0_PS1_.num_named_barrier, 0
	.set _Z16sort_keys_kernelI22helper_blocked_stripedaLj128ELj4ELj10EEvPKT0_PS1_.private_seg_size, 0
	.set _Z16sort_keys_kernelI22helper_blocked_stripedaLj128ELj4ELj10EEvPKT0_PS1_.uses_vcc, 1
	.set _Z16sort_keys_kernelI22helper_blocked_stripedaLj128ELj4ELj10EEvPKT0_PS1_.uses_flat_scratch, 0
	.set _Z16sort_keys_kernelI22helper_blocked_stripedaLj128ELj4ELj10EEvPKT0_PS1_.has_dyn_sized_stack, 0
	.set _Z16sort_keys_kernelI22helper_blocked_stripedaLj128ELj4ELj10EEvPKT0_PS1_.has_recursion, 0
	.set _Z16sort_keys_kernelI22helper_blocked_stripedaLj128ELj4ELj10EEvPKT0_PS1_.has_indirect_call, 0
	.section	.AMDGPU.csdata,"",@progbits
; Kernel info:
; codeLenInByte = 3352
; TotalNumSgprs: 48
; NumVgprs: 38
; ScratchSize: 0
; MemoryBound: 0
; FloatMode: 240
; IeeeMode: 1
; LDSByteSize: 2064 bytes/workgroup (compile time only)
; SGPRBlocks: 8
; VGPRBlocks: 9
; NumSGPRsForWavesPerEU: 65
; NumVGPRsForWavesPerEU: 38
; Occupancy: 6
; WaveLimiterHint : 1
; COMPUTE_PGM_RSRC2:SCRATCH_EN: 0
; COMPUTE_PGM_RSRC2:USER_SGPR: 6
; COMPUTE_PGM_RSRC2:TRAP_HANDLER: 0
; COMPUTE_PGM_RSRC2:TGID_X_EN: 1
; COMPUTE_PGM_RSRC2:TGID_Y_EN: 0
; COMPUTE_PGM_RSRC2:TGID_Z_EN: 0
; COMPUTE_PGM_RSRC2:TIDIG_COMP_CNT: 2
	.section	.text._Z17sort_pairs_kernelI22helper_blocked_stripedaLj128ELj4ELj10EEvPKT0_PS1_,"axG",@progbits,_Z17sort_pairs_kernelI22helper_blocked_stripedaLj128ELj4ELj10EEvPKT0_PS1_,comdat
	.protected	_Z17sort_pairs_kernelI22helper_blocked_stripedaLj128ELj4ELj10EEvPKT0_PS1_ ; -- Begin function _Z17sort_pairs_kernelI22helper_blocked_stripedaLj128ELj4ELj10EEvPKT0_PS1_
	.globl	_Z17sort_pairs_kernelI22helper_blocked_stripedaLj128ELj4ELj10EEvPKT0_PS1_
	.p2align	8
	.type	_Z17sort_pairs_kernelI22helper_blocked_stripedaLj128ELj4ELj10EEvPKT0_PS1_,@function
_Z17sort_pairs_kernelI22helper_blocked_stripedaLj128ELj4ELj10EEvPKT0_PS1_: ; @_Z17sort_pairs_kernelI22helper_blocked_stripedaLj128ELj4ELj10EEvPKT0_PS1_
; %bb.0:
	s_load_dwordx4 s[36:39], s[4:5], 0x0
	s_load_dword s30, s[4:5], 0x1c
	s_lshl_b32 s33, s6, 9
	v_lshlrev_b32_e32 v3, 2, v0
	v_mbcnt_lo_u32_b32 v4, -1, 0
	s_waitcnt lgkmcnt(0)
	s_add_u32 s0, s36, s33
	s_addc_u32 s1, s37, 0
	global_load_dword v3, v3, s[0:1]
	s_lshr_b32 s34, s30, 16
	v_mbcnt_hi_u32_b32 v4, -1, v4
	v_or_b32_e32 v6, 63, v0
	s_and_b32 s30, s30, 0xffff
	v_mad_u32_u24 v1, v2, s34, v1
	v_lshrrev_b32_e32 v14, 2, v4
	v_and_b32_e32 v16, 64, v4
	v_cmp_eq_u32_e64 s[8:9], v0, v6
	v_subrev_co_u32_e64 v6, s[10:11], 1, v4
	v_mad_u32_u24 v1, v1, s30, v0
	s_mov_b32 s12, 0
	v_add_u32_e32 v20, 48, v14
	v_cmp_lt_i32_e64 s[28:29], v6, v16
	v_lshrrev_b32_e32 v1, 4, v1
	v_lshrrev_b32_e32 v7, 4, v0
	s_mov_b32 s14, s12
	v_and_b32_e32 v15, 3, v4
	v_and_b32_e32 v17, 15, v4
	;; [unrolled: 1-line block ×3, first 2 shown]
	v_cmp_lt_u32_e64 s[6:7], 31, v4
	v_and_b32_e32 v19, 1, v4
	v_cndmask_b32_e64 v4, v6, v4, s[28:29]
	v_and_or_b32 v6, v20, 63, v16
	v_and_b32_e32 v20, 0xffffffc, v1
	s_mov_b32 s13, s12
	s_mov_b32 s15, s12
	v_and_b32_e32 v12, 4, v7
	v_mov_b32_e32 v7, s12
	v_mov_b32_e32 v9, s14
	s_movk_i32 s31, 0x100
	v_mov_b32_e32 v8, s13
	v_mov_b32_e32 v10, s15
	v_cmp_eq_u32_e64 s[12:13], 3, v15
	v_cmp_eq_u32_e64 s[14:15], 2, v15
	;; [unrolled: 1-line block ×3, first 2 shown]
	v_cmp_eq_u32_e32 vcc, 0, v15
	v_or_b32_e32 v15, v14, v16
	v_mul_u32_u24_e32 v13, 3, v0
	v_lshlrev_b32_e32 v15, 2, v15
	s_movk_i32 s36, 0xff
	s_mov_b32 s37, 0xffff
	s_mov_b32 s40, 10
	;; [unrolled: 1-line block ×5, first 2 shown]
	v_mov_b32_e32 v5, 0
	s_mov_b32 s44, 0x7060004
	s_mov_b32 s45, 0xc0c0006
	;; [unrolled: 1-line block ×3, first 2 shown]
	v_lshlrev_b32_e32 v11, 4, v0
	v_cmp_gt_u32_e64 s[0:1], 2, v0
	v_cmp_lt_u32_e64 s[2:3], 63, v0
	v_cmp_eq_u32_e64 s[4:5], 0, v0
	v_add_u32_e32 v13, v0, v13
	v_cmp_eq_u32_e64 s[18:19], 0, v17
	v_cmp_lt_u32_e64 s[20:21], 1, v17
	v_cmp_lt_u32_e64 s[22:23], 3, v17
	;; [unrolled: 1-line block ×3, first 2 shown]
	v_cmp_eq_u32_e64 s[26:27], 0, v18
	v_cmp_eq_u32_e64 s[28:29], 0, v19
	v_add_u32_e32 v14, -4, v12
	v_lshlrev_b32_e32 v16, 2, v4
	v_add_u32_e32 v17, 64, v15
	v_or_b32_e32 v18, 0x80, v15
	v_lshlrev_b32_e32 v19, 2, v6
	s_waitcnt vmcnt(0)
	v_lshrrev_b32_e32 v2, 16, v3
	v_and_b32_e32 v1, 0xffffff00, v3
	v_add_u16_e32 v21, 1, v3
	v_or_b32_sdwa v1, v1, v21 dst_sel:DWORD dst_unused:UNUSED_PAD src0_sel:DWORD src1_sel:BYTE_0
	v_and_b32_e32 v21, 0xffffff00, v2
	v_add_u16_e32 v22, 1, v2
	v_or_b32_sdwa v21, v21, v22 dst_sel:DWORD dst_unused:UNUSED_PAD src0_sel:DWORD src1_sel:BYTE_0
	v_add_u16_e32 v1, 0x100, v1
	v_add_u16_sdwa v21, v21, s31 dst_sel:WORD_1 dst_unused:UNUSED_PAD src0_sel:DWORD src1_sel:DWORD
	v_lshrrev_b32_e32 v6, 24, v3
	v_lshrrev_b32_e32 v4, 8, v3
	v_or_b32_e32 v1, v1, v21
	v_mov_b32_e32 v21, 3
	s_branch .LBB253_2
.LBB253_1:                              ;   in Loop: Header=BB253_2 Depth=1
	s_or_b64 exec, exec, s[30:31]
	v_cndmask_b32_sdwa v25, v5, v25, vcc dst_sel:DWORD dst_unused:UNUSED_PAD src0_sel:DWORD src1_sel:BYTE_0
	v_and_b32_e32 v27, 0xff, v27
	v_cndmask_b32_e64 v25, v25, v27, s[16:17]
	v_and_b32_e32 v27, 0xff, v28
	v_cndmask_b32_e64 v25, v25, v27, s[14:15]
	v_perm_b32 v27, v43, v25, s41
	v_cndmask_b32_e64 v25, v25, v27, s[12:13]
	v_perm_b32 v26, v25, v26, s44
	v_cndmask_b32_e32 v25, v25, v26, vcc
	v_perm_b32 v24, v25, v24, s44
	v_cndmask_b32_e64 v24, v25, v24, s[16:17]
	v_perm_b32 v23, v24, v23, s44
	v_cndmask_b32_e64 v23, v24, v23, s[14:15]
	v_perm_b32 v24, v23, v42, s44
	v_cndmask_b32_e64 v23, v23, v24, s[12:13]
	v_perm_b32 v24, v41, v23, s43
	v_lshlrev_b32_e32 v24, 16, v24
	v_and_or_b32 v24, v23, s37, v24
	v_cndmask_b32_e32 v23, v23, v24, vcc
	v_perm_b32 v24, v40, v23, s43
	v_lshlrev_b32_e32 v24, 16, v24
	v_and_or_b32 v24, v23, s37, v24
	v_cndmask_b32_e64 v23, v23, v24, s[16:17]
	v_perm_b32 v24, v38, v23, s43
	v_lshlrev_b32_e32 v24, 16, v24
	v_and_or_b32 v24, v23, s37, v24
	v_cndmask_b32_e64 v23, v23, v24, s[14:15]
	;; [unrolled: 4-line block ×3, first 2 shown]
	v_perm_b32 v24, v23, v36, s45
	v_lshlrev_b32_e32 v24, 16, v24
	v_and_or_b32 v24, v23, s37, v24
	v_cndmask_b32_e32 v23, v23, v24, vcc
	v_perm_b32 v24, v23, v34, s45
	v_lshlrev_b32_e32 v24, 16, v24
	v_and_or_b32 v24, v23, s37, v24
	v_cndmask_b32_e64 v23, v23, v24, s[16:17]
	v_perm_b32 v24, v23, v32, s45
	s_waitcnt lgkmcnt(0)
	v_add_u32_e32 v4, v52, v4
	v_lshlrev_b32_e32 v24, 16, v24
	ds_bpermute_b32 v4, v16, v4
	v_and_or_b32 v24, v23, s37, v24
	v_cndmask_b32_e64 v23, v23, v24, s[14:15]
	v_perm_b32 v24, v23, v33, s45
	v_lshlrev_b32_e32 v24, 16, v24
	v_and_or_b32 v24, v23, s37, v24
	s_waitcnt lgkmcnt(0)
	v_cndmask_b32_e64 v4, v4, v52, s[10:11]
	v_cndmask_b32_e64 v25, v23, v24, s[12:13]
	;; [unrolled: 1-line block ×3, first 2 shown]
	v_add_u32_e32 v24, v23, v1
	v_add_u32_e32 v1, v24, v2
	;; [unrolled: 1-line block ×3, first 2 shown]
	ds_write2_b64 v11, v[23:24], v[1:2] offset0:1 offset1:2
	s_waitcnt lgkmcnt(0)
	s_barrier
	ds_read_b32 v1, v30 offset:8
	ds_read_b32 v2, v37 offset:8
	;; [unrolled: 1-line block ×4, first 2 shown]
	v_lshrrev_b32_e32 v26, 8, v25
	s_waitcnt lgkmcnt(3)
	v_add_u32_e32 v1, v1, v29
	s_waitcnt lgkmcnt(2)
	v_add3_u32 v2, v44, v35, v2
	s_waitcnt lgkmcnt(1)
	v_add3_u32 v3, v48, v46, v3
	;; [unrolled: 2-line block ×3, first 2 shown]
	v_lshrrev_b32_e32 v27, 24, v25
	s_barrier
	ds_write_b8 v1, v22
	ds_write_b8 v2, v31
	;; [unrolled: 1-line block ×4, first 2 shown]
	s_waitcnt lgkmcnt(0)
	s_barrier
	ds_read_u8 v6, v0
	ds_read_u8 v28, v0 offset:128
	ds_read_u8 v29, v0 offset:256
	;; [unrolled: 1-line block ×3, first 2 shown]
	s_waitcnt lgkmcnt(0)
	s_barrier
	ds_write_b8 v1, v25
	ds_write_b8 v2, v26
	ds_write_b8_d16_hi v3, v25
	ds_write_b8 v4, v27
	s_waitcnt lgkmcnt(0)
	s_barrier
	ds_read_u8 v22, v0
	ds_read_u8 v23, v0 offset:128
	ds_read_u8 v24, v0 offset:256
	;; [unrolled: 1-line block ×3, first 2 shown]
	s_add_i32 s40, s40, -1
	v_xor_b32_e32 v3, 0xffffff80, v6
	s_waitcnt lgkmcnt(2)
	v_perm_b32 v1, v22, v23, s46
	v_xor_b32_e32 v4, 0xffffff80, v28
	s_waitcnt lgkmcnt(0)
	v_perm_b32 v2, v24, v25, s46
	v_lshl_or_b32 v1, v2, 16, v1
	v_xor_b32_e32 v2, 0xffffff80, v29
	s_cmp_eq_u32 s40, 0
	v_xor_b32_e32 v6, 0xffffff80, v30
	s_cbranch_scc1 .LBB253_16
.LBB253_2:                              ; =>This Inner Loop Header: Depth=1
	v_xor_b32_e32 v3, 0x80, v3
	v_xor_b32_e32 v4, 0x80, v4
	v_and_b32_e32 v3, 0xff, v3
	ds_bpermute_b32 v22, v15, v3
	v_xor_b32_e32 v2, 0x80, v2
	v_and_b32_e32 v4, 0xff, v4
	ds_bpermute_b32 v23, v15, v4
	v_and_b32_e32 v2, 0xff, v2
	ds_bpermute_b32 v24, v15, v2
	v_xor_b32_e32 v6, 0x80, v6
	v_and_b32_e32 v6, 0xff, v6
	s_waitcnt lgkmcnt(2)
	v_and_b32_e32 v22, 0xff, v22
	ds_bpermute_b32 v25, v15, v6
	v_cndmask_b32_e32 v22, 0, v22, vcc
	s_waitcnt lgkmcnt(2)
	v_and_b32_e32 v23, 0xff, v23
	v_cndmask_b32_e64 v22, v22, v23, s[16:17]
	s_waitcnt lgkmcnt(1)
	v_and_b32_e32 v23, 0xff, v24
	ds_bpermute_b32 v24, v17, v3
	v_cndmask_b32_e64 v22, v22, v23, s[14:15]
	s_waitcnt lgkmcnt(1)
	v_perm_b32 v23, v25, v22, s41
	v_cndmask_b32_e64 v22, v22, v23, s[12:13]
	ds_bpermute_b32 v23, v17, v4
	s_waitcnt lgkmcnt(1)
	v_lshlrev_b16_e32 v24, 8, v24
	v_or_b32_sdwa v24, v22, v24 dst_sel:DWORD dst_unused:UNUSED_PAD src0_sel:BYTE_0 src1_sel:DWORD
	v_and_b32_e32 v24, 0xffff, v24
	v_cndmask_b32_e32 v22, v22, v24, vcc
	ds_bpermute_b32 v24, v17, v2
	s_waitcnt lgkmcnt(1)
	v_lshlrev_b16_e32 v23, 8, v23
	v_or_b32_sdwa v23, v22, v23 dst_sel:DWORD dst_unused:UNUSED_PAD src0_sel:BYTE_0 src1_sel:DWORD
	v_and_b32_e32 v23, 0xffff, v23
	v_and_or_b32 v23, v22, s42, v23
	v_cndmask_b32_e64 v22, v22, v23, s[16:17]
	s_waitcnt lgkmcnt(0)
	v_lshlrev_b16_e32 v23, 8, v24
	ds_bpermute_b32 v24, v17, v6
	v_or_b32_sdwa v23, v22, v23 dst_sel:DWORD dst_unused:UNUSED_PAD src0_sel:BYTE_0 src1_sel:DWORD
	v_and_b32_e32 v23, 0xffff, v23
	v_and_or_b32 v23, v22, s42, v23
	v_cndmask_b32_e64 v22, v22, v23, s[14:15]
	s_waitcnt lgkmcnt(0)
	v_lshlrev_b16_e32 v23, 8, v24
	ds_bpermute_b32 v24, v18, v3
	v_or_b32_sdwa v23, v22, v23 dst_sel:DWORD dst_unused:UNUSED_PAD src0_sel:BYTE_0 src1_sel:DWORD
	v_and_b32_e32 v23, 0xffff, v23
	v_and_or_b32 v23, v22, s42, v23
	v_cndmask_b32_e64 v22, v22, v23, s[12:13]
	ds_bpermute_b32 v23, v18, v4
	s_waitcnt lgkmcnt(1)
	v_perm_b32 v24, v24, v22, s43
	v_lshlrev_b32_e32 v24, 16, v24
	v_and_or_b32 v24, v22, s37, v24
	v_cndmask_b32_e32 v22, v22, v24, vcc
	ds_bpermute_b32 v24, v18, v2
	s_waitcnt lgkmcnt(1)
	v_perm_b32 v23, v23, v22, s43
	v_lshlrev_b32_e32 v23, 16, v23
	v_and_or_b32 v23, v22, s37, v23
	v_cndmask_b32_e64 v22, v22, v23, s[16:17]
	ds_bpermute_b32 v23, v18, v6
	s_waitcnt lgkmcnt(1)
	v_perm_b32 v24, v24, v22, s43
	v_lshlrev_b32_e32 v24, 16, v24
	v_and_or_b32 v24, v22, s37, v24
	v_cndmask_b32_e64 v22, v22, v24, s[14:15]
	;; [unrolled: 6-line block ×3, first 2 shown]
	ds_bpermute_b32 v4, v19, v4
	v_and_b32_sdwa v23, v22, s36 dst_sel:DWORD dst_unused:UNUSED_PAD src0_sel:WORD_1 src1_sel:DWORD
	s_waitcnt lgkmcnt(1)
	v_lshlrev_b16_e32 v3, 8, v3
	v_or_b32_sdwa v3, v23, v3 dst_sel:WORD_1 dst_unused:UNUSED_PAD src0_sel:DWORD src1_sel:DWORD
	v_and_or_b32 v3, v22, s37, v3
	v_cndmask_b32_e32 v3, v22, v3, vcc
	ds_bpermute_b32 v2, v19, v2
	v_and_b32_sdwa v22, v3, s36 dst_sel:DWORD dst_unused:UNUSED_PAD src0_sel:WORD_1 src1_sel:DWORD
	s_waitcnt lgkmcnt(1)
	v_lshlrev_b16_e32 v4, 8, v4
	v_or_b32_sdwa v4, v22, v4 dst_sel:WORD_1 dst_unused:UNUSED_PAD src0_sel:DWORD src1_sel:DWORD
	v_and_or_b32 v4, v3, s37, v4
	v_cndmask_b32_e64 v3, v3, v4, s[16:17]
	ds_bpermute_b32 v6, v19, v6
	v_and_b32_sdwa v4, v3, s36 dst_sel:DWORD dst_unused:UNUSED_PAD src0_sel:WORD_1 src1_sel:DWORD
	s_waitcnt lgkmcnt(1)
	v_lshlrev_b16_e32 v2, 8, v2
	v_or_b32_sdwa v2, v4, v2 dst_sel:WORD_1 dst_unused:UNUSED_PAD src0_sel:DWORD src1_sel:DWORD
	v_and_or_b32 v2, v3, s37, v2
	v_cndmask_b32_e64 v2, v3, v2, s[14:15]
	v_and_b32_sdwa v3, v2, s36 dst_sel:DWORD dst_unused:UNUSED_PAD src0_sel:WORD_1 src1_sel:DWORD
	s_waitcnt lgkmcnt(0)
	v_lshlrev_b16_e32 v4, 8, v6
	v_or_b32_sdwa v3, v3, v4 dst_sel:WORD_1 dst_unused:UNUSED_PAD src0_sel:DWORD src1_sel:DWORD
	v_and_or_b32 v3, v2, s37, v3
	v_cndmask_b32_e64 v22, v2, v3, s[12:13]
	v_and_b32_e32 v3, 0xff, v1
	v_bfe_u32 v4, v1, 8, 8
	v_bfe_u32 v29, v1, 16, 8
	v_lshrrev_b32_e32 v30, 24, v1
	v_and_b32_e32 v1, 1, v22
	v_add_co_u32_e64 v2, s[30:31], -1, v1
	v_addc_co_u32_e64 v6, s[30:31], 0, -1, s[30:31]
	v_cmp_ne_u32_e64 s[30:31], 0, v1
	v_xor_b32_e32 v1, s31, v6
	v_lshlrev_b32_e32 v6, 30, v22
	v_xor_b32_e32 v2, s30, v2
	v_cmp_gt_i64_e64 s[30:31], 0, v[5:6]
	v_not_b32_e32 v6, v6
	v_ashrrev_i32_e32 v6, 31, v6
	v_and_b32_e32 v2, exec_lo, v2
	v_xor_b32_e32 v31, s31, v6
	v_xor_b32_e32 v6, s30, v6
	v_and_b32_e32 v2, v2, v6
	v_lshlrev_b32_e32 v6, 29, v22
	v_cmp_gt_i64_e64 s[30:31], 0, v[5:6]
	v_not_b32_e32 v6, v6
	v_and_b32_e32 v1, exec_hi, v1
	v_ashrrev_i32_e32 v6, 31, v6
	v_and_b32_e32 v1, v1, v31
	v_xor_b32_e32 v31, s31, v6
	v_xor_b32_e32 v6, s30, v6
	v_and_b32_e32 v2, v2, v6
	v_lshlrev_b32_e32 v6, 28, v22
	v_cmp_gt_i64_e64 s[30:31], 0, v[5:6]
	v_not_b32_e32 v6, v6
	v_ashrrev_i32_e32 v6, 31, v6
	v_and_b32_e32 v1, v1, v31
	v_xor_b32_e32 v31, s31, v6
	v_xor_b32_e32 v6, s30, v6
	v_and_b32_e32 v2, v2, v6
	v_lshlrev_b32_e32 v6, 27, v22
	v_cmp_gt_i64_e64 s[30:31], 0, v[5:6]
	v_not_b32_e32 v6, v6
	;; [unrolled: 8-line block ×4, first 2 shown]
	v_ashrrev_i32_e32 v6, 31, v6
	v_and_b32_e32 v1, v1, v31
	v_xor_b32_e32 v31, s31, v6
	v_xor_b32_e32 v6, s30, v6
	v_and_b32_e32 v1, v1, v31
	v_and_b32_e32 v31, v2, v6
	v_lshlrev_b32_e32 v6, 24, v22
	v_cmp_gt_i64_e64 s[30:31], 0, v[5:6]
	v_not_b32_e32 v2, v6
	v_ashrrev_i32_e32 v2, 31, v2
	v_xor_b32_e32 v6, s31, v2
	v_xor_b32_e32 v32, s30, v2
	ds_bpermute_b32 v25, v15, v3
	ds_bpermute_b32 v27, v15, v4
	ds_bpermute_b32 v28, v15, v29
	ds_bpermute_b32 v26, v17, v3
	ds_bpermute_b32 v24, v17, v4
	ds_bpermute_b32 v23, v17, v29
	v_and_b32_e32 v2, v1, v6
	v_and_b32_e32 v1, v31, v32
	ds_bpermute_b32 v41, v18, v3
	ds_bpermute_b32 v40, v18, v4
	;; [unrolled: 1-line block ×10, first 2 shown]
	v_mbcnt_lo_u32_b32 v3, v1, 0
	v_mbcnt_hi_u32_b32 v29, v2, v3
	v_cmp_ne_u64_e64 s[30:31], 0, v[1:2]
	v_cmp_eq_u32_e64 s[34:35], 0, v29
	v_lshlrev_b32_sdwa v3, v21, v22 dst_sel:DWORD dst_unused:UNUSED_PAD src0_sel:DWORD src1_sel:BYTE_0
	s_and_b64 s[34:35], s[30:31], s[34:35]
	v_add_u32_e32 v30, v20, v3
	s_waitcnt lgkmcnt(0)
	s_barrier
	ds_write2_b64 v11, v[7:8], v[9:10] offset0:1 offset1:2
	s_waitcnt lgkmcnt(0)
	s_barrier
	; wave barrier
	s_and_saveexec_b64 s[30:31], s[34:35]
; %bb.3:                                ;   in Loop: Header=BB253_2 Depth=1
	v_bcnt_u32_b32 v1, v1, 0
	v_bcnt_u32_b32 v1, v2, v1
	ds_write_b32 v30, v1 offset:8
; %bb.4:                                ;   in Loop: Header=BB253_2 Depth=1
	s_or_b64 exec, exec, s[30:31]
	v_lshlrev_b32_sdwa v1, v21, v22 dst_sel:DWORD dst_unused:UNUSED_PAD src0_sel:DWORD src1_sel:BYTE_1
	v_add_u32_e32 v37, v20, v1
	v_bfe_u32 v1, v22, 8, 1
	v_add_co_u32_e64 v2, s[30:31], -1, v1
	v_lshrrev_b32_e32 v31, 8, v22
	v_addc_co_u32_e64 v3, s[30:31], 0, -1, s[30:31]
	v_cmp_ne_u32_e64 s[30:31], 0, v1
	v_lshlrev_b32_e32 v6, 30, v31
	v_xor_b32_e32 v1, s31, v3
	v_xor_b32_e32 v2, s30, v2
	v_cmp_gt_i64_e64 s[30:31], 0, v[5:6]
	v_not_b32_e32 v3, v6
	v_ashrrev_i32_e32 v3, 31, v3
	v_and_b32_e32 v2, exec_lo, v2
	v_xor_b32_e32 v4, s31, v3
	v_xor_b32_e32 v3, s30, v3
	v_lshlrev_b32_e32 v6, 29, v31
	v_and_b32_e32 v2, v2, v3
	v_cmp_gt_i64_e64 s[30:31], 0, v[5:6]
	v_not_b32_e32 v3, v6
	v_and_b32_e32 v1, exec_hi, v1
	v_ashrrev_i32_e32 v3, 31, v3
	v_and_b32_e32 v1, v1, v4
	v_xor_b32_e32 v4, s31, v3
	v_xor_b32_e32 v3, s30, v3
	v_lshlrev_b32_e32 v6, 28, v31
	v_and_b32_e32 v2, v2, v3
	v_cmp_gt_i64_e64 s[30:31], 0, v[5:6]
	v_not_b32_e32 v3, v6
	v_ashrrev_i32_e32 v3, 31, v3
	v_and_b32_e32 v1, v1, v4
	v_xor_b32_e32 v4, s31, v3
	v_xor_b32_e32 v3, s30, v3
	v_lshlrev_b32_e32 v6, 27, v31
	v_and_b32_e32 v2, v2, v3
	v_cmp_gt_i64_e64 s[30:31], 0, v[5:6]
	v_not_b32_e32 v3, v6
	;; [unrolled: 8-line block ×5, first 2 shown]
	v_ashrrev_i32_e32 v2, 31, v2
	v_and_b32_e32 v1, v1, v4
	v_xor_b32_e32 v4, s31, v2
	v_xor_b32_e32 v6, s30, v2
	; wave barrier
	ds_read_b32 v35, v37 offset:8
	v_and_b32_e32 v2, v1, v4
	v_and_b32_e32 v1, v3, v6
	v_mbcnt_lo_u32_b32 v3, v1, 0
	v_mbcnt_hi_u32_b32 v44, v2, v3
	v_cmp_ne_u64_e64 s[30:31], 0, v[1:2]
	v_cmp_eq_u32_e64 s[34:35], 0, v44
	s_and_b64 s[34:35], s[30:31], s[34:35]
	; wave barrier
	s_and_saveexec_b64 s[30:31], s[34:35]
	s_cbranch_execz .LBB253_6
; %bb.5:                                ;   in Loop: Header=BB253_2 Depth=1
	v_bcnt_u32_b32 v1, v1, 0
	v_bcnt_u32_b32 v1, v2, v1
	s_waitcnt lgkmcnt(0)
	v_add_u32_e32 v1, v35, v1
	ds_write_b32 v37, v1 offset:8
.LBB253_6:                              ;   in Loop: Header=BB253_2 Depth=1
	s_or_b64 exec, exec, s[30:31]
	v_lshlrev_b32_sdwa v1, v21, v22 dst_sel:DWORD dst_unused:UNUSED_PAD src0_sel:DWORD src1_sel:BYTE_2
	v_add_u32_e32 v47, v20, v1
	v_bfe_u32 v1, v22, 16, 1
	v_add_co_u32_e64 v2, s[30:31], -1, v1
	v_lshrrev_b32_e32 v45, 16, v22
	v_addc_co_u32_e64 v3, s[30:31], 0, -1, s[30:31]
	v_cmp_ne_u32_e64 s[30:31], 0, v1
	v_lshlrev_b32_e32 v6, 30, v45
	v_xor_b32_e32 v1, s31, v3
	v_xor_b32_e32 v2, s30, v2
	v_cmp_gt_i64_e64 s[30:31], 0, v[5:6]
	v_not_b32_e32 v3, v6
	v_ashrrev_i32_e32 v3, 31, v3
	v_and_b32_e32 v2, exec_lo, v2
	v_xor_b32_e32 v4, s31, v3
	v_xor_b32_e32 v3, s30, v3
	v_lshlrev_b32_e32 v6, 29, v45
	v_and_b32_e32 v2, v2, v3
	v_cmp_gt_i64_e64 s[30:31], 0, v[5:6]
	v_not_b32_e32 v3, v6
	v_and_b32_e32 v1, exec_hi, v1
	v_ashrrev_i32_e32 v3, 31, v3
	v_and_b32_e32 v1, v1, v4
	v_xor_b32_e32 v4, s31, v3
	v_xor_b32_e32 v3, s30, v3
	v_lshlrev_b32_e32 v6, 28, v45
	v_and_b32_e32 v2, v2, v3
	v_cmp_gt_i64_e64 s[30:31], 0, v[5:6]
	v_not_b32_e32 v3, v6
	v_ashrrev_i32_e32 v3, 31, v3
	v_and_b32_e32 v1, v1, v4
	v_xor_b32_e32 v4, s31, v3
	v_xor_b32_e32 v3, s30, v3
	v_lshlrev_b32_e32 v6, 27, v45
	v_and_b32_e32 v2, v2, v3
	v_cmp_gt_i64_e64 s[30:31], 0, v[5:6]
	v_not_b32_e32 v3, v6
	v_ashrrev_i32_e32 v3, 31, v3
	v_and_b32_e32 v1, v1, v4
	v_xor_b32_e32 v4, s31, v3
	v_xor_b32_e32 v3, s30, v3
	v_lshlrev_b32_e32 v6, 26, v45
	v_and_b32_e32 v2, v2, v3
	v_cmp_gt_i64_e64 s[30:31], 0, v[5:6]
	v_not_b32_e32 v3, v6
	v_ashrrev_i32_e32 v3, 31, v3
	v_and_b32_e32 v1, v1, v4
	v_xor_b32_e32 v4, s31, v3
	v_xor_b32_e32 v3, s30, v3
	v_lshlrev_b32_e32 v6, 25, v45
	v_and_b32_e32 v2, v2, v3
	v_cmp_gt_i64_e64 s[30:31], 0, v[5:6]
	v_not_b32_e32 v3, v6
	v_ashrrev_i32_e32 v3, 31, v3
	v_and_b32_e32 v1, v1, v4
	v_xor_b32_e32 v4, s31, v3
	v_xor_b32_e32 v3, s30, v3
	v_lshlrev_b32_e32 v6, 24, v45
	v_and_b32_e32 v3, v2, v3
	v_cmp_gt_i64_e64 s[30:31], 0, v[5:6]
	v_not_b32_e32 v2, v6
	v_ashrrev_i32_e32 v2, 31, v2
	v_and_b32_e32 v1, v1, v4
	v_xor_b32_e32 v4, s31, v2
	v_xor_b32_e32 v6, s30, v2
	; wave barrier
	ds_read_b32 v46, v47 offset:8
	v_and_b32_e32 v2, v1, v4
	v_and_b32_e32 v1, v3, v6
	v_mbcnt_lo_u32_b32 v3, v1, 0
	v_mbcnt_hi_u32_b32 v48, v2, v3
	v_cmp_ne_u64_e64 s[30:31], 0, v[1:2]
	v_cmp_eq_u32_e64 s[34:35], 0, v48
	s_and_b64 s[34:35], s[30:31], s[34:35]
	; wave barrier
	s_and_saveexec_b64 s[30:31], s[34:35]
	s_cbranch_execz .LBB253_8
; %bb.7:                                ;   in Loop: Header=BB253_2 Depth=1
	v_bcnt_u32_b32 v1, v1, 0
	v_bcnt_u32_b32 v1, v2, v1
	s_waitcnt lgkmcnt(0)
	v_add_u32_e32 v1, v46, v1
	ds_write_b32 v47, v1 offset:8
.LBB253_8:                              ;   in Loop: Header=BB253_2 Depth=1
	s_or_b64 exec, exec, s[30:31]
	v_lshrrev_b32_e32 v49, 24, v22
	v_lshlrev_b32_e32 v1, 3, v49
	v_add_u32_e32 v51, v20, v1
	v_bfe_u32 v1, v22, 24, 1
	v_add_co_u32_e64 v2, s[30:31], -1, v1
	v_addc_co_u32_e64 v3, s[30:31], 0, -1, s[30:31]
	v_cmp_ne_u32_e64 s[30:31], 0, v1
	v_lshlrev_b32_e32 v6, 30, v49
	v_xor_b32_e32 v1, s31, v3
	v_xor_b32_e32 v2, s30, v2
	v_cmp_gt_i64_e64 s[30:31], 0, v[5:6]
	v_not_b32_e32 v3, v6
	v_ashrrev_i32_e32 v3, 31, v3
	v_and_b32_e32 v2, exec_lo, v2
	v_xor_b32_e32 v4, s31, v3
	v_xor_b32_e32 v3, s30, v3
	v_lshlrev_b32_e32 v6, 29, v49
	v_and_b32_e32 v2, v2, v3
	v_cmp_gt_i64_e64 s[30:31], 0, v[5:6]
	v_not_b32_e32 v3, v6
	v_and_b32_e32 v1, exec_hi, v1
	v_ashrrev_i32_e32 v3, 31, v3
	v_and_b32_e32 v1, v1, v4
	v_xor_b32_e32 v4, s31, v3
	v_xor_b32_e32 v3, s30, v3
	v_lshlrev_b32_e32 v6, 28, v49
	v_and_b32_e32 v2, v2, v3
	v_cmp_gt_i64_e64 s[30:31], 0, v[5:6]
	v_not_b32_e32 v3, v6
	v_ashrrev_i32_e32 v3, 31, v3
	v_and_b32_e32 v1, v1, v4
	v_xor_b32_e32 v4, s31, v3
	v_xor_b32_e32 v3, s30, v3
	v_lshlrev_b32_e32 v6, 27, v49
	v_and_b32_e32 v2, v2, v3
	v_cmp_gt_i64_e64 s[30:31], 0, v[5:6]
	v_not_b32_e32 v3, v6
	;; [unrolled: 8-line block ×4, first 2 shown]
	v_ashrrev_i32_e32 v3, 31, v3
	v_and_b32_e32 v1, v1, v4
	v_xor_b32_e32 v4, s31, v3
	v_xor_b32_e32 v3, s30, v3
	v_and_b32_e32 v6, 0xff000000, v22
	v_and_b32_e32 v3, v2, v3
	v_cmp_gt_i64_e64 s[30:31], 0, v[5:6]
	v_not_b32_e32 v2, v6
	v_ashrrev_i32_e32 v2, 31, v2
	v_and_b32_e32 v1, v1, v4
	v_xor_b32_e32 v4, s31, v2
	v_xor_b32_e32 v6, s30, v2
	; wave barrier
	ds_read_b32 v50, v51 offset:8
	v_and_b32_e32 v2, v1, v4
	v_and_b32_e32 v1, v3, v6
	v_mbcnt_lo_u32_b32 v3, v1, 0
	v_mbcnt_hi_u32_b32 v6, v2, v3
	v_cmp_ne_u64_e64 s[30:31], 0, v[1:2]
	v_cmp_eq_u32_e64 s[34:35], 0, v6
	s_and_b64 s[34:35], s[30:31], s[34:35]
	; wave barrier
	s_and_saveexec_b64 s[30:31], s[34:35]
	s_cbranch_execz .LBB253_10
; %bb.9:                                ;   in Loop: Header=BB253_2 Depth=1
	v_bcnt_u32_b32 v1, v1, 0
	v_bcnt_u32_b32 v1, v2, v1
	s_waitcnt lgkmcnt(0)
	v_add_u32_e32 v1, v50, v1
	ds_write_b32 v51, v1 offset:8
.LBB253_10:                             ;   in Loop: Header=BB253_2 Depth=1
	s_or_b64 exec, exec, s[30:31]
	; wave barrier
	s_waitcnt lgkmcnt(0)
	s_barrier
	ds_read2_b64 v[1:4], v11 offset0:1 offset1:2
	s_waitcnt lgkmcnt(0)
	v_add_u32_e32 v52, v2, v1
	v_add3_u32 v4, v52, v3, v4
	s_nop 1
	v_mov_b32_dpp v52, v4 row_shr:1 row_mask:0xf bank_mask:0xf
	v_cndmask_b32_e64 v52, v52, 0, s[18:19]
	v_add_u32_e32 v4, v52, v4
	s_nop 1
	v_mov_b32_dpp v52, v4 row_shr:2 row_mask:0xf bank_mask:0xf
	v_cndmask_b32_e64 v52, 0, v52, s[20:21]
	v_add_u32_e32 v4, v4, v52
	;; [unrolled: 4-line block ×4, first 2 shown]
	s_nop 1
	v_mov_b32_dpp v52, v4 row_bcast:15 row_mask:0xf bank_mask:0xf
	v_cndmask_b32_e64 v52, v52, 0, s[26:27]
	v_add_u32_e32 v4, v4, v52
	s_nop 1
	v_mov_b32_dpp v52, v4 row_bcast:31 row_mask:0xf bank_mask:0xf
	v_cndmask_b32_e64 v52, 0, v52, s[6:7]
	v_add_u32_e32 v4, v4, v52
	s_and_saveexec_b64 s[30:31], s[8:9]
; %bb.11:                               ;   in Loop: Header=BB253_2 Depth=1
	ds_write_b32 v12, v4
; %bb.12:                               ;   in Loop: Header=BB253_2 Depth=1
	s_or_b64 exec, exec, s[30:31]
	s_waitcnt lgkmcnt(0)
	s_barrier
	s_and_saveexec_b64 s[30:31], s[0:1]
	s_cbranch_execz .LBB253_14
; %bb.13:                               ;   in Loop: Header=BB253_2 Depth=1
	ds_read_b32 v52, v13
	s_waitcnt lgkmcnt(0)
	s_nop 0
	v_mov_b32_dpp v53, v52 row_shr:1 row_mask:0xf bank_mask:0xf
	v_cndmask_b32_e64 v53, v53, 0, s[28:29]
	v_add_u32_e32 v52, v53, v52
	ds_write_b32 v13, v52
.LBB253_14:                             ;   in Loop: Header=BB253_2 Depth=1
	s_or_b64 exec, exec, s[30:31]
	v_mov_b32_e32 v52, 0
	s_waitcnt lgkmcnt(0)
	s_barrier
	s_and_saveexec_b64 s[30:31], s[2:3]
	s_cbranch_execz .LBB253_1
; %bb.15:                               ;   in Loop: Header=BB253_2 Depth=1
	ds_read_b32 v52, v14
	s_branch .LBB253_1
.LBB253_16:
	s_add_u32 s0, s38, s33
	v_add_u16_e32 v1, v3, v22
	s_addc_u32 s1, s39, 0
	v_add_u16_e32 v3, v4, v23
	v_add_u16_e32 v2, v2, v24
	;; [unrolled: 1-line block ×3, first 2 shown]
	global_store_byte v0, v1, s[0:1]
	global_store_byte v0, v3, s[0:1] offset:128
	global_store_byte v0, v2, s[0:1] offset:256
	;; [unrolled: 1-line block ×3, first 2 shown]
	s_endpgm
	.section	.rodata,"a",@progbits
	.p2align	6, 0x0
	.amdhsa_kernel _Z17sort_pairs_kernelI22helper_blocked_stripedaLj128ELj4ELj10EEvPKT0_PS1_
		.amdhsa_group_segment_fixed_size 2064
		.amdhsa_private_segment_fixed_size 0
		.amdhsa_kernarg_size 272
		.amdhsa_user_sgpr_count 6
		.amdhsa_user_sgpr_private_segment_buffer 1
		.amdhsa_user_sgpr_dispatch_ptr 0
		.amdhsa_user_sgpr_queue_ptr 0
		.amdhsa_user_sgpr_kernarg_segment_ptr 1
		.amdhsa_user_sgpr_dispatch_id 0
		.amdhsa_user_sgpr_flat_scratch_init 0
		.amdhsa_user_sgpr_private_segment_size 0
		.amdhsa_uses_dynamic_stack 0
		.amdhsa_system_sgpr_private_segment_wavefront_offset 0
		.amdhsa_system_sgpr_workgroup_id_x 1
		.amdhsa_system_sgpr_workgroup_id_y 0
		.amdhsa_system_sgpr_workgroup_id_z 0
		.amdhsa_system_sgpr_workgroup_info 0
		.amdhsa_system_vgpr_workitem_id 2
		.amdhsa_next_free_vgpr 54
		.amdhsa_next_free_sgpr 61
		.amdhsa_reserve_vcc 1
		.amdhsa_reserve_flat_scratch 0
		.amdhsa_float_round_mode_32 0
		.amdhsa_float_round_mode_16_64 0
		.amdhsa_float_denorm_mode_32 3
		.amdhsa_float_denorm_mode_16_64 3
		.amdhsa_dx10_clamp 1
		.amdhsa_ieee_mode 1
		.amdhsa_fp16_overflow 0
		.amdhsa_exception_fp_ieee_invalid_op 0
		.amdhsa_exception_fp_denorm_src 0
		.amdhsa_exception_fp_ieee_div_zero 0
		.amdhsa_exception_fp_ieee_overflow 0
		.amdhsa_exception_fp_ieee_underflow 0
		.amdhsa_exception_fp_ieee_inexact 0
		.amdhsa_exception_int_div_zero 0
	.end_amdhsa_kernel
	.section	.text._Z17sort_pairs_kernelI22helper_blocked_stripedaLj128ELj4ELj10EEvPKT0_PS1_,"axG",@progbits,_Z17sort_pairs_kernelI22helper_blocked_stripedaLj128ELj4ELj10EEvPKT0_PS1_,comdat
.Lfunc_end253:
	.size	_Z17sort_pairs_kernelI22helper_blocked_stripedaLj128ELj4ELj10EEvPKT0_PS1_, .Lfunc_end253-_Z17sort_pairs_kernelI22helper_blocked_stripedaLj128ELj4ELj10EEvPKT0_PS1_
                                        ; -- End function
	.set _Z17sort_pairs_kernelI22helper_blocked_stripedaLj128ELj4ELj10EEvPKT0_PS1_.num_vgpr, 54
	.set _Z17sort_pairs_kernelI22helper_blocked_stripedaLj128ELj4ELj10EEvPKT0_PS1_.num_agpr, 0
	.set _Z17sort_pairs_kernelI22helper_blocked_stripedaLj128ELj4ELj10EEvPKT0_PS1_.numbered_sgpr, 47
	.set _Z17sort_pairs_kernelI22helper_blocked_stripedaLj128ELj4ELj10EEvPKT0_PS1_.num_named_barrier, 0
	.set _Z17sort_pairs_kernelI22helper_blocked_stripedaLj128ELj4ELj10EEvPKT0_PS1_.private_seg_size, 0
	.set _Z17sort_pairs_kernelI22helper_blocked_stripedaLj128ELj4ELj10EEvPKT0_PS1_.uses_vcc, 1
	.set _Z17sort_pairs_kernelI22helper_blocked_stripedaLj128ELj4ELj10EEvPKT0_PS1_.uses_flat_scratch, 0
	.set _Z17sort_pairs_kernelI22helper_blocked_stripedaLj128ELj4ELj10EEvPKT0_PS1_.has_dyn_sized_stack, 0
	.set _Z17sort_pairs_kernelI22helper_blocked_stripedaLj128ELj4ELj10EEvPKT0_PS1_.has_recursion, 0
	.set _Z17sort_pairs_kernelI22helper_blocked_stripedaLj128ELj4ELj10EEvPKT0_PS1_.has_indirect_call, 0
	.section	.AMDGPU.csdata,"",@progbits
; Kernel info:
; codeLenInByte = 4048
; TotalNumSgprs: 51
; NumVgprs: 54
; ScratchSize: 0
; MemoryBound: 0
; FloatMode: 240
; IeeeMode: 1
; LDSByteSize: 2064 bytes/workgroup (compile time only)
; SGPRBlocks: 8
; VGPRBlocks: 13
; NumSGPRsForWavesPerEU: 65
; NumVGPRsForWavesPerEU: 54
; Occupancy: 4
; WaveLimiterHint : 1
; COMPUTE_PGM_RSRC2:SCRATCH_EN: 0
; COMPUTE_PGM_RSRC2:USER_SGPR: 6
; COMPUTE_PGM_RSRC2:TRAP_HANDLER: 0
; COMPUTE_PGM_RSRC2:TGID_X_EN: 1
; COMPUTE_PGM_RSRC2:TGID_Y_EN: 0
; COMPUTE_PGM_RSRC2:TGID_Z_EN: 0
; COMPUTE_PGM_RSRC2:TIDIG_COMP_CNT: 2
	.section	.text._Z16sort_keys_kernelI22helper_blocked_stripedaLj128ELj8ELj10EEvPKT0_PS1_,"axG",@progbits,_Z16sort_keys_kernelI22helper_blocked_stripedaLj128ELj8ELj10EEvPKT0_PS1_,comdat
	.protected	_Z16sort_keys_kernelI22helper_blocked_stripedaLj128ELj8ELj10EEvPKT0_PS1_ ; -- Begin function _Z16sort_keys_kernelI22helper_blocked_stripedaLj128ELj8ELj10EEvPKT0_PS1_
	.globl	_Z16sort_keys_kernelI22helper_blocked_stripedaLj128ELj8ELj10EEvPKT0_PS1_
	.p2align	8
	.type	_Z16sort_keys_kernelI22helper_blocked_stripedaLj128ELj8ELj10EEvPKT0_PS1_,@function
_Z16sort_keys_kernelI22helper_blocked_stripedaLj128ELj8ELj10EEvPKT0_PS1_: ; @_Z16sort_keys_kernelI22helper_blocked_stripedaLj128ELj8ELj10EEvPKT0_PS1_
; %bb.0:
	s_load_dwordx4 s[24:27], s[4:5], 0x0
	s_load_dword s2, s[4:5], 0x1c
	s_lshl_b32 s28, s6, 10
	v_lshlrev_b32_e32 v5, 3, v0
	v_mbcnt_lo_u32_b32 v6, -1, 0
	s_waitcnt lgkmcnt(0)
	s_add_u32 s0, s24, s28
	s_addc_u32 s1, s25, 0
	global_load_dwordx2 v[3:4], v5, s[0:1]
	s_lshr_b32 s0, s2, 16
	s_and_b32 s1, s2, 0xffff
	v_mad_u32_u24 v1, v2, s0, v1
	v_mad_u32_u24 v1, v1, s1, v0
	v_mbcnt_hi_u32_b32 v6, -1, v6
	v_lshrrev_b32_e32 v1, 4, v1
	v_and_b32_e32 v13, 0xffffffc, v1
	v_and_b32_e32 v1, 15, v6
	;; [unrolled: 1-line block ×3, first 2 shown]
	v_cmp_eq_u32_e32 vcc, 0, v1
	v_cmp_lt_u32_e64 s[0:1], 1, v1
	v_cmp_lt_u32_e64 s[2:3], 3, v1
	;; [unrolled: 1-line block ×3, first 2 shown]
	v_and_b32_e32 v1, 16, v6
	v_cmp_eq_u32_e64 s[6:7], 0, v1
	v_or_b32_e32 v1, 63, v7
	v_cmp_eq_u32_e64 s[10:11], v0, v1
	v_subrev_co_u32_e64 v1, s[16:17], 1, v6
	v_and_b32_e32 v2, 64, v6
	v_cmp_lt_i32_e64 s[18:19], v1, v2
	s_mov_b32 s22, 0
	v_cndmask_b32_e64 v1, v1, v6, s[18:19]
	v_and_b32_e32 v5, 0x200, v5
	v_lshlrev_b32_e32 v14, 2, v1
	v_lshrrev_b32_e32 v1, 4, v0
	s_mov_b32 s24, s22
	v_add_lshl_u32 v11, v6, v7, 3
	v_cmp_lt_u32_e64 s[8:9], 31, v6
	v_and_b32_e32 v15, 4, v1
	v_mul_u32_u24_e32 v1, 3, v0
	v_and_b32_e32 v2, 1, v6
	v_add_u32_e32 v17, v6, v5
	s_mov_b32 s23, s22
	s_mov_b32 s25, s22
	v_mov_b32_e32 v5, s22
	v_mov_b32_e32 v7, s24
	s_mov_b32 s29, 10
	v_lshlrev_b32_e32 v12, 4, v0
	v_cmp_gt_u32_e64 s[12:13], 2, v0
	v_cmp_lt_u32_e64 s[14:15], 63, v0
	v_cmp_eq_u32_e64 s[18:19], 0, v0
	v_cmp_eq_u32_e64 s[20:21], 0, v2
	v_add_u32_e32 v16, -4, v15
	s_movk_i32 s30, 0xff00
	s_movk_i32 s31, 0x80
	;; [unrolled: 1-line block ×3, first 2 shown]
	v_mov_b32_e32 v6, s23
	v_mov_b32_e32 v8, s25
	;; [unrolled: 1-line block ×3, first 2 shown]
	v_add_u32_e32 v18, v0, v1
	v_mov_b32_e32 v19, 3
	s_branch .LBB254_2
.LBB254_1:                              ;   in Loop: Header=BB254_2 Depth=1
	s_or_b64 exec, exec, s[22:23]
	s_waitcnt lgkmcnt(0)
	v_add_u32_e32 v4, v50, v4
	ds_bpermute_b32 v4, v14, v4
	s_add_i32 s29, s29, -1
	s_cmp_eq_u32 s29, 0
	s_waitcnt lgkmcnt(0)
	v_cndmask_b32_e64 v4, v4, v50, s[16:17]
	v_cndmask_b32_e64 v50, v4, 0, s[18:19]
	v_add_u32_e32 v51, v50, v1
	v_add_u32_e32 v1, v51, v2
	;; [unrolled: 1-line block ×3, first 2 shown]
	ds_write2_b64 v12, v[50:51], v[1:2] offset0:1 offset1:2
	s_waitcnt lgkmcnt(0)
	s_barrier
	ds_read_b32 v1, v29 offset:8
	ds_read_b32 v2, v31 offset:8
	;; [unrolled: 1-line block ×8, first 2 shown]
	s_waitcnt lgkmcnt(7)
	v_add_u32_e32 v1, v1, v28
	s_waitcnt lgkmcnt(0)
	s_barrier
	ds_write_b8 v1, v27
	v_add3_u32 v1, v32, v30, v2
	ds_write_b8 v1, v26
	v_add3_u32 v1, v35, v33, v3
	;; [unrolled: 2-line block ×7, first 2 shown]
	ds_write_b8 v1, v20
	s_waitcnt lgkmcnt(0)
	s_barrier
	ds_read_u8 v1, v0
	ds_read_u8 v2, v0 offset:128
	ds_read_u8 v3, v0 offset:256
	;; [unrolled: 1-line block ×7, first 2 shown]
	s_waitcnt lgkmcnt(6)
	v_xor_b32_e32 v2, 0xffffff80, v2
	s_waitcnt lgkmcnt(4)
	v_xor_b32_e32 v20, 0xffffff80, v4
	v_xor_b32_e32 v1, 0xffffff80, v1
	;; [unrolled: 1-line block ×3, first 2 shown]
	v_lshlrev_b16_e32 v3, 8, v2
	v_lshlrev_b16_e32 v4, 8, v20
	s_waitcnt lgkmcnt(2)
	v_xor_b32_e32 v22, 0xffffff80, v22
	s_waitcnt lgkmcnt(0)
	v_xor_b32_e32 v24, 0xffffff80, v24
	v_or_b32_sdwa v3, v1, v3 dst_sel:DWORD dst_unused:UNUSED_PAD src0_sel:BYTE_0 src1_sel:DWORD
	v_or_b32_sdwa v4, v10, v4 dst_sel:WORD_1 dst_unused:UNUSED_PAD src0_sel:BYTE_0 src1_sel:DWORD
	v_xor_b32_e32 v21, 0xffffff80, v21
	v_xor_b32_e32 v23, 0xffffff80, v23
	v_or_b32_sdwa v3, v3, v4 dst_sel:DWORD dst_unused:UNUSED_PAD src0_sel:WORD_0 src1_sel:DWORD
	v_lshlrev_b16_e32 v4, 8, v22
	v_lshlrev_b16_e32 v25, 8, v24
	v_or_b32_sdwa v4, v21, v4 dst_sel:DWORD dst_unused:UNUSED_PAD src0_sel:BYTE_0 src1_sel:DWORD
	v_or_b32_sdwa v25, v23, v25 dst_sel:WORD_1 dst_unused:UNUSED_PAD src0_sel:BYTE_0 src1_sel:DWORD
	v_or_b32_sdwa v4, v4, v25 dst_sel:DWORD dst_unused:UNUSED_PAD src0_sel:WORD_0 src1_sel:DWORD
	s_cbranch_scc1 .LBB254_24
.LBB254_2:                              ; =>This Inner Loop Header: Depth=1
	s_waitcnt vmcnt(0)
	v_and_b32_e32 v1, 0xffffff00, v3
	v_xor_b32_e32 v2, 0x80, v3
	v_or_b32_sdwa v1, v2, v1 dst_sel:DWORD dst_unused:UNUSED_PAD src0_sel:BYTE_0 src1_sel:DWORD
	v_and_b32_sdwa v2, v3, s30 dst_sel:DWORD dst_unused:UNUSED_PAD src0_sel:WORD_1 src1_sel:DWORD
	v_xor_b32_sdwa v3, v3, s31 dst_sel:DWORD dst_unused:UNUSED_PAD src0_sel:WORD_1 src1_sel:DWORD
	v_or_b32_sdwa v2, v3, v2 dst_sel:DWORD dst_unused:UNUSED_PAD src0_sel:BYTE_0 src1_sel:DWORD
	v_add_u16_e32 v1, 0x8000, v1
	v_add_u16_sdwa v2, v2, s33 dst_sel:WORD_1 dst_unused:UNUSED_PAD src0_sel:DWORD src1_sel:DWORD
	v_or_b32_e32 v1, v1, v2
	v_and_b32_e32 v2, 0xffffff00, v4
	v_xor_b32_e32 v3, 0x80, v4
	v_or_b32_sdwa v2, v3, v2 dst_sel:DWORD dst_unused:UNUSED_PAD src0_sel:BYTE_0 src1_sel:DWORD
	v_and_b32_sdwa v3, v4, s30 dst_sel:DWORD dst_unused:UNUSED_PAD src0_sel:WORD_1 src1_sel:DWORD
	v_xor_b32_sdwa v4, v4, s31 dst_sel:DWORD dst_unused:UNUSED_PAD src0_sel:WORD_1 src1_sel:DWORD
	v_or_b32_sdwa v3, v4, v3 dst_sel:DWORD dst_unused:UNUSED_PAD src0_sel:BYTE_0 src1_sel:DWORD
	v_add_u16_e32 v2, 0x8000, v2
	v_add_u16_sdwa v3, v3, s33 dst_sel:WORD_1 dst_unused:UNUSED_PAD src0_sel:DWORD src1_sel:DWORD
	v_or_b32_e32 v2, v2, v3
	ds_write_b64 v11, v[1:2]
	; wave barrier
	ds_read_u8 v27, v17
	ds_read_u8 v26, v17 offset:64
	ds_read_u8 v25, v17 offset:128
	;; [unrolled: 1-line block ×7, first 2 shown]
	s_waitcnt lgkmcnt(7)
	v_and_b32_e32 v1, 1, v27
	v_add_co_u32_e64 v2, s[22:23], -1, v1
	v_addc_co_u32_e64 v4, s[22:23], 0, -1, s[22:23]
	v_cmp_ne_u32_e64 s[22:23], 0, v1
	v_lshlrev_b32_e32 v10, 30, v27
	v_xor_b32_e32 v1, s23, v4
	v_xor_b32_e32 v2, s22, v2
	v_cmp_gt_i64_e64 s[22:23], 0, v[9:10]
	v_not_b32_e32 v4, v10
	v_ashrrev_i32_e32 v4, 31, v4
	v_and_b32_e32 v1, exec_hi, v1
	v_xor_b32_e32 v10, s23, v4
	v_and_b32_e32 v2, exec_lo, v2
	v_xor_b32_e32 v4, s22, v4
	v_and_b32_e32 v1, v1, v10
	v_lshlrev_b32_e32 v10, 29, v27
	v_and_b32_e32 v2, v2, v4
	v_cmp_gt_i64_e64 s[22:23], 0, v[9:10]
	v_not_b32_e32 v4, v10
	v_ashrrev_i32_e32 v4, 31, v4
	v_xor_b32_e32 v10, s23, v4
	v_xor_b32_e32 v4, s22, v4
	v_and_b32_e32 v1, v1, v10
	v_lshlrev_b32_e32 v10, 28, v27
	v_and_b32_e32 v2, v2, v4
	v_cmp_gt_i64_e64 s[22:23], 0, v[9:10]
	v_not_b32_e32 v4, v10
	v_ashrrev_i32_e32 v4, 31, v4
	v_xor_b32_e32 v10, s23, v4
	;; [unrolled: 8-line block ×6, first 2 shown]
	v_xor_b32_e32 v28, s22, v2
	v_and_b32_e32 v2, v1, v10
	v_and_b32_e32 v1, v4, v28
	v_mbcnt_lo_u32_b32 v4, v1, 0
	v_mbcnt_hi_u32_b32 v28, v2, v4
	v_cmp_ne_u64_e64 s[22:23], 0, v[1:2]
	v_lshlrev_b32_sdwa v3, v19, v27 dst_sel:DWORD dst_unused:UNUSED_PAD src0_sel:DWORD src1_sel:BYTE_0
	v_cmp_eq_u32_e64 s[24:25], 0, v28
	s_and_b64 s[24:25], s[22:23], s[24:25]
	v_add_u32_e32 v29, v13, v3
	; wave barrier
	; wave barrier
	s_waitcnt lgkmcnt(0)
	s_barrier
	ds_write2_b64 v12, v[5:6], v[7:8] offset0:1 offset1:2
	s_waitcnt lgkmcnt(0)
	s_barrier
	; wave barrier
	s_and_saveexec_b64 s[22:23], s[24:25]
; %bb.3:                                ;   in Loop: Header=BB254_2 Depth=1
	v_bcnt_u32_b32 v1, v1, 0
	v_bcnt_u32_b32 v1, v2, v1
	ds_write_b32 v29, v1 offset:8
; %bb.4:                                ;   in Loop: Header=BB254_2 Depth=1
	s_or_b64 exec, exec, s[22:23]
	v_lshlrev_b32_sdwa v1, v19, v26 dst_sel:DWORD dst_unused:UNUSED_PAD src0_sel:DWORD src1_sel:BYTE_0
	v_add_u32_e32 v31, v13, v1
	v_and_b32_e32 v1, 1, v26
	v_add_co_u32_e64 v2, s[22:23], -1, v1
	v_addc_co_u32_e64 v3, s[22:23], 0, -1, s[22:23]
	v_cmp_ne_u32_e64 s[22:23], 0, v1
	v_lshlrev_b32_e32 v10, 30, v26
	v_xor_b32_e32 v1, s23, v3
	v_xor_b32_e32 v2, s22, v2
	v_cmp_gt_i64_e64 s[22:23], 0, v[9:10]
	v_not_b32_e32 v3, v10
	v_ashrrev_i32_e32 v3, 31, v3
	v_and_b32_e32 v2, exec_lo, v2
	v_xor_b32_e32 v4, s23, v3
	v_xor_b32_e32 v3, s22, v3
	v_lshlrev_b32_e32 v10, 29, v26
	v_and_b32_e32 v2, v2, v3
	v_cmp_gt_i64_e64 s[22:23], 0, v[9:10]
	v_not_b32_e32 v3, v10
	v_and_b32_e32 v1, exec_hi, v1
	v_ashrrev_i32_e32 v3, 31, v3
	v_and_b32_e32 v1, v1, v4
	v_xor_b32_e32 v4, s23, v3
	v_xor_b32_e32 v3, s22, v3
	v_lshlrev_b32_e32 v10, 28, v26
	v_and_b32_e32 v2, v2, v3
	v_cmp_gt_i64_e64 s[22:23], 0, v[9:10]
	v_not_b32_e32 v3, v10
	v_ashrrev_i32_e32 v3, 31, v3
	v_and_b32_e32 v1, v1, v4
	v_xor_b32_e32 v4, s23, v3
	v_xor_b32_e32 v3, s22, v3
	v_lshlrev_b32_e32 v10, 27, v26
	v_and_b32_e32 v2, v2, v3
	v_cmp_gt_i64_e64 s[22:23], 0, v[9:10]
	v_not_b32_e32 v3, v10
	;; [unrolled: 8-line block ×5, first 2 shown]
	v_ashrrev_i32_e32 v2, 31, v2
	v_and_b32_e32 v1, v1, v4
	v_xor_b32_e32 v4, s23, v2
	v_xor_b32_e32 v10, s22, v2
	; wave barrier
	ds_read_b32 v30, v31 offset:8
	v_and_b32_e32 v2, v1, v4
	v_and_b32_e32 v1, v3, v10
	v_mbcnt_lo_u32_b32 v3, v1, 0
	v_mbcnt_hi_u32_b32 v32, v2, v3
	v_cmp_ne_u64_e64 s[22:23], 0, v[1:2]
	v_cmp_eq_u32_e64 s[24:25], 0, v32
	s_and_b64 s[24:25], s[22:23], s[24:25]
	; wave barrier
	s_and_saveexec_b64 s[22:23], s[24:25]
	s_cbranch_execz .LBB254_6
; %bb.5:                                ;   in Loop: Header=BB254_2 Depth=1
	v_bcnt_u32_b32 v1, v1, 0
	v_bcnt_u32_b32 v1, v2, v1
	s_waitcnt lgkmcnt(0)
	v_add_u32_e32 v1, v30, v1
	ds_write_b32 v31, v1 offset:8
.LBB254_6:                              ;   in Loop: Header=BB254_2 Depth=1
	s_or_b64 exec, exec, s[22:23]
	v_lshlrev_b32_sdwa v1, v19, v25 dst_sel:DWORD dst_unused:UNUSED_PAD src0_sel:DWORD src1_sel:BYTE_0
	v_add_u32_e32 v34, v13, v1
	v_and_b32_e32 v1, 1, v25
	v_add_co_u32_e64 v2, s[22:23], -1, v1
	v_addc_co_u32_e64 v3, s[22:23], 0, -1, s[22:23]
	v_cmp_ne_u32_e64 s[22:23], 0, v1
	v_lshlrev_b32_e32 v10, 30, v25
	v_xor_b32_e32 v1, s23, v3
	v_xor_b32_e32 v2, s22, v2
	v_cmp_gt_i64_e64 s[22:23], 0, v[9:10]
	v_not_b32_e32 v3, v10
	v_ashrrev_i32_e32 v3, 31, v3
	v_and_b32_e32 v2, exec_lo, v2
	v_xor_b32_e32 v4, s23, v3
	v_xor_b32_e32 v3, s22, v3
	v_lshlrev_b32_e32 v10, 29, v25
	v_and_b32_e32 v2, v2, v3
	v_cmp_gt_i64_e64 s[22:23], 0, v[9:10]
	v_not_b32_e32 v3, v10
	v_and_b32_e32 v1, exec_hi, v1
	v_ashrrev_i32_e32 v3, 31, v3
	v_and_b32_e32 v1, v1, v4
	v_xor_b32_e32 v4, s23, v3
	v_xor_b32_e32 v3, s22, v3
	v_lshlrev_b32_e32 v10, 28, v25
	v_and_b32_e32 v2, v2, v3
	v_cmp_gt_i64_e64 s[22:23], 0, v[9:10]
	v_not_b32_e32 v3, v10
	v_ashrrev_i32_e32 v3, 31, v3
	v_and_b32_e32 v1, v1, v4
	v_xor_b32_e32 v4, s23, v3
	v_xor_b32_e32 v3, s22, v3
	v_lshlrev_b32_e32 v10, 27, v25
	v_and_b32_e32 v2, v2, v3
	v_cmp_gt_i64_e64 s[22:23], 0, v[9:10]
	v_not_b32_e32 v3, v10
	;; [unrolled: 8-line block ×5, first 2 shown]
	v_ashrrev_i32_e32 v2, 31, v2
	v_and_b32_e32 v1, v1, v4
	v_xor_b32_e32 v4, s23, v2
	v_xor_b32_e32 v10, s22, v2
	; wave barrier
	ds_read_b32 v33, v34 offset:8
	v_and_b32_e32 v2, v1, v4
	v_and_b32_e32 v1, v3, v10
	v_mbcnt_lo_u32_b32 v3, v1, 0
	v_mbcnt_hi_u32_b32 v35, v2, v3
	v_cmp_ne_u64_e64 s[22:23], 0, v[1:2]
	v_cmp_eq_u32_e64 s[24:25], 0, v35
	s_and_b64 s[24:25], s[22:23], s[24:25]
	; wave barrier
	s_and_saveexec_b64 s[22:23], s[24:25]
	s_cbranch_execz .LBB254_8
; %bb.7:                                ;   in Loop: Header=BB254_2 Depth=1
	v_bcnt_u32_b32 v1, v1, 0
	v_bcnt_u32_b32 v1, v2, v1
	s_waitcnt lgkmcnt(0)
	v_add_u32_e32 v1, v33, v1
	ds_write_b32 v34, v1 offset:8
.LBB254_8:                              ;   in Loop: Header=BB254_2 Depth=1
	s_or_b64 exec, exec, s[22:23]
	v_lshlrev_b32_sdwa v1, v19, v24 dst_sel:DWORD dst_unused:UNUSED_PAD src0_sel:DWORD src1_sel:BYTE_0
	v_add_u32_e32 v37, v13, v1
	v_and_b32_e32 v1, 1, v24
	v_add_co_u32_e64 v2, s[22:23], -1, v1
	v_addc_co_u32_e64 v3, s[22:23], 0, -1, s[22:23]
	v_cmp_ne_u32_e64 s[22:23], 0, v1
	v_lshlrev_b32_e32 v10, 30, v24
	v_xor_b32_e32 v1, s23, v3
	v_xor_b32_e32 v2, s22, v2
	v_cmp_gt_i64_e64 s[22:23], 0, v[9:10]
	v_not_b32_e32 v3, v10
	v_ashrrev_i32_e32 v3, 31, v3
	v_and_b32_e32 v2, exec_lo, v2
	v_xor_b32_e32 v4, s23, v3
	v_xor_b32_e32 v3, s22, v3
	v_lshlrev_b32_e32 v10, 29, v24
	v_and_b32_e32 v2, v2, v3
	v_cmp_gt_i64_e64 s[22:23], 0, v[9:10]
	v_not_b32_e32 v3, v10
	v_and_b32_e32 v1, exec_hi, v1
	v_ashrrev_i32_e32 v3, 31, v3
	v_and_b32_e32 v1, v1, v4
	v_xor_b32_e32 v4, s23, v3
	v_xor_b32_e32 v3, s22, v3
	v_lshlrev_b32_e32 v10, 28, v24
	v_and_b32_e32 v2, v2, v3
	v_cmp_gt_i64_e64 s[22:23], 0, v[9:10]
	v_not_b32_e32 v3, v10
	v_ashrrev_i32_e32 v3, 31, v3
	v_and_b32_e32 v1, v1, v4
	v_xor_b32_e32 v4, s23, v3
	v_xor_b32_e32 v3, s22, v3
	v_lshlrev_b32_e32 v10, 27, v24
	v_and_b32_e32 v2, v2, v3
	v_cmp_gt_i64_e64 s[22:23], 0, v[9:10]
	v_not_b32_e32 v3, v10
	;; [unrolled: 8-line block ×5, first 2 shown]
	v_ashrrev_i32_e32 v2, 31, v2
	v_and_b32_e32 v1, v1, v4
	v_xor_b32_e32 v4, s23, v2
	v_xor_b32_e32 v10, s22, v2
	; wave barrier
	ds_read_b32 v36, v37 offset:8
	v_and_b32_e32 v2, v1, v4
	v_and_b32_e32 v1, v3, v10
	v_mbcnt_lo_u32_b32 v3, v1, 0
	v_mbcnt_hi_u32_b32 v38, v2, v3
	v_cmp_ne_u64_e64 s[22:23], 0, v[1:2]
	v_cmp_eq_u32_e64 s[24:25], 0, v38
	s_and_b64 s[24:25], s[22:23], s[24:25]
	; wave barrier
	s_and_saveexec_b64 s[22:23], s[24:25]
	s_cbranch_execz .LBB254_10
; %bb.9:                                ;   in Loop: Header=BB254_2 Depth=1
	v_bcnt_u32_b32 v1, v1, 0
	v_bcnt_u32_b32 v1, v2, v1
	s_waitcnt lgkmcnt(0)
	v_add_u32_e32 v1, v36, v1
	ds_write_b32 v37, v1 offset:8
.LBB254_10:                             ;   in Loop: Header=BB254_2 Depth=1
	s_or_b64 exec, exec, s[22:23]
	v_lshlrev_b32_sdwa v1, v19, v23 dst_sel:DWORD dst_unused:UNUSED_PAD src0_sel:DWORD src1_sel:BYTE_0
	v_add_u32_e32 v40, v13, v1
	v_and_b32_e32 v1, 1, v23
	v_add_co_u32_e64 v2, s[22:23], -1, v1
	v_addc_co_u32_e64 v3, s[22:23], 0, -1, s[22:23]
	v_cmp_ne_u32_e64 s[22:23], 0, v1
	v_lshlrev_b32_e32 v10, 30, v23
	v_xor_b32_e32 v1, s23, v3
	v_xor_b32_e32 v2, s22, v2
	v_cmp_gt_i64_e64 s[22:23], 0, v[9:10]
	v_not_b32_e32 v3, v10
	v_ashrrev_i32_e32 v3, 31, v3
	v_and_b32_e32 v2, exec_lo, v2
	v_xor_b32_e32 v4, s23, v3
	v_xor_b32_e32 v3, s22, v3
	v_lshlrev_b32_e32 v10, 29, v23
	v_and_b32_e32 v2, v2, v3
	v_cmp_gt_i64_e64 s[22:23], 0, v[9:10]
	v_not_b32_e32 v3, v10
	v_and_b32_e32 v1, exec_hi, v1
	v_ashrrev_i32_e32 v3, 31, v3
	v_and_b32_e32 v1, v1, v4
	v_xor_b32_e32 v4, s23, v3
	v_xor_b32_e32 v3, s22, v3
	v_lshlrev_b32_e32 v10, 28, v23
	v_and_b32_e32 v2, v2, v3
	v_cmp_gt_i64_e64 s[22:23], 0, v[9:10]
	v_not_b32_e32 v3, v10
	v_ashrrev_i32_e32 v3, 31, v3
	v_and_b32_e32 v1, v1, v4
	v_xor_b32_e32 v4, s23, v3
	v_xor_b32_e32 v3, s22, v3
	v_lshlrev_b32_e32 v10, 27, v23
	v_and_b32_e32 v2, v2, v3
	v_cmp_gt_i64_e64 s[22:23], 0, v[9:10]
	v_not_b32_e32 v3, v10
	v_ashrrev_i32_e32 v3, 31, v3
	v_and_b32_e32 v1, v1, v4
	v_xor_b32_e32 v4, s23, v3
	v_xor_b32_e32 v3, s22, v3
	v_lshlrev_b32_e32 v10, 26, v23
	v_and_b32_e32 v2, v2, v3
	v_cmp_gt_i64_e64 s[22:23], 0, v[9:10]
	v_not_b32_e32 v3, v10
	v_ashrrev_i32_e32 v3, 31, v3
	v_and_b32_e32 v1, v1, v4
	v_xor_b32_e32 v4, s23, v3
	v_xor_b32_e32 v3, s22, v3
	v_lshlrev_b32_e32 v10, 25, v23
	v_and_b32_e32 v2, v2, v3
	v_cmp_gt_i64_e64 s[22:23], 0, v[9:10]
	v_not_b32_e32 v3, v10
	v_ashrrev_i32_e32 v3, 31, v3
	v_and_b32_e32 v1, v1, v4
	v_xor_b32_e32 v4, s23, v3
	v_xor_b32_e32 v3, s22, v3
	v_lshlrev_b32_e32 v10, 24, v23
	v_and_b32_e32 v3, v2, v3
	v_cmp_gt_i64_e64 s[22:23], 0, v[9:10]
	v_not_b32_e32 v2, v10
	v_ashrrev_i32_e32 v2, 31, v2
	v_and_b32_e32 v1, v1, v4
	v_xor_b32_e32 v4, s23, v2
	v_xor_b32_e32 v10, s22, v2
	; wave barrier
	ds_read_b32 v39, v40 offset:8
	v_and_b32_e32 v2, v1, v4
	v_and_b32_e32 v1, v3, v10
	v_mbcnt_lo_u32_b32 v3, v1, 0
	v_mbcnt_hi_u32_b32 v41, v2, v3
	v_cmp_ne_u64_e64 s[22:23], 0, v[1:2]
	v_cmp_eq_u32_e64 s[24:25], 0, v41
	s_and_b64 s[24:25], s[22:23], s[24:25]
	; wave barrier
	s_and_saveexec_b64 s[22:23], s[24:25]
	s_cbranch_execz .LBB254_12
; %bb.11:                               ;   in Loop: Header=BB254_2 Depth=1
	v_bcnt_u32_b32 v1, v1, 0
	v_bcnt_u32_b32 v1, v2, v1
	s_waitcnt lgkmcnt(0)
	v_add_u32_e32 v1, v39, v1
	ds_write_b32 v40, v1 offset:8
.LBB254_12:                             ;   in Loop: Header=BB254_2 Depth=1
	s_or_b64 exec, exec, s[22:23]
	v_lshlrev_b32_sdwa v1, v19, v22 dst_sel:DWORD dst_unused:UNUSED_PAD src0_sel:DWORD src1_sel:BYTE_0
	v_add_u32_e32 v43, v13, v1
	v_and_b32_e32 v1, 1, v22
	v_add_co_u32_e64 v2, s[22:23], -1, v1
	v_addc_co_u32_e64 v3, s[22:23], 0, -1, s[22:23]
	v_cmp_ne_u32_e64 s[22:23], 0, v1
	v_lshlrev_b32_e32 v10, 30, v22
	v_xor_b32_e32 v1, s23, v3
	v_xor_b32_e32 v2, s22, v2
	v_cmp_gt_i64_e64 s[22:23], 0, v[9:10]
	v_not_b32_e32 v3, v10
	v_ashrrev_i32_e32 v3, 31, v3
	v_and_b32_e32 v2, exec_lo, v2
	v_xor_b32_e32 v4, s23, v3
	v_xor_b32_e32 v3, s22, v3
	v_lshlrev_b32_e32 v10, 29, v22
	v_and_b32_e32 v2, v2, v3
	v_cmp_gt_i64_e64 s[22:23], 0, v[9:10]
	v_not_b32_e32 v3, v10
	v_and_b32_e32 v1, exec_hi, v1
	v_ashrrev_i32_e32 v3, 31, v3
	v_and_b32_e32 v1, v1, v4
	v_xor_b32_e32 v4, s23, v3
	v_xor_b32_e32 v3, s22, v3
	v_lshlrev_b32_e32 v10, 28, v22
	v_and_b32_e32 v2, v2, v3
	v_cmp_gt_i64_e64 s[22:23], 0, v[9:10]
	v_not_b32_e32 v3, v10
	v_ashrrev_i32_e32 v3, 31, v3
	v_and_b32_e32 v1, v1, v4
	v_xor_b32_e32 v4, s23, v3
	v_xor_b32_e32 v3, s22, v3
	v_lshlrev_b32_e32 v10, 27, v22
	v_and_b32_e32 v2, v2, v3
	v_cmp_gt_i64_e64 s[22:23], 0, v[9:10]
	v_not_b32_e32 v3, v10
	;; [unrolled: 8-line block ×5, first 2 shown]
	v_ashrrev_i32_e32 v2, 31, v2
	v_and_b32_e32 v1, v1, v4
	v_xor_b32_e32 v4, s23, v2
	v_xor_b32_e32 v10, s22, v2
	; wave barrier
	ds_read_b32 v42, v43 offset:8
	v_and_b32_e32 v2, v1, v4
	v_and_b32_e32 v1, v3, v10
	v_mbcnt_lo_u32_b32 v3, v1, 0
	v_mbcnt_hi_u32_b32 v44, v2, v3
	v_cmp_ne_u64_e64 s[22:23], 0, v[1:2]
	v_cmp_eq_u32_e64 s[24:25], 0, v44
	s_and_b64 s[24:25], s[22:23], s[24:25]
	; wave barrier
	s_and_saveexec_b64 s[22:23], s[24:25]
	s_cbranch_execz .LBB254_14
; %bb.13:                               ;   in Loop: Header=BB254_2 Depth=1
	v_bcnt_u32_b32 v1, v1, 0
	v_bcnt_u32_b32 v1, v2, v1
	s_waitcnt lgkmcnt(0)
	v_add_u32_e32 v1, v42, v1
	ds_write_b32 v43, v1 offset:8
.LBB254_14:                             ;   in Loop: Header=BB254_2 Depth=1
	s_or_b64 exec, exec, s[22:23]
	v_lshlrev_b32_sdwa v1, v19, v21 dst_sel:DWORD dst_unused:UNUSED_PAD src0_sel:DWORD src1_sel:BYTE_0
	v_add_u32_e32 v46, v13, v1
	v_and_b32_e32 v1, 1, v21
	v_add_co_u32_e64 v2, s[22:23], -1, v1
	v_addc_co_u32_e64 v3, s[22:23], 0, -1, s[22:23]
	v_cmp_ne_u32_e64 s[22:23], 0, v1
	v_lshlrev_b32_e32 v10, 30, v21
	v_xor_b32_e32 v1, s23, v3
	v_xor_b32_e32 v2, s22, v2
	v_cmp_gt_i64_e64 s[22:23], 0, v[9:10]
	v_not_b32_e32 v3, v10
	v_ashrrev_i32_e32 v3, 31, v3
	v_and_b32_e32 v2, exec_lo, v2
	v_xor_b32_e32 v4, s23, v3
	v_xor_b32_e32 v3, s22, v3
	v_lshlrev_b32_e32 v10, 29, v21
	v_and_b32_e32 v2, v2, v3
	v_cmp_gt_i64_e64 s[22:23], 0, v[9:10]
	v_not_b32_e32 v3, v10
	v_and_b32_e32 v1, exec_hi, v1
	v_ashrrev_i32_e32 v3, 31, v3
	v_and_b32_e32 v1, v1, v4
	v_xor_b32_e32 v4, s23, v3
	v_xor_b32_e32 v3, s22, v3
	v_lshlrev_b32_e32 v10, 28, v21
	v_and_b32_e32 v2, v2, v3
	v_cmp_gt_i64_e64 s[22:23], 0, v[9:10]
	v_not_b32_e32 v3, v10
	v_ashrrev_i32_e32 v3, 31, v3
	v_and_b32_e32 v1, v1, v4
	v_xor_b32_e32 v4, s23, v3
	v_xor_b32_e32 v3, s22, v3
	v_lshlrev_b32_e32 v10, 27, v21
	v_and_b32_e32 v2, v2, v3
	v_cmp_gt_i64_e64 s[22:23], 0, v[9:10]
	v_not_b32_e32 v3, v10
	;; [unrolled: 8-line block ×5, first 2 shown]
	v_ashrrev_i32_e32 v2, 31, v2
	v_and_b32_e32 v1, v1, v4
	v_xor_b32_e32 v4, s23, v2
	v_xor_b32_e32 v10, s22, v2
	; wave barrier
	ds_read_b32 v45, v46 offset:8
	v_and_b32_e32 v2, v1, v4
	v_and_b32_e32 v1, v3, v10
	v_mbcnt_lo_u32_b32 v3, v1, 0
	v_mbcnt_hi_u32_b32 v47, v2, v3
	v_cmp_ne_u64_e64 s[22:23], 0, v[1:2]
	v_cmp_eq_u32_e64 s[24:25], 0, v47
	s_and_b64 s[24:25], s[22:23], s[24:25]
	; wave barrier
	s_and_saveexec_b64 s[22:23], s[24:25]
	s_cbranch_execz .LBB254_16
; %bb.15:                               ;   in Loop: Header=BB254_2 Depth=1
	v_bcnt_u32_b32 v1, v1, 0
	v_bcnt_u32_b32 v1, v2, v1
	s_waitcnt lgkmcnt(0)
	v_add_u32_e32 v1, v45, v1
	ds_write_b32 v46, v1 offset:8
.LBB254_16:                             ;   in Loop: Header=BB254_2 Depth=1
	s_or_b64 exec, exec, s[22:23]
	v_lshlrev_b32_sdwa v1, v19, v20 dst_sel:DWORD dst_unused:UNUSED_PAD src0_sel:DWORD src1_sel:BYTE_0
	v_add_u32_e32 v49, v13, v1
	v_and_b32_e32 v1, 1, v20
	v_add_co_u32_e64 v2, s[22:23], -1, v1
	v_addc_co_u32_e64 v3, s[22:23], 0, -1, s[22:23]
	v_cmp_ne_u32_e64 s[22:23], 0, v1
	v_lshlrev_b32_e32 v10, 30, v20
	v_xor_b32_e32 v1, s23, v3
	v_xor_b32_e32 v2, s22, v2
	v_cmp_gt_i64_e64 s[22:23], 0, v[9:10]
	v_not_b32_e32 v3, v10
	v_ashrrev_i32_e32 v3, 31, v3
	v_and_b32_e32 v2, exec_lo, v2
	v_xor_b32_e32 v4, s23, v3
	v_xor_b32_e32 v3, s22, v3
	v_lshlrev_b32_e32 v10, 29, v20
	v_and_b32_e32 v2, v2, v3
	v_cmp_gt_i64_e64 s[22:23], 0, v[9:10]
	v_not_b32_e32 v3, v10
	v_and_b32_e32 v1, exec_hi, v1
	v_ashrrev_i32_e32 v3, 31, v3
	v_and_b32_e32 v1, v1, v4
	v_xor_b32_e32 v4, s23, v3
	v_xor_b32_e32 v3, s22, v3
	v_lshlrev_b32_e32 v10, 28, v20
	v_and_b32_e32 v2, v2, v3
	v_cmp_gt_i64_e64 s[22:23], 0, v[9:10]
	v_not_b32_e32 v3, v10
	v_ashrrev_i32_e32 v3, 31, v3
	v_and_b32_e32 v1, v1, v4
	v_xor_b32_e32 v4, s23, v3
	v_xor_b32_e32 v3, s22, v3
	v_lshlrev_b32_e32 v10, 27, v20
	v_and_b32_e32 v2, v2, v3
	v_cmp_gt_i64_e64 s[22:23], 0, v[9:10]
	v_not_b32_e32 v3, v10
	;; [unrolled: 8-line block ×5, first 2 shown]
	v_ashrrev_i32_e32 v2, 31, v2
	v_and_b32_e32 v1, v1, v4
	v_xor_b32_e32 v4, s23, v2
	v_xor_b32_e32 v10, s22, v2
	; wave barrier
	ds_read_b32 v48, v49 offset:8
	v_and_b32_e32 v2, v1, v4
	v_and_b32_e32 v1, v3, v10
	v_mbcnt_lo_u32_b32 v3, v1, 0
	v_mbcnt_hi_u32_b32 v10, v2, v3
	v_cmp_ne_u64_e64 s[22:23], 0, v[1:2]
	v_cmp_eq_u32_e64 s[24:25], 0, v10
	s_and_b64 s[24:25], s[22:23], s[24:25]
	; wave barrier
	s_and_saveexec_b64 s[22:23], s[24:25]
	s_cbranch_execz .LBB254_18
; %bb.17:                               ;   in Loop: Header=BB254_2 Depth=1
	v_bcnt_u32_b32 v1, v1, 0
	v_bcnt_u32_b32 v1, v2, v1
	s_waitcnt lgkmcnt(0)
	v_add_u32_e32 v1, v48, v1
	ds_write_b32 v49, v1 offset:8
.LBB254_18:                             ;   in Loop: Header=BB254_2 Depth=1
	s_or_b64 exec, exec, s[22:23]
	; wave barrier
	s_waitcnt lgkmcnt(0)
	s_barrier
	ds_read2_b64 v[1:4], v12 offset0:1 offset1:2
	s_waitcnt lgkmcnt(0)
	v_add_u32_e32 v50, v2, v1
	v_add3_u32 v4, v50, v3, v4
	s_nop 1
	v_mov_b32_dpp v50, v4 row_shr:1 row_mask:0xf bank_mask:0xf
	v_cndmask_b32_e64 v50, v50, 0, vcc
	v_add_u32_e32 v4, v50, v4
	s_nop 1
	v_mov_b32_dpp v50, v4 row_shr:2 row_mask:0xf bank_mask:0xf
	v_cndmask_b32_e64 v50, 0, v50, s[0:1]
	v_add_u32_e32 v4, v4, v50
	s_nop 1
	v_mov_b32_dpp v50, v4 row_shr:4 row_mask:0xf bank_mask:0xf
	v_cndmask_b32_e64 v50, 0, v50, s[2:3]
	;; [unrolled: 4-line block ×3, first 2 shown]
	v_add_u32_e32 v4, v4, v50
	s_nop 1
	v_mov_b32_dpp v50, v4 row_bcast:15 row_mask:0xf bank_mask:0xf
	v_cndmask_b32_e64 v50, v50, 0, s[6:7]
	v_add_u32_e32 v4, v4, v50
	s_nop 1
	v_mov_b32_dpp v50, v4 row_bcast:31 row_mask:0xf bank_mask:0xf
	v_cndmask_b32_e64 v50, 0, v50, s[8:9]
	v_add_u32_e32 v4, v4, v50
	s_and_saveexec_b64 s[22:23], s[10:11]
; %bb.19:                               ;   in Loop: Header=BB254_2 Depth=1
	ds_write_b32 v15, v4
; %bb.20:                               ;   in Loop: Header=BB254_2 Depth=1
	s_or_b64 exec, exec, s[22:23]
	s_waitcnt lgkmcnt(0)
	s_barrier
	s_and_saveexec_b64 s[22:23], s[12:13]
	s_cbranch_execz .LBB254_22
; %bb.21:                               ;   in Loop: Header=BB254_2 Depth=1
	ds_read_b32 v50, v18
	s_waitcnt lgkmcnt(0)
	s_nop 0
	v_mov_b32_dpp v51, v50 row_shr:1 row_mask:0xf bank_mask:0xf
	v_cndmask_b32_e64 v51, v51, 0, s[20:21]
	v_add_u32_e32 v50, v51, v50
	ds_write_b32 v18, v50
.LBB254_22:                             ;   in Loop: Header=BB254_2 Depth=1
	s_or_b64 exec, exec, s[22:23]
	v_mov_b32_e32 v50, 0
	s_waitcnt lgkmcnt(0)
	s_barrier
	s_and_saveexec_b64 s[22:23], s[14:15]
	s_cbranch_execz .LBB254_1
; %bb.23:                               ;   in Loop: Header=BB254_2 Depth=1
	ds_read_b32 v50, v16
	s_branch .LBB254_1
.LBB254_24:
	s_add_u32 s0, s26, s28
	s_addc_u32 s1, s27, 0
	global_store_byte v0, v1, s[0:1]
	global_store_byte v0, v2, s[0:1] offset:128
	global_store_byte v0, v10, s[0:1] offset:256
	;; [unrolled: 1-line block ×7, first 2 shown]
	s_endpgm
	.section	.rodata,"a",@progbits
	.p2align	6, 0x0
	.amdhsa_kernel _Z16sort_keys_kernelI22helper_blocked_stripedaLj128ELj8ELj10EEvPKT0_PS1_
		.amdhsa_group_segment_fixed_size 2064
		.amdhsa_private_segment_fixed_size 0
		.amdhsa_kernarg_size 272
		.amdhsa_user_sgpr_count 6
		.amdhsa_user_sgpr_private_segment_buffer 1
		.amdhsa_user_sgpr_dispatch_ptr 0
		.amdhsa_user_sgpr_queue_ptr 0
		.amdhsa_user_sgpr_kernarg_segment_ptr 1
		.amdhsa_user_sgpr_dispatch_id 0
		.amdhsa_user_sgpr_flat_scratch_init 0
		.amdhsa_user_sgpr_private_segment_size 0
		.amdhsa_uses_dynamic_stack 0
		.amdhsa_system_sgpr_private_segment_wavefront_offset 0
		.amdhsa_system_sgpr_workgroup_id_x 1
		.amdhsa_system_sgpr_workgroup_id_y 0
		.amdhsa_system_sgpr_workgroup_id_z 0
		.amdhsa_system_sgpr_workgroup_info 0
		.amdhsa_system_vgpr_workitem_id 2
		.amdhsa_next_free_vgpr 52
		.amdhsa_next_free_sgpr 61
		.amdhsa_reserve_vcc 1
		.amdhsa_reserve_flat_scratch 0
		.amdhsa_float_round_mode_32 0
		.amdhsa_float_round_mode_16_64 0
		.amdhsa_float_denorm_mode_32 3
		.amdhsa_float_denorm_mode_16_64 3
		.amdhsa_dx10_clamp 1
		.amdhsa_ieee_mode 1
		.amdhsa_fp16_overflow 0
		.amdhsa_exception_fp_ieee_invalid_op 0
		.amdhsa_exception_fp_denorm_src 0
		.amdhsa_exception_fp_ieee_div_zero 0
		.amdhsa_exception_fp_ieee_overflow 0
		.amdhsa_exception_fp_ieee_underflow 0
		.amdhsa_exception_fp_ieee_inexact 0
		.amdhsa_exception_int_div_zero 0
	.end_amdhsa_kernel
	.section	.text._Z16sort_keys_kernelI22helper_blocked_stripedaLj128ELj8ELj10EEvPKT0_PS1_,"axG",@progbits,_Z16sort_keys_kernelI22helper_blocked_stripedaLj128ELj8ELj10EEvPKT0_PS1_,comdat
.Lfunc_end254:
	.size	_Z16sort_keys_kernelI22helper_blocked_stripedaLj128ELj8ELj10EEvPKT0_PS1_, .Lfunc_end254-_Z16sort_keys_kernelI22helper_blocked_stripedaLj128ELj8ELj10EEvPKT0_PS1_
                                        ; -- End function
	.set _Z16sort_keys_kernelI22helper_blocked_stripedaLj128ELj8ELj10EEvPKT0_PS1_.num_vgpr, 52
	.set _Z16sort_keys_kernelI22helper_blocked_stripedaLj128ELj8ELj10EEvPKT0_PS1_.num_agpr, 0
	.set _Z16sort_keys_kernelI22helper_blocked_stripedaLj128ELj8ELj10EEvPKT0_PS1_.numbered_sgpr, 34
	.set _Z16sort_keys_kernelI22helper_blocked_stripedaLj128ELj8ELj10EEvPKT0_PS1_.num_named_barrier, 0
	.set _Z16sort_keys_kernelI22helper_blocked_stripedaLj128ELj8ELj10EEvPKT0_PS1_.private_seg_size, 0
	.set _Z16sort_keys_kernelI22helper_blocked_stripedaLj128ELj8ELj10EEvPKT0_PS1_.uses_vcc, 1
	.set _Z16sort_keys_kernelI22helper_blocked_stripedaLj128ELj8ELj10EEvPKT0_PS1_.uses_flat_scratch, 0
	.set _Z16sort_keys_kernelI22helper_blocked_stripedaLj128ELj8ELj10EEvPKT0_PS1_.has_dyn_sized_stack, 0
	.set _Z16sort_keys_kernelI22helper_blocked_stripedaLj128ELj8ELj10EEvPKT0_PS1_.has_recursion, 0
	.set _Z16sort_keys_kernelI22helper_blocked_stripedaLj128ELj8ELj10EEvPKT0_PS1_.has_indirect_call, 0
	.section	.AMDGPU.csdata,"",@progbits
; Kernel info:
; codeLenInByte = 4588
; TotalNumSgprs: 38
; NumVgprs: 52
; ScratchSize: 0
; MemoryBound: 0
; FloatMode: 240
; IeeeMode: 1
; LDSByteSize: 2064 bytes/workgroup (compile time only)
; SGPRBlocks: 8
; VGPRBlocks: 12
; NumSGPRsForWavesPerEU: 65
; NumVGPRsForWavesPerEU: 52
; Occupancy: 4
; WaveLimiterHint : 1
; COMPUTE_PGM_RSRC2:SCRATCH_EN: 0
; COMPUTE_PGM_RSRC2:USER_SGPR: 6
; COMPUTE_PGM_RSRC2:TRAP_HANDLER: 0
; COMPUTE_PGM_RSRC2:TGID_X_EN: 1
; COMPUTE_PGM_RSRC2:TGID_Y_EN: 0
; COMPUTE_PGM_RSRC2:TGID_Z_EN: 0
; COMPUTE_PGM_RSRC2:TIDIG_COMP_CNT: 2
	.section	.text._Z17sort_pairs_kernelI22helper_blocked_stripedaLj128ELj8ELj10EEvPKT0_PS1_,"axG",@progbits,_Z17sort_pairs_kernelI22helper_blocked_stripedaLj128ELj8ELj10EEvPKT0_PS1_,comdat
	.protected	_Z17sort_pairs_kernelI22helper_blocked_stripedaLj128ELj8ELj10EEvPKT0_PS1_ ; -- Begin function _Z17sort_pairs_kernelI22helper_blocked_stripedaLj128ELj8ELj10EEvPKT0_PS1_
	.globl	_Z17sort_pairs_kernelI22helper_blocked_stripedaLj128ELj8ELj10EEvPKT0_PS1_
	.p2align	8
	.type	_Z17sort_pairs_kernelI22helper_blocked_stripedaLj128ELj8ELj10EEvPKT0_PS1_,@function
_Z17sort_pairs_kernelI22helper_blocked_stripedaLj128ELj8ELj10EEvPKT0_PS1_: ; @_Z17sort_pairs_kernelI22helper_blocked_stripedaLj128ELj8ELj10EEvPKT0_PS1_
; %bb.0:
	s_load_dwordx4 s[24:27], s[4:5], 0x0
	s_load_dword s22, s[4:5], 0x1c
	s_lshl_b32 s28, s6, 10
	v_lshlrev_b32_e32 v6, 3, v0
	v_mbcnt_lo_u32_b32 v7, -1, 0
	s_waitcnt lgkmcnt(0)
	s_add_u32 s0, s24, s28
	s_addc_u32 s1, s25, 0
	global_load_dwordx2 v[3:4], v6, s[0:1]
	s_lshr_b32 s24, s22, 16
	v_mbcnt_hi_u32_b32 v16, -1, v7
	s_and_b32 s22, s22, 0xffff
	v_mad_u32_u24 v1, v2, s24, v1
	v_and_b32_e32 v7, 64, v0
	v_subrev_co_u32_e64 v20, s[6:7], 1, v16
	v_and_b32_e32 v21, 64, v16
	v_mad_u32_u24 v1, v1, s22, v0
	s_movk_i32 s30, 0xff00
	v_mov_b32_e32 v19, 1
	v_and_b32_e32 v6, 0x200, v6
	v_and_b32_e32 v17, 16, v16
	v_or_b32_e32 v18, 63, v7
	v_and_b32_e32 v22, 1, v16
	v_cmp_lt_i32_e64 s[20:21], v20, v21
	v_lshrrev_b32_e32 v1, 4, v1
	s_mov_b32 s8, 0
	v_add_lshl_u32 v12, v16, v7, 3
	v_and_b32_e32 v15, 15, v16
	v_cmp_lt_u32_e64 s[4:5], 31, v16
	v_cmp_eq_u32_e64 s[16:17], 0, v17
	v_cmp_eq_u32_e64 s[18:19], v0, v18
	v_cndmask_b32_e64 v17, v20, v16, s[20:21]
	v_cmp_eq_u32_e64 s[20:21], 0, v22
	v_add_u32_e32 v16, v16, v6
	v_and_b32_e32 v18, 0xffffffc, v1
	s_movk_i32 s23, 0x100
	v_lshrrev_b32_e32 v8, 4, v0
	s_mov_b32 s10, s8
	v_mul_u32_u24_e32 v14, 3, v0
	s_mov_b32 s9, s8
	s_mov_b32 s11, s8
	v_and_b32_e32 v13, 4, v8
	v_mov_b32_e32 v7, s8
	v_mov_b32_e32 v9, s10
	s_mov_b32 s29, 10
	s_movk_i32 s31, 0x80
	s_movk_i32 s33, 0x8000
	v_mov_b32_e32 v5, 0
	s_mov_b32 s34, 0xc0c0004
	v_lshlrev_b32_e32 v11, 4, v0
	v_cmp_gt_u32_e32 vcc, 2, v0
	v_cmp_lt_u32_e64 s[0:1], 63, v0
	v_cmp_eq_u32_e64 s[2:3], 0, v0
	v_mov_b32_e32 v8, s9
	v_mov_b32_e32 v10, s11
	v_add_u32_e32 v14, v0, v14
	v_cmp_eq_u32_e64 s[8:9], 0, v15
	v_cmp_lt_u32_e64 s[10:11], 1, v15
	v_cmp_lt_u32_e64 s[12:13], 3, v15
	;; [unrolled: 1-line block ×3, first 2 shown]
	v_add_u32_e32 v15, -4, v13
	v_lshlrev_b32_e32 v17, 2, v17
	s_waitcnt vmcnt(0)
	v_and_b32_e32 v1, 0xffffff00, v3
	v_add_u16_e32 v2, 1, v3
	v_and_b32_sdwa v6, v3, s30 dst_sel:DWORD dst_unused:UNUSED_PAD src0_sel:WORD_1 src1_sel:DWORD
	v_add_u16_sdwa v20, v3, v19 dst_sel:DWORD dst_unused:UNUSED_PAD src0_sel:WORD_1 src1_sel:DWORD
	v_and_b32_e32 v21, 0xffffff00, v4
	v_add_u16_e32 v22, 1, v4
	v_and_b32_sdwa v23, v4, s30 dst_sel:DWORD dst_unused:UNUSED_PAD src0_sel:WORD_1 src1_sel:DWORD
	v_add_u16_sdwa v19, v4, v19 dst_sel:DWORD dst_unused:UNUSED_PAD src0_sel:WORD_1 src1_sel:DWORD
	v_or_b32_sdwa v1, v1, v2 dst_sel:DWORD dst_unused:UNUSED_PAD src0_sel:DWORD src1_sel:BYTE_0
	v_or_b32_sdwa v2, v6, v20 dst_sel:DWORD dst_unused:UNUSED_PAD src0_sel:DWORD src1_sel:BYTE_0
	;; [unrolled: 1-line block ×4, first 2 shown]
	v_add_u16_e32 v1, 0x100, v1
	v_add_u16_sdwa v2, v2, s23 dst_sel:WORD_1 dst_unused:UNUSED_PAD src0_sel:DWORD src1_sel:DWORD
	v_add_u16_e32 v6, 0x100, v6
	v_add_u16_sdwa v19, v19, s23 dst_sel:WORD_1 dst_unused:UNUSED_PAD src0_sel:DWORD src1_sel:DWORD
	v_or_b32_e32 v1, v1, v2
	v_or_b32_e32 v2, v6, v19
	v_mov_b32_e32 v19, 3
	s_branch .LBB255_2
.LBB255_1:                              ;   in Loop: Header=BB255_2 Depth=1
	s_or_b64 exec, exec, s[22:23]
	s_waitcnt lgkmcnt(0)
	v_add_u32_e32 v4, v58, v4
	ds_bpermute_b32 v4, v17, v4
	s_add_i32 s29, s29, -1
	s_cmp_eq_u32 s29, 0
	s_waitcnt lgkmcnt(0)
	v_cndmask_b32_e64 v4, v4, v58, s[6:7]
	v_cndmask_b32_e64 v58, v4, 0, s[2:3]
	v_add_u32_e32 v59, v58, v1
	v_add_u32_e32 v1, v59, v2
	;; [unrolled: 1-line block ×3, first 2 shown]
	ds_write2_b64 v11, v[58:59], v[1:2] offset0:1 offset1:2
	s_waitcnt lgkmcnt(0)
	s_barrier
	ds_read_b32 v1, v37 offset:8
	ds_read_b32 v2, v39 offset:8
	;; [unrolled: 1-line block ×8, first 2 shown]
	s_waitcnt lgkmcnt(7)
	v_add_u32_e32 v1, v1, v36
	s_waitcnt lgkmcnt(6)
	v_add3_u32 v2, v40, v38, v2
	s_waitcnt lgkmcnt(5)
	v_add3_u32 v3, v43, v41, v3
	;; [unrolled: 2-line block ×3, first 2 shown]
	s_waitcnt lgkmcnt(0)
	s_barrier
	ds_write_b8 v1, v27
	ds_write_b8 v2, v26
	;; [unrolled: 1-line block ×4, first 2 shown]
	v_add3_u32 v24, v49, v47, v37
	ds_write_b8 v24, v23
	v_add3_u32 v23, v52, v50, v39
	ds_write_b8 v23, v22
	v_add3_u32 v22, v55, v53, v42
	v_add3_u32 v6, v6, v56, v45
	ds_write_b8 v22, v21
	ds_write_b8 v6, v20
	s_waitcnt lgkmcnt(0)
	s_barrier
	ds_read_u8 v27, v0
	ds_read_u8 v36, v0 offset:128
	ds_read_u8 v37, v0 offset:256
	;; [unrolled: 1-line block ×7, first 2 shown]
	s_waitcnt lgkmcnt(0)
	s_barrier
	ds_write_b8 v1, v28
	ds_write_b8 v2, v29
	;; [unrolled: 1-line block ×8, first 2 shown]
	v_xor_b32_e32 v28, 0xffffff80, v36
	v_xor_b32_e32 v30, 0xffffff80, v38
	s_waitcnt lgkmcnt(0)
	s_barrier
	ds_read_u8 v6, v0
	ds_read_u8 v20, v0 offset:128
	ds_read_u8 v21, v0 offset:256
	;; [unrolled: 1-line block ×7, first 2 shown]
	v_xor_b32_e32 v27, 0xffffff80, v27
	v_xor_b32_e32 v29, 0xffffff80, v37
	v_lshlrev_b16_e32 v1, 8, v28
	v_lshlrev_b16_e32 v2, 8, v30
	v_xor_b32_e32 v32, 0xffffff80, v40
	v_xor_b32_e32 v34, 0xffffff80, v42
	v_or_b32_sdwa v1, v27, v1 dst_sel:DWORD dst_unused:UNUSED_PAD src0_sel:BYTE_0 src1_sel:DWORD
	v_or_b32_sdwa v2, v29, v2 dst_sel:WORD_1 dst_unused:UNUSED_PAD src0_sel:BYTE_0 src1_sel:DWORD
	v_xor_b32_e32 v31, 0xffffff80, v39
	v_xor_b32_e32 v33, 0xffffff80, v41
	v_or_b32_sdwa v3, v1, v2 dst_sel:DWORD dst_unused:UNUSED_PAD src0_sel:WORD_0 src1_sel:DWORD
	v_lshlrev_b16_e32 v1, 8, v32
	v_lshlrev_b16_e32 v2, 8, v34
	v_or_b32_sdwa v1, v31, v1 dst_sel:DWORD dst_unused:UNUSED_PAD src0_sel:BYTE_0 src1_sel:DWORD
	v_or_b32_sdwa v2, v33, v2 dst_sel:WORD_1 dst_unused:UNUSED_PAD src0_sel:BYTE_0 src1_sel:DWORD
	v_or_b32_sdwa v4, v1, v2 dst_sel:DWORD dst_unused:UNUSED_PAD src0_sel:WORD_0 src1_sel:DWORD
	s_waitcnt lgkmcnt(6)
	v_perm_b32 v1, v6, v20, s34
	s_waitcnt lgkmcnt(4)
	v_perm_b32 v2, v21, v22, s34
	v_lshl_or_b32 v1, v2, 16, v1
	s_waitcnt lgkmcnt(2)
	v_perm_b32 v2, v23, v24, s34
	s_waitcnt lgkmcnt(0)
	v_perm_b32 v35, v25, v26, s34
	v_lshl_or_b32 v2, v35, 16, v2
	s_cbranch_scc1 .LBB255_24
.LBB255_2:                              ; =>This Inner Loop Header: Depth=1
	v_and_b32_e32 v6, 0xffffff00, v3
	v_xor_b32_e32 v20, 0x80, v3
	v_or_b32_sdwa v6, v20, v6 dst_sel:DWORD dst_unused:UNUSED_PAD src0_sel:BYTE_0 src1_sel:DWORD
	v_and_b32_sdwa v20, v3, s30 dst_sel:DWORD dst_unused:UNUSED_PAD src0_sel:WORD_1 src1_sel:DWORD
	v_xor_b32_sdwa v3, v3, s31 dst_sel:DWORD dst_unused:UNUSED_PAD src0_sel:WORD_1 src1_sel:DWORD
	v_or_b32_sdwa v3, v3, v20 dst_sel:DWORD dst_unused:UNUSED_PAD src0_sel:BYTE_0 src1_sel:DWORD
	v_add_u16_e32 v6, 0x8000, v6
	v_add_u16_sdwa v3, v3, s33 dst_sel:WORD_1 dst_unused:UNUSED_PAD src0_sel:DWORD src1_sel:DWORD
	v_or_b32_e32 v3, v6, v3
	v_and_b32_e32 v6, 0xffffff00, v4
	v_xor_b32_e32 v20, 0x80, v4
	v_or_b32_sdwa v6, v20, v6 dst_sel:DWORD dst_unused:UNUSED_PAD src0_sel:BYTE_0 src1_sel:DWORD
	v_and_b32_sdwa v20, v4, s30 dst_sel:DWORD dst_unused:UNUSED_PAD src0_sel:WORD_1 src1_sel:DWORD
	v_xor_b32_sdwa v4, v4, s31 dst_sel:DWORD dst_unused:UNUSED_PAD src0_sel:WORD_1 src1_sel:DWORD
	v_or_b32_sdwa v4, v4, v20 dst_sel:DWORD dst_unused:UNUSED_PAD src0_sel:BYTE_0 src1_sel:DWORD
	v_add_u16_e32 v6, 0x8000, v6
	v_add_u16_sdwa v4, v4, s33 dst_sel:WORD_1 dst_unused:UNUSED_PAD src0_sel:DWORD src1_sel:DWORD
	v_or_b32_e32 v4, v6, v4
	ds_write_b64 v12, v[3:4]
	; wave barrier
	ds_read_u8 v27, v16
	ds_read_u8 v26, v16 offset:64
	ds_read_u8 v25, v16 offset:128
	;; [unrolled: 1-line block ×7, first 2 shown]
	; wave barrier
	ds_write_b64 v12, v[1:2]
	s_waitcnt lgkmcnt(8)
	v_and_b32_e32 v1, 1, v27
	v_add_co_u32_e64 v2, s[22:23], -1, v1
	v_addc_co_u32_e64 v3, s[22:23], 0, -1, s[22:23]
	v_cmp_ne_u32_e64 s[22:23], 0, v1
	v_lshlrev_b32_e32 v6, 30, v27
	v_xor_b32_e32 v1, s23, v3
	v_xor_b32_e32 v2, s22, v2
	v_cmp_gt_i64_e64 s[22:23], 0, v[5:6]
	v_not_b32_e32 v3, v6
	v_ashrrev_i32_e32 v3, 31, v3
	v_and_b32_e32 v2, exec_lo, v2
	v_xor_b32_e32 v4, s23, v3
	v_xor_b32_e32 v3, s22, v3
	v_lshlrev_b32_e32 v6, 29, v27
	v_and_b32_e32 v2, v2, v3
	v_cmp_gt_i64_e64 s[22:23], 0, v[5:6]
	v_not_b32_e32 v3, v6
	v_and_b32_e32 v1, exec_hi, v1
	v_ashrrev_i32_e32 v3, 31, v3
	v_and_b32_e32 v1, v1, v4
	v_xor_b32_e32 v4, s23, v3
	v_xor_b32_e32 v3, s22, v3
	v_lshlrev_b32_e32 v6, 28, v27
	v_and_b32_e32 v2, v2, v3
	v_cmp_gt_i64_e64 s[22:23], 0, v[5:6]
	v_not_b32_e32 v3, v6
	v_ashrrev_i32_e32 v3, 31, v3
	v_and_b32_e32 v1, v1, v4
	v_xor_b32_e32 v4, s23, v3
	v_xor_b32_e32 v3, s22, v3
	v_lshlrev_b32_e32 v6, 27, v27
	v_and_b32_e32 v2, v2, v3
	v_cmp_gt_i64_e64 s[22:23], 0, v[5:6]
	v_not_b32_e32 v3, v6
	;; [unrolled: 8-line block ×3, first 2 shown]
	v_ashrrev_i32_e32 v3, 31, v3
	v_and_b32_e32 v1, v1, v4
	v_xor_b32_e32 v4, s23, v3
	v_xor_b32_e32 v3, s22, v3
	v_lshlrev_b32_e32 v6, 25, v27
	; wave barrier
	v_and_b32_e32 v2, v2, v3
	v_cmp_gt_i64_e64 s[22:23], 0, v[5:6]
	v_not_b32_e32 v3, v6
	ds_read_u8 v28, v16
	ds_read_u8 v29, v16 offset:64
	ds_read_u8 v30, v16 offset:128
	;; [unrolled: 1-line block ×7, first 2 shown]
	v_ashrrev_i32_e32 v3, 31, v3
	v_and_b32_e32 v1, v1, v4
	v_xor_b32_e32 v4, s23, v3
	v_xor_b32_e32 v3, s22, v3
	v_lshlrev_b32_e32 v6, 24, v27
	v_and_b32_e32 v3, v2, v3
	v_cmp_gt_i64_e64 s[22:23], 0, v[5:6]
	v_not_b32_e32 v2, v6
	v_ashrrev_i32_e32 v2, 31, v2
	v_and_b32_e32 v1, v1, v4
	v_xor_b32_e32 v4, s23, v2
	v_xor_b32_e32 v6, s22, v2
	v_and_b32_e32 v2, v1, v4
	v_and_b32_e32 v1, v3, v6
	v_mbcnt_lo_u32_b32 v3, v1, 0
	v_mbcnt_hi_u32_b32 v36, v2, v3
	v_cmp_ne_u64_e64 s[22:23], 0, v[1:2]
	v_cmp_eq_u32_e64 s[24:25], 0, v36
	v_lshlrev_b32_sdwa v3, v19, v27 dst_sel:DWORD dst_unused:UNUSED_PAD src0_sel:DWORD src1_sel:BYTE_0
	s_and_b64 s[24:25], s[22:23], s[24:25]
	v_add_u32_e32 v37, v18, v3
	s_waitcnt lgkmcnt(0)
	s_barrier
	ds_write2_b64 v11, v[7:8], v[9:10] offset0:1 offset1:2
	s_waitcnt lgkmcnt(0)
	s_barrier
	; wave barrier
	s_and_saveexec_b64 s[22:23], s[24:25]
; %bb.3:                                ;   in Loop: Header=BB255_2 Depth=1
	v_bcnt_u32_b32 v1, v1, 0
	v_bcnt_u32_b32 v1, v2, v1
	ds_write_b32 v37, v1 offset:8
; %bb.4:                                ;   in Loop: Header=BB255_2 Depth=1
	s_or_b64 exec, exec, s[22:23]
	v_lshlrev_b32_sdwa v1, v19, v26 dst_sel:DWORD dst_unused:UNUSED_PAD src0_sel:DWORD src1_sel:BYTE_0
	v_add_u32_e32 v39, v18, v1
	v_and_b32_e32 v1, 1, v26
	v_add_co_u32_e64 v2, s[22:23], -1, v1
	v_addc_co_u32_e64 v3, s[22:23], 0, -1, s[22:23]
	v_cmp_ne_u32_e64 s[22:23], 0, v1
	v_lshlrev_b32_e32 v6, 30, v26
	v_xor_b32_e32 v1, s23, v3
	v_xor_b32_e32 v2, s22, v2
	v_cmp_gt_i64_e64 s[22:23], 0, v[5:6]
	v_not_b32_e32 v3, v6
	v_ashrrev_i32_e32 v3, 31, v3
	v_and_b32_e32 v2, exec_lo, v2
	v_xor_b32_e32 v4, s23, v3
	v_xor_b32_e32 v3, s22, v3
	v_lshlrev_b32_e32 v6, 29, v26
	v_and_b32_e32 v2, v2, v3
	v_cmp_gt_i64_e64 s[22:23], 0, v[5:6]
	v_not_b32_e32 v3, v6
	v_and_b32_e32 v1, exec_hi, v1
	v_ashrrev_i32_e32 v3, 31, v3
	v_and_b32_e32 v1, v1, v4
	v_xor_b32_e32 v4, s23, v3
	v_xor_b32_e32 v3, s22, v3
	v_lshlrev_b32_e32 v6, 28, v26
	v_and_b32_e32 v2, v2, v3
	v_cmp_gt_i64_e64 s[22:23], 0, v[5:6]
	v_not_b32_e32 v3, v6
	v_ashrrev_i32_e32 v3, 31, v3
	v_and_b32_e32 v1, v1, v4
	v_xor_b32_e32 v4, s23, v3
	v_xor_b32_e32 v3, s22, v3
	v_lshlrev_b32_e32 v6, 27, v26
	v_and_b32_e32 v2, v2, v3
	v_cmp_gt_i64_e64 s[22:23], 0, v[5:6]
	v_not_b32_e32 v3, v6
	;; [unrolled: 8-line block ×5, first 2 shown]
	v_ashrrev_i32_e32 v2, 31, v2
	v_and_b32_e32 v1, v1, v4
	v_xor_b32_e32 v4, s23, v2
	v_xor_b32_e32 v6, s22, v2
	; wave barrier
	ds_read_b32 v38, v39 offset:8
	v_and_b32_e32 v2, v1, v4
	v_and_b32_e32 v1, v3, v6
	v_mbcnt_lo_u32_b32 v3, v1, 0
	v_mbcnt_hi_u32_b32 v40, v2, v3
	v_cmp_ne_u64_e64 s[22:23], 0, v[1:2]
	v_cmp_eq_u32_e64 s[24:25], 0, v40
	s_and_b64 s[24:25], s[22:23], s[24:25]
	; wave barrier
	s_and_saveexec_b64 s[22:23], s[24:25]
	s_cbranch_execz .LBB255_6
; %bb.5:                                ;   in Loop: Header=BB255_2 Depth=1
	v_bcnt_u32_b32 v1, v1, 0
	v_bcnt_u32_b32 v1, v2, v1
	s_waitcnt lgkmcnt(0)
	v_add_u32_e32 v1, v38, v1
	ds_write_b32 v39, v1 offset:8
.LBB255_6:                              ;   in Loop: Header=BB255_2 Depth=1
	s_or_b64 exec, exec, s[22:23]
	v_lshlrev_b32_sdwa v1, v19, v25 dst_sel:DWORD dst_unused:UNUSED_PAD src0_sel:DWORD src1_sel:BYTE_0
	v_add_u32_e32 v42, v18, v1
	v_and_b32_e32 v1, 1, v25
	v_add_co_u32_e64 v2, s[22:23], -1, v1
	v_addc_co_u32_e64 v3, s[22:23], 0, -1, s[22:23]
	v_cmp_ne_u32_e64 s[22:23], 0, v1
	v_lshlrev_b32_e32 v6, 30, v25
	v_xor_b32_e32 v1, s23, v3
	v_xor_b32_e32 v2, s22, v2
	v_cmp_gt_i64_e64 s[22:23], 0, v[5:6]
	v_not_b32_e32 v3, v6
	v_ashrrev_i32_e32 v3, 31, v3
	v_and_b32_e32 v2, exec_lo, v2
	v_xor_b32_e32 v4, s23, v3
	v_xor_b32_e32 v3, s22, v3
	v_lshlrev_b32_e32 v6, 29, v25
	v_and_b32_e32 v2, v2, v3
	v_cmp_gt_i64_e64 s[22:23], 0, v[5:6]
	v_not_b32_e32 v3, v6
	v_and_b32_e32 v1, exec_hi, v1
	v_ashrrev_i32_e32 v3, 31, v3
	v_and_b32_e32 v1, v1, v4
	v_xor_b32_e32 v4, s23, v3
	v_xor_b32_e32 v3, s22, v3
	v_lshlrev_b32_e32 v6, 28, v25
	v_and_b32_e32 v2, v2, v3
	v_cmp_gt_i64_e64 s[22:23], 0, v[5:6]
	v_not_b32_e32 v3, v6
	v_ashrrev_i32_e32 v3, 31, v3
	v_and_b32_e32 v1, v1, v4
	v_xor_b32_e32 v4, s23, v3
	v_xor_b32_e32 v3, s22, v3
	v_lshlrev_b32_e32 v6, 27, v25
	v_and_b32_e32 v2, v2, v3
	v_cmp_gt_i64_e64 s[22:23], 0, v[5:6]
	v_not_b32_e32 v3, v6
	;; [unrolled: 8-line block ×5, first 2 shown]
	v_ashrrev_i32_e32 v2, 31, v2
	v_and_b32_e32 v1, v1, v4
	v_xor_b32_e32 v4, s23, v2
	v_xor_b32_e32 v6, s22, v2
	; wave barrier
	ds_read_b32 v41, v42 offset:8
	v_and_b32_e32 v2, v1, v4
	v_and_b32_e32 v1, v3, v6
	v_mbcnt_lo_u32_b32 v3, v1, 0
	v_mbcnt_hi_u32_b32 v43, v2, v3
	v_cmp_ne_u64_e64 s[22:23], 0, v[1:2]
	v_cmp_eq_u32_e64 s[24:25], 0, v43
	s_and_b64 s[24:25], s[22:23], s[24:25]
	; wave barrier
	s_and_saveexec_b64 s[22:23], s[24:25]
	s_cbranch_execz .LBB255_8
; %bb.7:                                ;   in Loop: Header=BB255_2 Depth=1
	v_bcnt_u32_b32 v1, v1, 0
	v_bcnt_u32_b32 v1, v2, v1
	s_waitcnt lgkmcnt(0)
	v_add_u32_e32 v1, v41, v1
	ds_write_b32 v42, v1 offset:8
.LBB255_8:                              ;   in Loop: Header=BB255_2 Depth=1
	s_or_b64 exec, exec, s[22:23]
	v_lshlrev_b32_sdwa v1, v19, v24 dst_sel:DWORD dst_unused:UNUSED_PAD src0_sel:DWORD src1_sel:BYTE_0
	v_add_u32_e32 v45, v18, v1
	v_and_b32_e32 v1, 1, v24
	v_add_co_u32_e64 v2, s[22:23], -1, v1
	v_addc_co_u32_e64 v3, s[22:23], 0, -1, s[22:23]
	v_cmp_ne_u32_e64 s[22:23], 0, v1
	v_lshlrev_b32_e32 v6, 30, v24
	v_xor_b32_e32 v1, s23, v3
	v_xor_b32_e32 v2, s22, v2
	v_cmp_gt_i64_e64 s[22:23], 0, v[5:6]
	v_not_b32_e32 v3, v6
	v_ashrrev_i32_e32 v3, 31, v3
	v_and_b32_e32 v2, exec_lo, v2
	v_xor_b32_e32 v4, s23, v3
	v_xor_b32_e32 v3, s22, v3
	v_lshlrev_b32_e32 v6, 29, v24
	v_and_b32_e32 v2, v2, v3
	v_cmp_gt_i64_e64 s[22:23], 0, v[5:6]
	v_not_b32_e32 v3, v6
	v_and_b32_e32 v1, exec_hi, v1
	v_ashrrev_i32_e32 v3, 31, v3
	v_and_b32_e32 v1, v1, v4
	v_xor_b32_e32 v4, s23, v3
	v_xor_b32_e32 v3, s22, v3
	v_lshlrev_b32_e32 v6, 28, v24
	v_and_b32_e32 v2, v2, v3
	v_cmp_gt_i64_e64 s[22:23], 0, v[5:6]
	v_not_b32_e32 v3, v6
	v_ashrrev_i32_e32 v3, 31, v3
	v_and_b32_e32 v1, v1, v4
	v_xor_b32_e32 v4, s23, v3
	v_xor_b32_e32 v3, s22, v3
	v_lshlrev_b32_e32 v6, 27, v24
	v_and_b32_e32 v2, v2, v3
	v_cmp_gt_i64_e64 s[22:23], 0, v[5:6]
	v_not_b32_e32 v3, v6
	v_ashrrev_i32_e32 v3, 31, v3
	v_and_b32_e32 v1, v1, v4
	v_xor_b32_e32 v4, s23, v3
	v_xor_b32_e32 v3, s22, v3
	v_lshlrev_b32_e32 v6, 26, v24
	v_and_b32_e32 v2, v2, v3
	v_cmp_gt_i64_e64 s[22:23], 0, v[5:6]
	v_not_b32_e32 v3, v6
	v_ashrrev_i32_e32 v3, 31, v3
	v_and_b32_e32 v1, v1, v4
	v_xor_b32_e32 v4, s23, v3
	v_xor_b32_e32 v3, s22, v3
	v_lshlrev_b32_e32 v6, 25, v24
	v_and_b32_e32 v2, v2, v3
	v_cmp_gt_i64_e64 s[22:23], 0, v[5:6]
	v_not_b32_e32 v3, v6
	v_ashrrev_i32_e32 v3, 31, v3
	v_and_b32_e32 v1, v1, v4
	v_xor_b32_e32 v4, s23, v3
	v_xor_b32_e32 v3, s22, v3
	v_lshlrev_b32_e32 v6, 24, v24
	v_and_b32_e32 v3, v2, v3
	v_cmp_gt_i64_e64 s[22:23], 0, v[5:6]
	v_not_b32_e32 v2, v6
	v_ashrrev_i32_e32 v2, 31, v2
	v_and_b32_e32 v1, v1, v4
	v_xor_b32_e32 v4, s23, v2
	v_xor_b32_e32 v6, s22, v2
	; wave barrier
	ds_read_b32 v44, v45 offset:8
	v_and_b32_e32 v2, v1, v4
	v_and_b32_e32 v1, v3, v6
	v_mbcnt_lo_u32_b32 v3, v1, 0
	v_mbcnt_hi_u32_b32 v46, v2, v3
	v_cmp_ne_u64_e64 s[22:23], 0, v[1:2]
	v_cmp_eq_u32_e64 s[24:25], 0, v46
	s_and_b64 s[24:25], s[22:23], s[24:25]
	; wave barrier
	s_and_saveexec_b64 s[22:23], s[24:25]
	s_cbranch_execz .LBB255_10
; %bb.9:                                ;   in Loop: Header=BB255_2 Depth=1
	v_bcnt_u32_b32 v1, v1, 0
	v_bcnt_u32_b32 v1, v2, v1
	s_waitcnt lgkmcnt(0)
	v_add_u32_e32 v1, v44, v1
	ds_write_b32 v45, v1 offset:8
.LBB255_10:                             ;   in Loop: Header=BB255_2 Depth=1
	s_or_b64 exec, exec, s[22:23]
	v_lshlrev_b32_sdwa v1, v19, v23 dst_sel:DWORD dst_unused:UNUSED_PAD src0_sel:DWORD src1_sel:BYTE_0
	v_add_u32_e32 v48, v18, v1
	v_and_b32_e32 v1, 1, v23
	v_add_co_u32_e64 v2, s[22:23], -1, v1
	v_addc_co_u32_e64 v3, s[22:23], 0, -1, s[22:23]
	v_cmp_ne_u32_e64 s[22:23], 0, v1
	v_lshlrev_b32_e32 v6, 30, v23
	v_xor_b32_e32 v1, s23, v3
	v_xor_b32_e32 v2, s22, v2
	v_cmp_gt_i64_e64 s[22:23], 0, v[5:6]
	v_not_b32_e32 v3, v6
	v_ashrrev_i32_e32 v3, 31, v3
	v_and_b32_e32 v2, exec_lo, v2
	v_xor_b32_e32 v4, s23, v3
	v_xor_b32_e32 v3, s22, v3
	v_lshlrev_b32_e32 v6, 29, v23
	v_and_b32_e32 v2, v2, v3
	v_cmp_gt_i64_e64 s[22:23], 0, v[5:6]
	v_not_b32_e32 v3, v6
	v_and_b32_e32 v1, exec_hi, v1
	v_ashrrev_i32_e32 v3, 31, v3
	v_and_b32_e32 v1, v1, v4
	v_xor_b32_e32 v4, s23, v3
	v_xor_b32_e32 v3, s22, v3
	v_lshlrev_b32_e32 v6, 28, v23
	v_and_b32_e32 v2, v2, v3
	v_cmp_gt_i64_e64 s[22:23], 0, v[5:6]
	v_not_b32_e32 v3, v6
	v_ashrrev_i32_e32 v3, 31, v3
	v_and_b32_e32 v1, v1, v4
	v_xor_b32_e32 v4, s23, v3
	v_xor_b32_e32 v3, s22, v3
	v_lshlrev_b32_e32 v6, 27, v23
	v_and_b32_e32 v2, v2, v3
	v_cmp_gt_i64_e64 s[22:23], 0, v[5:6]
	v_not_b32_e32 v3, v6
	v_ashrrev_i32_e32 v3, 31, v3
	v_and_b32_e32 v1, v1, v4
	v_xor_b32_e32 v4, s23, v3
	v_xor_b32_e32 v3, s22, v3
	v_lshlrev_b32_e32 v6, 26, v23
	v_and_b32_e32 v2, v2, v3
	v_cmp_gt_i64_e64 s[22:23], 0, v[5:6]
	v_not_b32_e32 v3, v6
	v_ashrrev_i32_e32 v3, 31, v3
	v_and_b32_e32 v1, v1, v4
	v_xor_b32_e32 v4, s23, v3
	v_xor_b32_e32 v3, s22, v3
	v_lshlrev_b32_e32 v6, 25, v23
	v_and_b32_e32 v2, v2, v3
	v_cmp_gt_i64_e64 s[22:23], 0, v[5:6]
	v_not_b32_e32 v3, v6
	v_ashrrev_i32_e32 v3, 31, v3
	v_and_b32_e32 v1, v1, v4
	v_xor_b32_e32 v4, s23, v3
	v_xor_b32_e32 v3, s22, v3
	v_lshlrev_b32_e32 v6, 24, v23
	v_and_b32_e32 v3, v2, v3
	v_cmp_gt_i64_e64 s[22:23], 0, v[5:6]
	v_not_b32_e32 v2, v6
	v_ashrrev_i32_e32 v2, 31, v2
	v_and_b32_e32 v1, v1, v4
	v_xor_b32_e32 v4, s23, v2
	v_xor_b32_e32 v6, s22, v2
	; wave barrier
	ds_read_b32 v47, v48 offset:8
	v_and_b32_e32 v2, v1, v4
	v_and_b32_e32 v1, v3, v6
	v_mbcnt_lo_u32_b32 v3, v1, 0
	v_mbcnt_hi_u32_b32 v49, v2, v3
	v_cmp_ne_u64_e64 s[22:23], 0, v[1:2]
	v_cmp_eq_u32_e64 s[24:25], 0, v49
	s_and_b64 s[24:25], s[22:23], s[24:25]
	; wave barrier
	s_and_saveexec_b64 s[22:23], s[24:25]
	s_cbranch_execz .LBB255_12
; %bb.11:                               ;   in Loop: Header=BB255_2 Depth=1
	v_bcnt_u32_b32 v1, v1, 0
	v_bcnt_u32_b32 v1, v2, v1
	s_waitcnt lgkmcnt(0)
	v_add_u32_e32 v1, v47, v1
	ds_write_b32 v48, v1 offset:8
.LBB255_12:                             ;   in Loop: Header=BB255_2 Depth=1
	s_or_b64 exec, exec, s[22:23]
	v_lshlrev_b32_sdwa v1, v19, v22 dst_sel:DWORD dst_unused:UNUSED_PAD src0_sel:DWORD src1_sel:BYTE_0
	v_add_u32_e32 v51, v18, v1
	v_and_b32_e32 v1, 1, v22
	v_add_co_u32_e64 v2, s[22:23], -1, v1
	v_addc_co_u32_e64 v3, s[22:23], 0, -1, s[22:23]
	v_cmp_ne_u32_e64 s[22:23], 0, v1
	v_lshlrev_b32_e32 v6, 30, v22
	v_xor_b32_e32 v1, s23, v3
	v_xor_b32_e32 v2, s22, v2
	v_cmp_gt_i64_e64 s[22:23], 0, v[5:6]
	v_not_b32_e32 v3, v6
	v_ashrrev_i32_e32 v3, 31, v3
	v_and_b32_e32 v2, exec_lo, v2
	v_xor_b32_e32 v4, s23, v3
	v_xor_b32_e32 v3, s22, v3
	v_lshlrev_b32_e32 v6, 29, v22
	v_and_b32_e32 v2, v2, v3
	v_cmp_gt_i64_e64 s[22:23], 0, v[5:6]
	v_not_b32_e32 v3, v6
	v_and_b32_e32 v1, exec_hi, v1
	v_ashrrev_i32_e32 v3, 31, v3
	v_and_b32_e32 v1, v1, v4
	v_xor_b32_e32 v4, s23, v3
	v_xor_b32_e32 v3, s22, v3
	v_lshlrev_b32_e32 v6, 28, v22
	v_and_b32_e32 v2, v2, v3
	v_cmp_gt_i64_e64 s[22:23], 0, v[5:6]
	v_not_b32_e32 v3, v6
	v_ashrrev_i32_e32 v3, 31, v3
	v_and_b32_e32 v1, v1, v4
	v_xor_b32_e32 v4, s23, v3
	v_xor_b32_e32 v3, s22, v3
	v_lshlrev_b32_e32 v6, 27, v22
	v_and_b32_e32 v2, v2, v3
	v_cmp_gt_i64_e64 s[22:23], 0, v[5:6]
	v_not_b32_e32 v3, v6
	;; [unrolled: 8-line block ×5, first 2 shown]
	v_ashrrev_i32_e32 v2, 31, v2
	v_and_b32_e32 v1, v1, v4
	v_xor_b32_e32 v4, s23, v2
	v_xor_b32_e32 v6, s22, v2
	; wave barrier
	ds_read_b32 v50, v51 offset:8
	v_and_b32_e32 v2, v1, v4
	v_and_b32_e32 v1, v3, v6
	v_mbcnt_lo_u32_b32 v3, v1, 0
	v_mbcnt_hi_u32_b32 v52, v2, v3
	v_cmp_ne_u64_e64 s[22:23], 0, v[1:2]
	v_cmp_eq_u32_e64 s[24:25], 0, v52
	s_and_b64 s[24:25], s[22:23], s[24:25]
	; wave barrier
	s_and_saveexec_b64 s[22:23], s[24:25]
	s_cbranch_execz .LBB255_14
; %bb.13:                               ;   in Loop: Header=BB255_2 Depth=1
	v_bcnt_u32_b32 v1, v1, 0
	v_bcnt_u32_b32 v1, v2, v1
	s_waitcnt lgkmcnt(0)
	v_add_u32_e32 v1, v50, v1
	ds_write_b32 v51, v1 offset:8
.LBB255_14:                             ;   in Loop: Header=BB255_2 Depth=1
	s_or_b64 exec, exec, s[22:23]
	v_lshlrev_b32_sdwa v1, v19, v21 dst_sel:DWORD dst_unused:UNUSED_PAD src0_sel:DWORD src1_sel:BYTE_0
	v_add_u32_e32 v54, v18, v1
	v_and_b32_e32 v1, 1, v21
	v_add_co_u32_e64 v2, s[22:23], -1, v1
	v_addc_co_u32_e64 v3, s[22:23], 0, -1, s[22:23]
	v_cmp_ne_u32_e64 s[22:23], 0, v1
	v_lshlrev_b32_e32 v6, 30, v21
	v_xor_b32_e32 v1, s23, v3
	v_xor_b32_e32 v2, s22, v2
	v_cmp_gt_i64_e64 s[22:23], 0, v[5:6]
	v_not_b32_e32 v3, v6
	v_ashrrev_i32_e32 v3, 31, v3
	v_and_b32_e32 v2, exec_lo, v2
	v_xor_b32_e32 v4, s23, v3
	v_xor_b32_e32 v3, s22, v3
	v_lshlrev_b32_e32 v6, 29, v21
	v_and_b32_e32 v2, v2, v3
	v_cmp_gt_i64_e64 s[22:23], 0, v[5:6]
	v_not_b32_e32 v3, v6
	v_and_b32_e32 v1, exec_hi, v1
	v_ashrrev_i32_e32 v3, 31, v3
	v_and_b32_e32 v1, v1, v4
	v_xor_b32_e32 v4, s23, v3
	v_xor_b32_e32 v3, s22, v3
	v_lshlrev_b32_e32 v6, 28, v21
	v_and_b32_e32 v2, v2, v3
	v_cmp_gt_i64_e64 s[22:23], 0, v[5:6]
	v_not_b32_e32 v3, v6
	v_ashrrev_i32_e32 v3, 31, v3
	v_and_b32_e32 v1, v1, v4
	v_xor_b32_e32 v4, s23, v3
	v_xor_b32_e32 v3, s22, v3
	v_lshlrev_b32_e32 v6, 27, v21
	v_and_b32_e32 v2, v2, v3
	v_cmp_gt_i64_e64 s[22:23], 0, v[5:6]
	v_not_b32_e32 v3, v6
	;; [unrolled: 8-line block ×5, first 2 shown]
	v_ashrrev_i32_e32 v2, 31, v2
	v_and_b32_e32 v1, v1, v4
	v_xor_b32_e32 v4, s23, v2
	v_xor_b32_e32 v6, s22, v2
	; wave barrier
	ds_read_b32 v53, v54 offset:8
	v_and_b32_e32 v2, v1, v4
	v_and_b32_e32 v1, v3, v6
	v_mbcnt_lo_u32_b32 v3, v1, 0
	v_mbcnt_hi_u32_b32 v55, v2, v3
	v_cmp_ne_u64_e64 s[22:23], 0, v[1:2]
	v_cmp_eq_u32_e64 s[24:25], 0, v55
	s_and_b64 s[24:25], s[22:23], s[24:25]
	; wave barrier
	s_and_saveexec_b64 s[22:23], s[24:25]
	s_cbranch_execz .LBB255_16
; %bb.15:                               ;   in Loop: Header=BB255_2 Depth=1
	v_bcnt_u32_b32 v1, v1, 0
	v_bcnt_u32_b32 v1, v2, v1
	s_waitcnt lgkmcnt(0)
	v_add_u32_e32 v1, v53, v1
	ds_write_b32 v54, v1 offset:8
.LBB255_16:                             ;   in Loop: Header=BB255_2 Depth=1
	s_or_b64 exec, exec, s[22:23]
	v_lshlrev_b32_sdwa v1, v19, v20 dst_sel:DWORD dst_unused:UNUSED_PAD src0_sel:DWORD src1_sel:BYTE_0
	v_add_u32_e32 v57, v18, v1
	v_and_b32_e32 v1, 1, v20
	v_add_co_u32_e64 v2, s[22:23], -1, v1
	v_addc_co_u32_e64 v3, s[22:23], 0, -1, s[22:23]
	v_cmp_ne_u32_e64 s[22:23], 0, v1
	v_lshlrev_b32_e32 v6, 30, v20
	v_xor_b32_e32 v1, s23, v3
	v_xor_b32_e32 v2, s22, v2
	v_cmp_gt_i64_e64 s[22:23], 0, v[5:6]
	v_not_b32_e32 v3, v6
	v_ashrrev_i32_e32 v3, 31, v3
	v_and_b32_e32 v2, exec_lo, v2
	v_xor_b32_e32 v4, s23, v3
	v_xor_b32_e32 v3, s22, v3
	v_lshlrev_b32_e32 v6, 29, v20
	v_and_b32_e32 v2, v2, v3
	v_cmp_gt_i64_e64 s[22:23], 0, v[5:6]
	v_not_b32_e32 v3, v6
	v_and_b32_e32 v1, exec_hi, v1
	v_ashrrev_i32_e32 v3, 31, v3
	v_and_b32_e32 v1, v1, v4
	v_xor_b32_e32 v4, s23, v3
	v_xor_b32_e32 v3, s22, v3
	v_lshlrev_b32_e32 v6, 28, v20
	v_and_b32_e32 v2, v2, v3
	v_cmp_gt_i64_e64 s[22:23], 0, v[5:6]
	v_not_b32_e32 v3, v6
	v_ashrrev_i32_e32 v3, 31, v3
	v_and_b32_e32 v1, v1, v4
	v_xor_b32_e32 v4, s23, v3
	v_xor_b32_e32 v3, s22, v3
	v_lshlrev_b32_e32 v6, 27, v20
	v_and_b32_e32 v2, v2, v3
	v_cmp_gt_i64_e64 s[22:23], 0, v[5:6]
	v_not_b32_e32 v3, v6
	;; [unrolled: 8-line block ×5, first 2 shown]
	v_ashrrev_i32_e32 v2, 31, v2
	v_and_b32_e32 v1, v1, v4
	v_xor_b32_e32 v4, s23, v2
	v_xor_b32_e32 v6, s22, v2
	; wave barrier
	ds_read_b32 v56, v57 offset:8
	v_and_b32_e32 v2, v1, v4
	v_and_b32_e32 v1, v3, v6
	v_mbcnt_lo_u32_b32 v3, v1, 0
	v_mbcnt_hi_u32_b32 v6, v2, v3
	v_cmp_ne_u64_e64 s[22:23], 0, v[1:2]
	v_cmp_eq_u32_e64 s[24:25], 0, v6
	s_and_b64 s[24:25], s[22:23], s[24:25]
	; wave barrier
	s_and_saveexec_b64 s[22:23], s[24:25]
	s_cbranch_execz .LBB255_18
; %bb.17:                               ;   in Loop: Header=BB255_2 Depth=1
	v_bcnt_u32_b32 v1, v1, 0
	v_bcnt_u32_b32 v1, v2, v1
	s_waitcnt lgkmcnt(0)
	v_add_u32_e32 v1, v56, v1
	ds_write_b32 v57, v1 offset:8
.LBB255_18:                             ;   in Loop: Header=BB255_2 Depth=1
	s_or_b64 exec, exec, s[22:23]
	; wave barrier
	s_waitcnt lgkmcnt(0)
	s_barrier
	ds_read2_b64 v[1:4], v11 offset0:1 offset1:2
	s_waitcnt lgkmcnt(0)
	v_add_u32_e32 v58, v2, v1
	v_add3_u32 v4, v58, v3, v4
	s_nop 1
	v_mov_b32_dpp v58, v4 row_shr:1 row_mask:0xf bank_mask:0xf
	v_cndmask_b32_e64 v58, v58, 0, s[8:9]
	v_add_u32_e32 v4, v58, v4
	s_nop 1
	v_mov_b32_dpp v58, v4 row_shr:2 row_mask:0xf bank_mask:0xf
	v_cndmask_b32_e64 v58, 0, v58, s[10:11]
	v_add_u32_e32 v4, v4, v58
	;; [unrolled: 4-line block ×4, first 2 shown]
	s_nop 1
	v_mov_b32_dpp v58, v4 row_bcast:15 row_mask:0xf bank_mask:0xf
	v_cndmask_b32_e64 v58, v58, 0, s[16:17]
	v_add_u32_e32 v4, v4, v58
	s_nop 1
	v_mov_b32_dpp v58, v4 row_bcast:31 row_mask:0xf bank_mask:0xf
	v_cndmask_b32_e64 v58, 0, v58, s[4:5]
	v_add_u32_e32 v4, v4, v58
	s_and_saveexec_b64 s[22:23], s[18:19]
; %bb.19:                               ;   in Loop: Header=BB255_2 Depth=1
	ds_write_b32 v13, v4
; %bb.20:                               ;   in Loop: Header=BB255_2 Depth=1
	s_or_b64 exec, exec, s[22:23]
	s_waitcnt lgkmcnt(0)
	s_barrier
	s_and_saveexec_b64 s[22:23], vcc
	s_cbranch_execz .LBB255_22
; %bb.21:                               ;   in Loop: Header=BB255_2 Depth=1
	ds_read_b32 v58, v14
	s_waitcnt lgkmcnt(0)
	s_nop 0
	v_mov_b32_dpp v59, v58 row_shr:1 row_mask:0xf bank_mask:0xf
	v_cndmask_b32_e64 v59, v59, 0, s[20:21]
	v_add_u32_e32 v58, v59, v58
	ds_write_b32 v14, v58
.LBB255_22:                             ;   in Loop: Header=BB255_2 Depth=1
	s_or_b64 exec, exec, s[22:23]
	v_mov_b32_e32 v58, 0
	s_waitcnt lgkmcnt(0)
	s_barrier
	s_and_saveexec_b64 s[22:23], s[0:1]
	s_cbranch_execz .LBB255_1
; %bb.23:                               ;   in Loop: Header=BB255_2 Depth=1
	ds_read_b32 v58, v15
	s_branch .LBB255_1
.LBB255_24:
	s_add_u32 s0, s26, s28
	v_add_u16_e32 v1, v27, v6
	s_addc_u32 s1, s27, 0
	v_add_u16_e32 v2, v28, v20
	v_add_u16_e32 v3, v29, v21
	;; [unrolled: 1-line block ×7, first 2 shown]
	global_store_byte v0, v1, s[0:1]
	global_store_byte v0, v2, s[0:1] offset:128
	global_store_byte v0, v3, s[0:1] offset:256
	;; [unrolled: 1-line block ×7, first 2 shown]
	s_endpgm
	.section	.rodata,"a",@progbits
	.p2align	6, 0x0
	.amdhsa_kernel _Z17sort_pairs_kernelI22helper_blocked_stripedaLj128ELj8ELj10EEvPKT0_PS1_
		.amdhsa_group_segment_fixed_size 2064
		.amdhsa_private_segment_fixed_size 0
		.amdhsa_kernarg_size 272
		.amdhsa_user_sgpr_count 6
		.amdhsa_user_sgpr_private_segment_buffer 1
		.amdhsa_user_sgpr_dispatch_ptr 0
		.amdhsa_user_sgpr_queue_ptr 0
		.amdhsa_user_sgpr_kernarg_segment_ptr 1
		.amdhsa_user_sgpr_dispatch_id 0
		.amdhsa_user_sgpr_flat_scratch_init 0
		.amdhsa_user_sgpr_private_segment_size 0
		.amdhsa_uses_dynamic_stack 0
		.amdhsa_system_sgpr_private_segment_wavefront_offset 0
		.amdhsa_system_sgpr_workgroup_id_x 1
		.amdhsa_system_sgpr_workgroup_id_y 0
		.amdhsa_system_sgpr_workgroup_id_z 0
		.amdhsa_system_sgpr_workgroup_info 0
		.amdhsa_system_vgpr_workitem_id 2
		.amdhsa_next_free_vgpr 60
		.amdhsa_next_free_sgpr 61
		.amdhsa_reserve_vcc 1
		.amdhsa_reserve_flat_scratch 0
		.amdhsa_float_round_mode_32 0
		.amdhsa_float_round_mode_16_64 0
		.amdhsa_float_denorm_mode_32 3
		.amdhsa_float_denorm_mode_16_64 3
		.amdhsa_dx10_clamp 1
		.amdhsa_ieee_mode 1
		.amdhsa_fp16_overflow 0
		.amdhsa_exception_fp_ieee_invalid_op 0
		.amdhsa_exception_fp_denorm_src 0
		.amdhsa_exception_fp_ieee_div_zero 0
		.amdhsa_exception_fp_ieee_overflow 0
		.amdhsa_exception_fp_ieee_underflow 0
		.amdhsa_exception_fp_ieee_inexact 0
		.amdhsa_exception_int_div_zero 0
	.end_amdhsa_kernel
	.section	.text._Z17sort_pairs_kernelI22helper_blocked_stripedaLj128ELj8ELj10EEvPKT0_PS1_,"axG",@progbits,_Z17sort_pairs_kernelI22helper_blocked_stripedaLj128ELj8ELj10EEvPKT0_PS1_,comdat
.Lfunc_end255:
	.size	_Z17sort_pairs_kernelI22helper_blocked_stripedaLj128ELj8ELj10EEvPKT0_PS1_, .Lfunc_end255-_Z17sort_pairs_kernelI22helper_blocked_stripedaLj128ELj8ELj10EEvPKT0_PS1_
                                        ; -- End function
	.set _Z17sort_pairs_kernelI22helper_blocked_stripedaLj128ELj8ELj10EEvPKT0_PS1_.num_vgpr, 60
	.set _Z17sort_pairs_kernelI22helper_blocked_stripedaLj128ELj8ELj10EEvPKT0_PS1_.num_agpr, 0
	.set _Z17sort_pairs_kernelI22helper_blocked_stripedaLj128ELj8ELj10EEvPKT0_PS1_.numbered_sgpr, 35
	.set _Z17sort_pairs_kernelI22helper_blocked_stripedaLj128ELj8ELj10EEvPKT0_PS1_.num_named_barrier, 0
	.set _Z17sort_pairs_kernelI22helper_blocked_stripedaLj128ELj8ELj10EEvPKT0_PS1_.private_seg_size, 0
	.set _Z17sort_pairs_kernelI22helper_blocked_stripedaLj128ELj8ELj10EEvPKT0_PS1_.uses_vcc, 1
	.set _Z17sort_pairs_kernelI22helper_blocked_stripedaLj128ELj8ELj10EEvPKT0_PS1_.uses_flat_scratch, 0
	.set _Z17sort_pairs_kernelI22helper_blocked_stripedaLj128ELj8ELj10EEvPKT0_PS1_.has_dyn_sized_stack, 0
	.set _Z17sort_pairs_kernelI22helper_blocked_stripedaLj128ELj8ELj10EEvPKT0_PS1_.has_recursion, 0
	.set _Z17sort_pairs_kernelI22helper_blocked_stripedaLj128ELj8ELj10EEvPKT0_PS1_.has_indirect_call, 0
	.section	.AMDGPU.csdata,"",@progbits
; Kernel info:
; codeLenInByte = 5040
; TotalNumSgprs: 39
; NumVgprs: 60
; ScratchSize: 0
; MemoryBound: 0
; FloatMode: 240
; IeeeMode: 1
; LDSByteSize: 2064 bytes/workgroup (compile time only)
; SGPRBlocks: 8
; VGPRBlocks: 14
; NumSGPRsForWavesPerEU: 65
; NumVGPRsForWavesPerEU: 60
; Occupancy: 4
; WaveLimiterHint : 1
; COMPUTE_PGM_RSRC2:SCRATCH_EN: 0
; COMPUTE_PGM_RSRC2:USER_SGPR: 6
; COMPUTE_PGM_RSRC2:TRAP_HANDLER: 0
; COMPUTE_PGM_RSRC2:TGID_X_EN: 1
; COMPUTE_PGM_RSRC2:TGID_Y_EN: 0
; COMPUTE_PGM_RSRC2:TGID_Z_EN: 0
; COMPUTE_PGM_RSRC2:TIDIG_COMP_CNT: 2
	.section	.text._Z16sort_keys_kernelI22helper_blocked_stripedaLj192ELj1ELj10EEvPKT0_PS1_,"axG",@progbits,_Z16sort_keys_kernelI22helper_blocked_stripedaLj192ELj1ELj10EEvPKT0_PS1_,comdat
	.protected	_Z16sort_keys_kernelI22helper_blocked_stripedaLj192ELj1ELj10EEvPKT0_PS1_ ; -- Begin function _Z16sort_keys_kernelI22helper_blocked_stripedaLj192ELj1ELj10EEvPKT0_PS1_
	.globl	_Z16sort_keys_kernelI22helper_blocked_stripedaLj192ELj1ELj10EEvPKT0_PS1_
	.p2align	8
	.type	_Z16sort_keys_kernelI22helper_blocked_stripedaLj192ELj1ELj10EEvPKT0_PS1_,@function
_Z16sort_keys_kernelI22helper_blocked_stripedaLj192ELj1ELj10EEvPKT0_PS1_: ; @_Z16sort_keys_kernelI22helper_blocked_stripedaLj192ELj1ELj10EEvPKT0_PS1_
; %bb.0:
	s_load_dwordx4 s[28:31], s[4:5], 0x0
	s_load_dword s22, s[4:5], 0x1c
	s_mul_i32 s33, s6, 0xc0
	v_mbcnt_lo_u32_b32 v5, -1, 0
	v_mbcnt_hi_u32_b32 v5, -1, v5
	s_waitcnt lgkmcnt(0)
	s_add_u32 s0, s28, s33
	s_addc_u32 s1, s29, 0
	global_load_ubyte v4, v0, s[0:1]
	s_lshr_b32 s23, s22, 16
	s_and_b32 s22, s22, 0xffff
	v_mad_u32_u24 v1, v2, s23, v1
	v_mad_u64_u32 v[1:2], s[22:23], v1, s22, v[0:1]
	v_and_b32_e32 v7, 0xc0, v0
	v_subrev_co_u32_e64 v13, s[6:7], 1, v5
	v_and_b32_e32 v14, 64, v5
	v_lshrrev_b32_e32 v8, 4, v0
	v_and_b32_e32 v10, 15, v5
	v_min_u32_e32 v12, 0x80, v7
	v_cmp_lt_i32_e64 s[18:19], v13, v14
	v_mul_u32_u24_e32 v9, 3, v0
	v_and_b32_e32 v11, 16, v5
	v_cmp_lt_u32_e64 s[4:5], 31, v5
	v_and_b32_e32 v7, 12, v8
	v_and_b32_e32 v15, 3, v5
	v_cmp_eq_u32_e64 s[8:9], 0, v10
	v_cmp_lt_u32_e64 s[10:11], 1, v10
	v_cmp_lt_u32_e64 s[12:13], 3, v10
	v_cmp_lt_u32_e64 s[14:15], 7, v10
	v_or_b32_e32 v10, 63, v12
	v_cndmask_b32_e64 v5, v13, v5, s[18:19]
	v_lshrrev_b32_e32 v1, 4, v1
	v_mov_b32_e32 v3, 0
	s_mov_b32 s28, 10
	v_lshlrev_b32_e32 v6, 4, v0
	v_cmp_gt_u32_e32 vcc, 3, v0
	v_cmp_lt_u32_e64 s[0:1], 63, v0
	v_cmp_eq_u32_e64 s[2:3], 0, v0
	v_add_u32_e32 v8, v0, v9
	v_cmp_eq_u32_e64 s[16:17], 0, v11
	v_cmp_eq_u32_e64 s[18:19], 0, v15
	v_cmp_lt_u32_e64 s[20:21], 1, v15
	v_add_u32_e32 v9, -4, v7
	v_cmp_eq_u32_e64 s[22:23], v0, v10
	v_lshlrev_b32_e32 v10, 2, v5
	v_and_b32_e32 v11, 0xffffffc, v1
	v_mov_b32_e32 v12, 12
	s_waitcnt vmcnt(0)
	v_xor_b32_e32 v13, 0xffffff80, v4
	s_branch .LBB256_2
.LBB256_1:                              ;   in Loop: Header=BB256_2 Depth=1
	s_or_b64 exec, exec, s[24:25]
	s_waitcnt lgkmcnt(0)
	v_add_u32_e32 v2, v16, v2
	ds_bpermute_b32 v2, v10, v2
	s_add_i32 s28, s28, -1
	s_cmp_eq_u32 s28, 0
	s_waitcnt lgkmcnt(0)
	v_cndmask_b32_e64 v2, v2, v16, s[6:7]
	v_cndmask_b32_e64 v2, v2, 0, s[2:3]
	v_add_u32_e32 v4, v2, v4
	v_add_u32_e32 v5, v4, v5
	v_add_u32_e32 v1, v5, v1
	ds_write2_b32 v6, v2, v4 offset0:3 offset1:4
	ds_write2_b32 v6, v5, v1 offset0:5 offset1:6
	s_waitcnt lgkmcnt(0)
	s_barrier
	ds_read_b32 v1, v15 offset:12
	s_waitcnt lgkmcnt(0)
	s_barrier
	v_add_u32_e32 v1, v1, v14
	ds_write_b8 v1, v13
	s_waitcnt lgkmcnt(0)
	s_barrier
	ds_read_u8 v13, v0
	s_cbranch_scc1 .LBB256_10
.LBB256_2:                              ; =>This Inner Loop Header: Depth=1
	s_waitcnt lgkmcnt(0)
	v_and_b32_e32 v1, 1, v13
	v_add_co_u32_e64 v2, s[24:25], -1, v1
	v_addc_co_u32_e64 v4, s[24:25], 0, -1, s[24:25]
	v_cmp_ne_u32_e64 s[24:25], 0, v1
	v_xor_b32_e32 v1, s25, v4
	v_lshlrev_b32_e32 v4, 30, v13
	v_xor_b32_e32 v2, s24, v2
	v_cmp_gt_i64_e64 s[24:25], 0, v[3:4]
	v_not_b32_e32 v4, v4
	v_ashrrev_i32_e32 v4, 31, v4
	v_and_b32_e32 v2, exec_lo, v2
	v_xor_b32_e32 v14, s25, v4
	v_xor_b32_e32 v4, s24, v4
	v_and_b32_e32 v2, v2, v4
	v_lshlrev_b32_e32 v4, 29, v13
	v_cmp_gt_i64_e64 s[24:25], 0, v[3:4]
	v_not_b32_e32 v4, v4
	v_and_b32_e32 v1, exec_hi, v1
	v_ashrrev_i32_e32 v4, 31, v4
	v_and_b32_e32 v1, v1, v14
	v_xor_b32_e32 v14, s25, v4
	v_xor_b32_e32 v4, s24, v4
	v_and_b32_e32 v2, v2, v4
	v_lshlrev_b32_e32 v4, 28, v13
	v_cmp_gt_i64_e64 s[24:25], 0, v[3:4]
	v_not_b32_e32 v4, v4
	v_ashrrev_i32_e32 v4, 31, v4
	v_and_b32_e32 v1, v1, v14
	v_xor_b32_e32 v14, s25, v4
	v_xor_b32_e32 v4, s24, v4
	v_and_b32_e32 v2, v2, v4
	v_lshlrev_b32_e32 v4, 27, v13
	v_cmp_gt_i64_e64 s[24:25], 0, v[3:4]
	v_not_b32_e32 v4, v4
	;; [unrolled: 8-line block ×4, first 2 shown]
	v_ashrrev_i32_e32 v4, 31, v4
	v_and_b32_e32 v1, v1, v14
	v_xor_b32_e32 v14, s25, v4
	v_xor_b32_e32 v4, s24, v4
	v_and_b32_e32 v1, v1, v14
	v_and_b32_e32 v14, v2, v4
	v_lshlrev_b32_e32 v4, 24, v13
	v_cmp_gt_i64_e64 s[24:25], 0, v[3:4]
	v_not_b32_e32 v2, v4
	v_ashrrev_i32_e32 v2, 31, v2
	v_xor_b32_e32 v4, s25, v2
	v_xor_b32_e32 v15, s24, v2
	v_and_b32_e32 v2, v1, v4
	v_and_b32_e32 v1, v14, v15
	v_mbcnt_lo_u32_b32 v4, v1, 0
	v_mbcnt_hi_u32_b32 v14, v2, v4
	v_cmp_ne_u64_e64 s[24:25], 0, v[1:2]
	v_mul_u32_u24_sdwa v5, v13, v12 dst_sel:DWORD dst_unused:UNUSED_PAD src0_sel:BYTE_0 src1_sel:DWORD
	v_cmp_eq_u32_e64 s[26:27], 0, v14
	s_and_b64 s[26:27], s[24:25], s[26:27]
	v_add_u32_e32 v15, v11, v5
	ds_write2_b32 v6, v3, v3 offset0:3 offset1:4
	ds_write2_b32 v6, v3, v3 offset0:5 offset1:6
	s_waitcnt lgkmcnt(0)
	s_barrier
	; wave barrier
	s_and_saveexec_b64 s[24:25], s[26:27]
; %bb.3:                                ;   in Loop: Header=BB256_2 Depth=1
	v_bcnt_u32_b32 v1, v1, 0
	v_bcnt_u32_b32 v1, v2, v1
	ds_write_b32 v15, v1 offset:12
; %bb.4:                                ;   in Loop: Header=BB256_2 Depth=1
	s_or_b64 exec, exec, s[24:25]
	; wave barrier
	s_waitcnt lgkmcnt(0)
	s_barrier
	ds_read2_b32 v[4:5], v6 offset0:3 offset1:4
	ds_read2_b32 v[1:2], v6 offset0:5 offset1:6
	s_waitcnt lgkmcnt(1)
	v_add_u32_e32 v16, v5, v4
	s_waitcnt lgkmcnt(0)
	v_add3_u32 v2, v16, v1, v2
	s_nop 1
	v_mov_b32_dpp v16, v2 row_shr:1 row_mask:0xf bank_mask:0xf
	v_cndmask_b32_e64 v16, v16, 0, s[8:9]
	v_add_u32_e32 v2, v16, v2
	s_nop 1
	v_mov_b32_dpp v16, v2 row_shr:2 row_mask:0xf bank_mask:0xf
	v_cndmask_b32_e64 v16, 0, v16, s[10:11]
	v_add_u32_e32 v2, v2, v16
	;; [unrolled: 4-line block ×4, first 2 shown]
	s_nop 1
	v_mov_b32_dpp v16, v2 row_bcast:15 row_mask:0xf bank_mask:0xf
	v_cndmask_b32_e64 v16, v16, 0, s[16:17]
	v_add_u32_e32 v2, v2, v16
	s_nop 1
	v_mov_b32_dpp v16, v2 row_bcast:31 row_mask:0xf bank_mask:0xf
	v_cndmask_b32_e64 v16, 0, v16, s[4:5]
	v_add_u32_e32 v2, v2, v16
	s_and_saveexec_b64 s[24:25], s[22:23]
; %bb.5:                                ;   in Loop: Header=BB256_2 Depth=1
	ds_write_b32 v7, v2
; %bb.6:                                ;   in Loop: Header=BB256_2 Depth=1
	s_or_b64 exec, exec, s[24:25]
	s_waitcnt lgkmcnt(0)
	s_barrier
	s_and_saveexec_b64 s[24:25], vcc
	s_cbranch_execz .LBB256_8
; %bb.7:                                ;   in Loop: Header=BB256_2 Depth=1
	ds_read_b32 v16, v8
	s_waitcnt lgkmcnt(0)
	s_nop 0
	v_mov_b32_dpp v17, v16 row_shr:1 row_mask:0xf bank_mask:0xf
	v_cndmask_b32_e64 v17, v17, 0, s[18:19]
	v_add_u32_e32 v16, v17, v16
	s_nop 1
	v_mov_b32_dpp v17, v16 row_shr:2 row_mask:0xf bank_mask:0xf
	v_cndmask_b32_e64 v17, 0, v17, s[20:21]
	v_add_u32_e32 v16, v16, v17
	ds_write_b32 v8, v16
.LBB256_8:                              ;   in Loop: Header=BB256_2 Depth=1
	s_or_b64 exec, exec, s[24:25]
	v_mov_b32_e32 v16, 0
	s_waitcnt lgkmcnt(0)
	s_barrier
	s_and_saveexec_b64 s[24:25], s[0:1]
	s_cbranch_execz .LBB256_1
; %bb.9:                                ;   in Loop: Header=BB256_2 Depth=1
	ds_read_b32 v16, v9
	s_branch .LBB256_1
.LBB256_10:
	s_add_u32 s0, s30, s33
	s_addc_u32 s1, s31, 0
	v_mov_b32_e32 v1, s1
	v_add_co_u32_e32 v0, vcc, s0, v0
	s_waitcnt lgkmcnt(0)
	v_xor_b32_e32 v2, 0x80, v13
	v_addc_co_u32_e32 v1, vcc, 0, v1, vcc
	global_store_byte v[0:1], v2, off
	s_endpgm
	.section	.rodata,"a",@progbits
	.p2align	6, 0x0
	.amdhsa_kernel _Z16sort_keys_kernelI22helper_blocked_stripedaLj192ELj1ELj10EEvPKT0_PS1_
		.amdhsa_group_segment_fixed_size 3088
		.amdhsa_private_segment_fixed_size 0
		.amdhsa_kernarg_size 272
		.amdhsa_user_sgpr_count 6
		.amdhsa_user_sgpr_private_segment_buffer 1
		.amdhsa_user_sgpr_dispatch_ptr 0
		.amdhsa_user_sgpr_queue_ptr 0
		.amdhsa_user_sgpr_kernarg_segment_ptr 1
		.amdhsa_user_sgpr_dispatch_id 0
		.amdhsa_user_sgpr_flat_scratch_init 0
		.amdhsa_user_sgpr_private_segment_size 0
		.amdhsa_uses_dynamic_stack 0
		.amdhsa_system_sgpr_private_segment_wavefront_offset 0
		.amdhsa_system_sgpr_workgroup_id_x 1
		.amdhsa_system_sgpr_workgroup_id_y 0
		.amdhsa_system_sgpr_workgroup_id_z 0
		.amdhsa_system_sgpr_workgroup_info 0
		.amdhsa_system_vgpr_workitem_id 2
		.amdhsa_next_free_vgpr 18
		.amdhsa_next_free_sgpr 34
		.amdhsa_reserve_vcc 1
		.amdhsa_reserve_flat_scratch 0
		.amdhsa_float_round_mode_32 0
		.amdhsa_float_round_mode_16_64 0
		.amdhsa_float_denorm_mode_32 3
		.amdhsa_float_denorm_mode_16_64 3
		.amdhsa_dx10_clamp 1
		.amdhsa_ieee_mode 1
		.amdhsa_fp16_overflow 0
		.amdhsa_exception_fp_ieee_invalid_op 0
		.amdhsa_exception_fp_denorm_src 0
		.amdhsa_exception_fp_ieee_div_zero 0
		.amdhsa_exception_fp_ieee_overflow 0
		.amdhsa_exception_fp_ieee_underflow 0
		.amdhsa_exception_fp_ieee_inexact 0
		.amdhsa_exception_int_div_zero 0
	.end_amdhsa_kernel
	.section	.text._Z16sort_keys_kernelI22helper_blocked_stripedaLj192ELj1ELj10EEvPKT0_PS1_,"axG",@progbits,_Z16sort_keys_kernelI22helper_blocked_stripedaLj192ELj1ELj10EEvPKT0_PS1_,comdat
.Lfunc_end256:
	.size	_Z16sort_keys_kernelI22helper_blocked_stripedaLj192ELj1ELj10EEvPKT0_PS1_, .Lfunc_end256-_Z16sort_keys_kernelI22helper_blocked_stripedaLj192ELj1ELj10EEvPKT0_PS1_
                                        ; -- End function
	.set _Z16sort_keys_kernelI22helper_blocked_stripedaLj192ELj1ELj10EEvPKT0_PS1_.num_vgpr, 18
	.set _Z16sort_keys_kernelI22helper_blocked_stripedaLj192ELj1ELj10EEvPKT0_PS1_.num_agpr, 0
	.set _Z16sort_keys_kernelI22helper_blocked_stripedaLj192ELj1ELj10EEvPKT0_PS1_.numbered_sgpr, 34
	.set _Z16sort_keys_kernelI22helper_blocked_stripedaLj192ELj1ELj10EEvPKT0_PS1_.num_named_barrier, 0
	.set _Z16sort_keys_kernelI22helper_blocked_stripedaLj192ELj1ELj10EEvPKT0_PS1_.private_seg_size, 0
	.set _Z16sort_keys_kernelI22helper_blocked_stripedaLj192ELj1ELj10EEvPKT0_PS1_.uses_vcc, 1
	.set _Z16sort_keys_kernelI22helper_blocked_stripedaLj192ELj1ELj10EEvPKT0_PS1_.uses_flat_scratch, 0
	.set _Z16sort_keys_kernelI22helper_blocked_stripedaLj192ELj1ELj10EEvPKT0_PS1_.has_dyn_sized_stack, 0
	.set _Z16sort_keys_kernelI22helper_blocked_stripedaLj192ELj1ELj10EEvPKT0_PS1_.has_recursion, 0
	.set _Z16sort_keys_kernelI22helper_blocked_stripedaLj192ELj1ELj10EEvPKT0_PS1_.has_indirect_call, 0
	.section	.AMDGPU.csdata,"",@progbits
; Kernel info:
; codeLenInByte = 1212
; TotalNumSgprs: 38
; NumVgprs: 18
; ScratchSize: 0
; MemoryBound: 0
; FloatMode: 240
; IeeeMode: 1
; LDSByteSize: 3088 bytes/workgroup (compile time only)
; SGPRBlocks: 4
; VGPRBlocks: 4
; NumSGPRsForWavesPerEU: 38
; NumVGPRsForWavesPerEU: 18
; Occupancy: 10
; WaveLimiterHint : 0
; COMPUTE_PGM_RSRC2:SCRATCH_EN: 0
; COMPUTE_PGM_RSRC2:USER_SGPR: 6
; COMPUTE_PGM_RSRC2:TRAP_HANDLER: 0
; COMPUTE_PGM_RSRC2:TGID_X_EN: 1
; COMPUTE_PGM_RSRC2:TGID_Y_EN: 0
; COMPUTE_PGM_RSRC2:TGID_Z_EN: 0
; COMPUTE_PGM_RSRC2:TIDIG_COMP_CNT: 2
	.section	.text._Z17sort_pairs_kernelI22helper_blocked_stripedaLj192ELj1ELj10EEvPKT0_PS1_,"axG",@progbits,_Z17sort_pairs_kernelI22helper_blocked_stripedaLj192ELj1ELj10EEvPKT0_PS1_,comdat
	.protected	_Z17sort_pairs_kernelI22helper_blocked_stripedaLj192ELj1ELj10EEvPKT0_PS1_ ; -- Begin function _Z17sort_pairs_kernelI22helper_blocked_stripedaLj192ELj1ELj10EEvPKT0_PS1_
	.globl	_Z17sort_pairs_kernelI22helper_blocked_stripedaLj192ELj1ELj10EEvPKT0_PS1_
	.p2align	8
	.type	_Z17sort_pairs_kernelI22helper_blocked_stripedaLj192ELj1ELj10EEvPKT0_PS1_,@function
_Z17sort_pairs_kernelI22helper_blocked_stripedaLj192ELj1ELj10EEvPKT0_PS1_: ; @_Z17sort_pairs_kernelI22helper_blocked_stripedaLj192ELj1ELj10EEvPKT0_PS1_
; %bb.0:
	s_load_dwordx4 s[28:31], s[4:5], 0x0
	s_load_dword s22, s[4:5], 0x1c
	s_mul_i32 s33, s6, 0xc0
	v_mbcnt_lo_u32_b32 v5, -1, 0
	v_mbcnt_hi_u32_b32 v5, -1, v5
	s_waitcnt lgkmcnt(0)
	s_add_u32 s0, s28, s33
	s_addc_u32 s1, s29, 0
	global_load_ubyte v4, v0, s[0:1]
	s_lshr_b32 s23, s22, 16
	s_and_b32 s22, s22, 0xffff
	v_mad_u32_u24 v1, v2, s23, v1
	v_mad_u64_u32 v[1:2], s[22:23], v1, s22, v[0:1]
	v_and_b32_e32 v7, 0xc0, v0
	v_subrev_co_u32_e64 v13, s[6:7], 1, v5
	v_and_b32_e32 v14, 64, v5
	v_lshrrev_b32_e32 v8, 4, v0
	v_and_b32_e32 v10, 15, v5
	v_min_u32_e32 v12, 0x80, v7
	v_cmp_lt_i32_e64 s[18:19], v13, v14
	v_mul_u32_u24_e32 v9, 3, v0
	v_and_b32_e32 v11, 16, v5
	v_cmp_lt_u32_e64 s[4:5], 31, v5
	v_and_b32_e32 v7, 12, v8
	v_and_b32_e32 v15, 3, v5
	v_cmp_eq_u32_e64 s[8:9], 0, v10
	v_cmp_lt_u32_e64 s[10:11], 1, v10
	v_cmp_lt_u32_e64 s[12:13], 3, v10
	;; [unrolled: 1-line block ×3, first 2 shown]
	v_or_b32_e32 v10, 63, v12
	v_cndmask_b32_e64 v5, v13, v5, s[18:19]
	v_lshrrev_b32_e32 v1, 4, v1
	v_mov_b32_e32 v3, 0
	s_mov_b32 s28, 10
	v_lshlrev_b32_e32 v6, 4, v0
	v_cmp_gt_u32_e32 vcc, 3, v0
	v_cmp_lt_u32_e64 s[0:1], 63, v0
	v_cmp_eq_u32_e64 s[2:3], 0, v0
	v_add_u32_e32 v8, v0, v9
	v_cmp_eq_u32_e64 s[16:17], 0, v11
	v_cmp_eq_u32_e64 s[18:19], 0, v15
	v_cmp_lt_u32_e64 s[20:21], 1, v15
	v_add_u32_e32 v9, -4, v7
	v_cmp_eq_u32_e64 s[22:23], v0, v10
	v_lshlrev_b32_e32 v10, 2, v5
	v_and_b32_e32 v11, 0xffffffc, v1
	v_mov_b32_e32 v12, 12
	s_waitcnt vmcnt(0)
	v_add_u16_e32 v13, 1, v4
	v_xor_b32_e32 v14, 0xffffff80, v4
	s_branch .LBB257_2
.LBB257_1:                              ;   in Loop: Header=BB257_2 Depth=1
	s_or_b64 exec, exec, s[24:25]
	s_waitcnt lgkmcnt(0)
	v_add_u32_e32 v2, v17, v2
	ds_bpermute_b32 v2, v10, v2
	s_add_i32 s28, s28, -1
	s_cmp_eq_u32 s28, 0
	s_waitcnt lgkmcnt(0)
	v_cndmask_b32_e64 v2, v2, v17, s[6:7]
	v_cndmask_b32_e64 v2, v2, 0, s[2:3]
	v_add_u32_e32 v4, v2, v4
	v_add_u32_e32 v5, v4, v5
	v_add_u32_e32 v1, v5, v1
	ds_write2_b32 v6, v2, v4 offset0:3 offset1:4
	ds_write2_b32 v6, v5, v1 offset0:5 offset1:6
	s_waitcnt lgkmcnt(0)
	s_barrier
	ds_read_b32 v1, v16 offset:12
	s_waitcnt lgkmcnt(0)
	s_barrier
	v_add_u32_e32 v1, v1, v15
	ds_write_b8 v1, v14
	s_waitcnt lgkmcnt(0)
	s_barrier
	ds_read_u8 v14, v0
	s_waitcnt lgkmcnt(0)
	s_barrier
	ds_write_b8 v1, v13
	s_waitcnt lgkmcnt(0)
	s_barrier
	ds_read_u8 v13, v0
	s_cbranch_scc1 .LBB257_10
.LBB257_2:                              ; =>This Inner Loop Header: Depth=1
	v_and_b32_e32 v1, 1, v14
	v_add_co_u32_e64 v2, s[24:25], -1, v1
	v_addc_co_u32_e64 v4, s[24:25], 0, -1, s[24:25]
	v_cmp_ne_u32_e64 s[24:25], 0, v1
	v_xor_b32_e32 v1, s25, v4
	v_lshlrev_b32_e32 v4, 30, v14
	v_xor_b32_e32 v2, s24, v2
	v_cmp_gt_i64_e64 s[24:25], 0, v[3:4]
	v_not_b32_e32 v4, v4
	v_ashrrev_i32_e32 v4, 31, v4
	v_and_b32_e32 v2, exec_lo, v2
	v_xor_b32_e32 v15, s25, v4
	v_xor_b32_e32 v4, s24, v4
	v_and_b32_e32 v2, v2, v4
	v_lshlrev_b32_e32 v4, 29, v14
	v_cmp_gt_i64_e64 s[24:25], 0, v[3:4]
	v_not_b32_e32 v4, v4
	v_and_b32_e32 v1, exec_hi, v1
	v_ashrrev_i32_e32 v4, 31, v4
	v_and_b32_e32 v1, v1, v15
	v_xor_b32_e32 v15, s25, v4
	v_xor_b32_e32 v4, s24, v4
	v_and_b32_e32 v2, v2, v4
	v_lshlrev_b32_e32 v4, 28, v14
	v_cmp_gt_i64_e64 s[24:25], 0, v[3:4]
	v_not_b32_e32 v4, v4
	v_ashrrev_i32_e32 v4, 31, v4
	v_and_b32_e32 v1, v1, v15
	v_xor_b32_e32 v15, s25, v4
	v_xor_b32_e32 v4, s24, v4
	v_and_b32_e32 v2, v2, v4
	v_lshlrev_b32_e32 v4, 27, v14
	v_cmp_gt_i64_e64 s[24:25], 0, v[3:4]
	v_not_b32_e32 v4, v4
	;; [unrolled: 8-line block ×4, first 2 shown]
	v_ashrrev_i32_e32 v4, 31, v4
	v_and_b32_e32 v1, v1, v15
	v_xor_b32_e32 v15, s25, v4
	v_xor_b32_e32 v4, s24, v4
	v_and_b32_e32 v1, v1, v15
	v_and_b32_e32 v15, v2, v4
	v_lshlrev_b32_e32 v4, 24, v14
	v_cmp_gt_i64_e64 s[24:25], 0, v[3:4]
	v_not_b32_e32 v2, v4
	v_ashrrev_i32_e32 v2, 31, v2
	v_xor_b32_e32 v4, s25, v2
	v_xor_b32_e32 v16, s24, v2
	v_and_b32_e32 v2, v1, v4
	v_and_b32_e32 v1, v15, v16
	v_mbcnt_lo_u32_b32 v4, v1, 0
	v_mbcnt_hi_u32_b32 v15, v2, v4
	v_cmp_ne_u64_e64 s[24:25], 0, v[1:2]
	v_mul_u32_u24_sdwa v5, v14, v12 dst_sel:DWORD dst_unused:UNUSED_PAD src0_sel:BYTE_0 src1_sel:DWORD
	v_cmp_eq_u32_e64 s[26:27], 0, v15
	s_and_b64 s[26:27], s[24:25], s[26:27]
	v_add_u32_e32 v16, v11, v5
	ds_write2_b32 v6, v3, v3 offset0:3 offset1:4
	ds_write2_b32 v6, v3, v3 offset0:5 offset1:6
	s_waitcnt lgkmcnt(0)
	s_barrier
	; wave barrier
	s_and_saveexec_b64 s[24:25], s[26:27]
; %bb.3:                                ;   in Loop: Header=BB257_2 Depth=1
	v_bcnt_u32_b32 v1, v1, 0
	v_bcnt_u32_b32 v1, v2, v1
	ds_write_b32 v16, v1 offset:12
; %bb.4:                                ;   in Loop: Header=BB257_2 Depth=1
	s_or_b64 exec, exec, s[24:25]
	; wave barrier
	s_waitcnt lgkmcnt(0)
	s_barrier
	ds_read2_b32 v[4:5], v6 offset0:3 offset1:4
	ds_read2_b32 v[1:2], v6 offset0:5 offset1:6
	s_waitcnt lgkmcnt(1)
	v_add_u32_e32 v17, v5, v4
	s_waitcnt lgkmcnt(0)
	v_add3_u32 v2, v17, v1, v2
	s_nop 1
	v_mov_b32_dpp v17, v2 row_shr:1 row_mask:0xf bank_mask:0xf
	v_cndmask_b32_e64 v17, v17, 0, s[8:9]
	v_add_u32_e32 v2, v17, v2
	s_nop 1
	v_mov_b32_dpp v17, v2 row_shr:2 row_mask:0xf bank_mask:0xf
	v_cndmask_b32_e64 v17, 0, v17, s[10:11]
	v_add_u32_e32 v2, v2, v17
	;; [unrolled: 4-line block ×4, first 2 shown]
	s_nop 1
	v_mov_b32_dpp v17, v2 row_bcast:15 row_mask:0xf bank_mask:0xf
	v_cndmask_b32_e64 v17, v17, 0, s[16:17]
	v_add_u32_e32 v2, v2, v17
	s_nop 1
	v_mov_b32_dpp v17, v2 row_bcast:31 row_mask:0xf bank_mask:0xf
	v_cndmask_b32_e64 v17, 0, v17, s[4:5]
	v_add_u32_e32 v2, v2, v17
	s_and_saveexec_b64 s[24:25], s[22:23]
; %bb.5:                                ;   in Loop: Header=BB257_2 Depth=1
	ds_write_b32 v7, v2
; %bb.6:                                ;   in Loop: Header=BB257_2 Depth=1
	s_or_b64 exec, exec, s[24:25]
	s_waitcnt lgkmcnt(0)
	s_barrier
	s_and_saveexec_b64 s[24:25], vcc
	s_cbranch_execz .LBB257_8
; %bb.7:                                ;   in Loop: Header=BB257_2 Depth=1
	ds_read_b32 v17, v8
	s_waitcnt lgkmcnt(0)
	s_nop 0
	v_mov_b32_dpp v18, v17 row_shr:1 row_mask:0xf bank_mask:0xf
	v_cndmask_b32_e64 v18, v18, 0, s[18:19]
	v_add_u32_e32 v17, v18, v17
	s_nop 1
	v_mov_b32_dpp v18, v17 row_shr:2 row_mask:0xf bank_mask:0xf
	v_cndmask_b32_e64 v18, 0, v18, s[20:21]
	v_add_u32_e32 v17, v17, v18
	ds_write_b32 v8, v17
.LBB257_8:                              ;   in Loop: Header=BB257_2 Depth=1
	s_or_b64 exec, exec, s[24:25]
	v_mov_b32_e32 v17, 0
	s_waitcnt lgkmcnt(0)
	s_barrier
	s_and_saveexec_b64 s[24:25], s[0:1]
	s_cbranch_execz .LBB257_1
; %bb.9:                                ;   in Loop: Header=BB257_2 Depth=1
	ds_read_b32 v17, v9
	s_branch .LBB257_1
.LBB257_10:
	s_add_u32 s0, s30, s33
	s_waitcnt lgkmcnt(0)
	v_add_u16_e32 v1, v13, v14
	s_addc_u32 s1, s31, 0
	v_add_u16_e32 v2, 0xff80, v1
	v_mov_b32_e32 v1, s1
	v_add_co_u32_e32 v0, vcc, s0, v0
	v_addc_co_u32_e32 v1, vcc, 0, v1, vcc
	global_store_byte v[0:1], v2, off
	s_endpgm
	.section	.rodata,"a",@progbits
	.p2align	6, 0x0
	.amdhsa_kernel _Z17sort_pairs_kernelI22helper_blocked_stripedaLj192ELj1ELj10EEvPKT0_PS1_
		.amdhsa_group_segment_fixed_size 3088
		.amdhsa_private_segment_fixed_size 0
		.amdhsa_kernarg_size 272
		.amdhsa_user_sgpr_count 6
		.amdhsa_user_sgpr_private_segment_buffer 1
		.amdhsa_user_sgpr_dispatch_ptr 0
		.amdhsa_user_sgpr_queue_ptr 0
		.amdhsa_user_sgpr_kernarg_segment_ptr 1
		.amdhsa_user_sgpr_dispatch_id 0
		.amdhsa_user_sgpr_flat_scratch_init 0
		.amdhsa_user_sgpr_private_segment_size 0
		.amdhsa_uses_dynamic_stack 0
		.amdhsa_system_sgpr_private_segment_wavefront_offset 0
		.amdhsa_system_sgpr_workgroup_id_x 1
		.amdhsa_system_sgpr_workgroup_id_y 0
		.amdhsa_system_sgpr_workgroup_id_z 0
		.amdhsa_system_sgpr_workgroup_info 0
		.amdhsa_system_vgpr_workitem_id 2
		.amdhsa_next_free_vgpr 19
		.amdhsa_next_free_sgpr 34
		.amdhsa_reserve_vcc 1
		.amdhsa_reserve_flat_scratch 0
		.amdhsa_float_round_mode_32 0
		.amdhsa_float_round_mode_16_64 0
		.amdhsa_float_denorm_mode_32 3
		.amdhsa_float_denorm_mode_16_64 3
		.amdhsa_dx10_clamp 1
		.amdhsa_ieee_mode 1
		.amdhsa_fp16_overflow 0
		.amdhsa_exception_fp_ieee_invalid_op 0
		.amdhsa_exception_fp_denorm_src 0
		.amdhsa_exception_fp_ieee_div_zero 0
		.amdhsa_exception_fp_ieee_overflow 0
		.amdhsa_exception_fp_ieee_underflow 0
		.amdhsa_exception_fp_ieee_inexact 0
		.amdhsa_exception_int_div_zero 0
	.end_amdhsa_kernel
	.section	.text._Z17sort_pairs_kernelI22helper_blocked_stripedaLj192ELj1ELj10EEvPKT0_PS1_,"axG",@progbits,_Z17sort_pairs_kernelI22helper_blocked_stripedaLj192ELj1ELj10EEvPKT0_PS1_,comdat
.Lfunc_end257:
	.size	_Z17sort_pairs_kernelI22helper_blocked_stripedaLj192ELj1ELj10EEvPKT0_PS1_, .Lfunc_end257-_Z17sort_pairs_kernelI22helper_blocked_stripedaLj192ELj1ELj10EEvPKT0_PS1_
                                        ; -- End function
	.set _Z17sort_pairs_kernelI22helper_blocked_stripedaLj192ELj1ELj10EEvPKT0_PS1_.num_vgpr, 19
	.set _Z17sort_pairs_kernelI22helper_blocked_stripedaLj192ELj1ELj10EEvPKT0_PS1_.num_agpr, 0
	.set _Z17sort_pairs_kernelI22helper_blocked_stripedaLj192ELj1ELj10EEvPKT0_PS1_.numbered_sgpr, 34
	.set _Z17sort_pairs_kernelI22helper_blocked_stripedaLj192ELj1ELj10EEvPKT0_PS1_.num_named_barrier, 0
	.set _Z17sort_pairs_kernelI22helper_blocked_stripedaLj192ELj1ELj10EEvPKT0_PS1_.private_seg_size, 0
	.set _Z17sort_pairs_kernelI22helper_blocked_stripedaLj192ELj1ELj10EEvPKT0_PS1_.uses_vcc, 1
	.set _Z17sort_pairs_kernelI22helper_blocked_stripedaLj192ELj1ELj10EEvPKT0_PS1_.uses_flat_scratch, 0
	.set _Z17sort_pairs_kernelI22helper_blocked_stripedaLj192ELj1ELj10EEvPKT0_PS1_.has_dyn_sized_stack, 0
	.set _Z17sort_pairs_kernelI22helper_blocked_stripedaLj192ELj1ELj10EEvPKT0_PS1_.has_recursion, 0
	.set _Z17sort_pairs_kernelI22helper_blocked_stripedaLj192ELj1ELj10EEvPKT0_PS1_.has_indirect_call, 0
	.section	.AMDGPU.csdata,"",@progbits
; Kernel info:
; codeLenInByte = 1248
; TotalNumSgprs: 38
; NumVgprs: 19
; ScratchSize: 0
; MemoryBound: 0
; FloatMode: 240
; IeeeMode: 1
; LDSByteSize: 3088 bytes/workgroup (compile time only)
; SGPRBlocks: 4
; VGPRBlocks: 4
; NumSGPRsForWavesPerEU: 38
; NumVGPRsForWavesPerEU: 19
; Occupancy: 10
; WaveLimiterHint : 0
; COMPUTE_PGM_RSRC2:SCRATCH_EN: 0
; COMPUTE_PGM_RSRC2:USER_SGPR: 6
; COMPUTE_PGM_RSRC2:TRAP_HANDLER: 0
; COMPUTE_PGM_RSRC2:TGID_X_EN: 1
; COMPUTE_PGM_RSRC2:TGID_Y_EN: 0
; COMPUTE_PGM_RSRC2:TGID_Z_EN: 0
; COMPUTE_PGM_RSRC2:TIDIG_COMP_CNT: 2
	.section	.text._Z16sort_keys_kernelI22helper_blocked_stripedaLj192ELj3ELj10EEvPKT0_PS1_,"axG",@progbits,_Z16sort_keys_kernelI22helper_blocked_stripedaLj192ELj3ELj10EEvPKT0_PS1_,comdat
	.protected	_Z16sort_keys_kernelI22helper_blocked_stripedaLj192ELj3ELj10EEvPKT0_PS1_ ; -- Begin function _Z16sort_keys_kernelI22helper_blocked_stripedaLj192ELj3ELj10EEvPKT0_PS1_
	.globl	_Z16sort_keys_kernelI22helper_blocked_stripedaLj192ELj3ELj10EEvPKT0_PS1_
	.p2align	8
	.type	_Z16sort_keys_kernelI22helper_blocked_stripedaLj192ELj3ELj10EEvPKT0_PS1_,@function
_Z16sort_keys_kernelI22helper_blocked_stripedaLj192ELj3ELj10EEvPKT0_PS1_: ; @_Z16sort_keys_kernelI22helper_blocked_stripedaLj192ELj3ELj10EEvPKT0_PS1_
; %bb.0:
	s_load_dwordx4 s[28:31], s[4:5], 0x0
	s_load_dword s22, s[4:5], 0x1c
	s_mul_i32 s33, s6, 0x240
	v_mul_u32_u24_e32 v6, 3, v0
	v_mbcnt_lo_u32_b32 v7, -1, 0
	s_waitcnt lgkmcnt(0)
	s_add_u32 s0, s28, s33
	s_addc_u32 s1, s29, 0
	global_load_ushort v4, v6, s[0:1]
	global_load_sbyte v5, v6, s[0:1] offset:2
	s_lshr_b32 s23, s22, 16
	s_and_b32 s22, s22, 0xffff
	v_mad_u32_u24 v1, v2, s23, v1
	v_mad_u64_u32 v[1:2], s[22:23], v1, s22, v[0:1]
	v_mbcnt_hi_u32_b32 v10, -1, v7
	v_and_b32_e32 v9, 0xc0, v0
	v_subrev_co_u32_e64 v15, s[6:7], 1, v10
	v_and_b32_e32 v16, 64, v10
	v_lshrrev_b32_e32 v8, 6, v0
	v_and_b32_e32 v13, 15, v10
	v_and_b32_e32 v14, 16, v10
	v_min_u32_e32 v9, 0x80, v9
	v_cmp_lt_i32_e64 s[18:19], v15, v16
	v_mul_u32_u24_e32 v11, 0xc0, v8
	v_mul_u32_u24_e32 v12, 3, v10
	v_and_b32_e32 v17, 3, v10
	v_cmp_eq_u32_e64 s[8:9], 0, v13
	v_cmp_lt_u32_e64 s[10:11], 1, v13
	v_cmp_lt_u32_e64 s[12:13], 3, v13
	v_cmp_lt_u32_e64 s[14:15], 7, v13
	v_cmp_eq_u32_e64 s[16:17], 0, v14
	v_or_b32_e32 v13, 63, v9
	v_cndmask_b32_e64 v14, v15, v10, s[18:19]
	v_lshrrev_b32_e32 v1, 4, v1
	s_mov_b32 s28, 10
	v_mov_b32_e32 v3, 0
	v_lshlrev_b32_e32 v7, 4, v0
	v_cmp_gt_u32_e32 vcc, 3, v0
	v_cmp_lt_u32_e64 s[0:1], 63, v0
	v_cmp_eq_u32_e64 s[2:3], 0, v0
	v_cmp_lt_u32_e64 s[4:5], 31, v10
	v_lshlrev_b32_e32 v8, 2, v8
	v_cmp_eq_u32_e64 s[18:19], 0, v17
	v_cmp_lt_u32_e64 s[20:21], 1, v17
	v_add_u32_e32 v9, v12, v11
	v_add_u32_e32 v10, v10, v11
	v_cmp_eq_u32_e64 s[22:23], v0, v13
	v_lshlrev_b32_e32 v11, 2, v14
	v_and_b32_e32 v12, 0xffffffc, v1
	s_waitcnt vmcnt(1)
	v_lshrrev_b32_e32 v1, 8, v4
	s_branch .LBB258_2
.LBB258_1:                              ;   in Loop: Header=BB258_2 Depth=1
	s_or_b64 exec, exec, s[24:25]
	s_waitcnt lgkmcnt(0)
	v_add_u32_e32 v2, v24, v2
	ds_bpermute_b32 v2, v11, v2
	s_add_i32 s28, s28, -1
	s_cmp_eq_u32 s28, 0
	s_waitcnt lgkmcnt(0)
	v_cndmask_b32_e64 v2, v2, v24, s[6:7]
	v_cndmask_b32_e64 v2, v2, 0, s[2:3]
	v_add_u32_e32 v4, v2, v4
	v_add_u32_e32 v5, v4, v5
	;; [unrolled: 1-line block ×3, first 2 shown]
	ds_write2_b32 v7, v2, v4 offset0:3 offset1:4
	ds_write2_b32 v7, v5, v1 offset0:5 offset1:6
	s_waitcnt lgkmcnt(0)
	s_barrier
	ds_read_b32 v1, v17 offset:12
	ds_read_b32 v2, v20 offset:12
	;; [unrolled: 1-line block ×3, first 2 shown]
	s_waitcnt lgkmcnt(0)
	s_barrier
	v_add_u32_e32 v1, v1, v16
	ds_write_b8 v1, v15
	v_add3_u32 v1, v19, v18, v2
	ds_write_b8 v1, v14
	v_add3_u32 v1, v22, v21, v4
	ds_write_b8 v1, v13
	s_waitcnt lgkmcnt(0)
	s_barrier
	ds_read_u8 v1, v0
	ds_read_u8 v2, v0 offset:192
	ds_read_u8 v5, v0 offset:384
	s_waitcnt lgkmcnt(2)
	v_xor_b32_e32 v4, 0xffffff80, v1
	s_waitcnt lgkmcnt(1)
	v_xor_b32_e32 v1, 0xffffff80, v2
	;; [unrolled: 2-line block ×3, first 2 shown]
	s_cbranch_scc1 .LBB258_14
.LBB258_2:                              ; =>This Inner Loop Header: Depth=1
	v_xor_b32_e32 v2, 0x80, v4
	v_xor_b32_e32 v1, 0x80, v1
	s_waitcnt vmcnt(0)
	v_xor_b32_e32 v4, 0x80, v5
	ds_write_b8 v9, v2
	ds_write_b8 v9, v1 offset:1
	ds_write_b8 v9, v4 offset:2
	; wave barrier
	ds_read_u8 v15, v10
	ds_read_u8 v14, v10 offset:64
	ds_read_u8 v13, v10 offset:128
	v_mov_b32_e32 v1, 12
	s_waitcnt lgkmcnt(2)
	v_mul_u32_u24_sdwa v5, v15, v1 dst_sel:DWORD dst_unused:UNUSED_PAD src0_sel:BYTE_0 src1_sel:DWORD
	v_and_b32_e32 v1, 1, v15
	v_add_co_u32_e64 v2, s[24:25], -1, v1
	v_addc_co_u32_e64 v4, s[24:25], 0, -1, s[24:25]
	v_cmp_ne_u32_e64 s[24:25], 0, v1
	v_xor_b32_e32 v1, s25, v4
	v_lshlrev_b32_e32 v4, 30, v15
	v_xor_b32_e32 v2, s24, v2
	v_cmp_gt_i64_e64 s[24:25], 0, v[3:4]
	v_not_b32_e32 v4, v4
	v_ashrrev_i32_e32 v4, 31, v4
	v_and_b32_e32 v2, exec_lo, v2
	v_xor_b32_e32 v16, s25, v4
	v_xor_b32_e32 v4, s24, v4
	v_and_b32_e32 v2, v2, v4
	v_lshlrev_b32_e32 v4, 29, v15
	v_cmp_gt_i64_e64 s[24:25], 0, v[3:4]
	v_not_b32_e32 v4, v4
	v_and_b32_e32 v1, exec_hi, v1
	v_ashrrev_i32_e32 v4, 31, v4
	v_and_b32_e32 v1, v1, v16
	v_xor_b32_e32 v16, s25, v4
	v_xor_b32_e32 v4, s24, v4
	v_and_b32_e32 v2, v2, v4
	v_lshlrev_b32_e32 v4, 28, v15
	v_cmp_gt_i64_e64 s[24:25], 0, v[3:4]
	v_not_b32_e32 v4, v4
	v_ashrrev_i32_e32 v4, 31, v4
	v_and_b32_e32 v1, v1, v16
	v_xor_b32_e32 v16, s25, v4
	v_xor_b32_e32 v4, s24, v4
	v_and_b32_e32 v2, v2, v4
	v_lshlrev_b32_e32 v4, 27, v15
	v_cmp_gt_i64_e64 s[24:25], 0, v[3:4]
	v_not_b32_e32 v4, v4
	;; [unrolled: 8-line block ×4, first 2 shown]
	v_ashrrev_i32_e32 v4, 31, v4
	v_and_b32_e32 v1, v1, v16
	v_xor_b32_e32 v16, s25, v4
	v_xor_b32_e32 v4, s24, v4
	v_and_b32_e32 v1, v1, v16
	v_and_b32_e32 v16, v2, v4
	v_lshlrev_b32_e32 v4, 24, v15
	v_cmp_gt_i64_e64 s[24:25], 0, v[3:4]
	v_not_b32_e32 v2, v4
	v_ashrrev_i32_e32 v2, 31, v2
	v_xor_b32_e32 v4, s25, v2
	v_xor_b32_e32 v17, s24, v2
	v_and_b32_e32 v2, v1, v4
	v_and_b32_e32 v1, v16, v17
	v_mbcnt_lo_u32_b32 v4, v1, 0
	v_mbcnt_hi_u32_b32 v16, v2, v4
	v_cmp_ne_u64_e64 s[24:25], 0, v[1:2]
	v_cmp_eq_u32_e64 s[26:27], 0, v16
	s_and_b64 s[26:27], s[24:25], s[26:27]
	v_add_u32_e32 v17, v12, v5
	; wave barrier
	; wave barrier
	s_waitcnt lgkmcnt(0)
	s_barrier
	ds_write2_b32 v7, v3, v3 offset0:3 offset1:4
	ds_write2_b32 v7, v3, v3 offset0:5 offset1:6
	s_waitcnt lgkmcnt(0)
	s_barrier
	; wave barrier
	s_and_saveexec_b64 s[24:25], s[26:27]
; %bb.3:                                ;   in Loop: Header=BB258_2 Depth=1
	v_bcnt_u32_b32 v1, v1, 0
	v_bcnt_u32_b32 v1, v2, v1
	ds_write_b32 v17, v1 offset:12
; %bb.4:                                ;   in Loop: Header=BB258_2 Depth=1
	s_or_b64 exec, exec, s[24:25]
	v_and_b32_e32 v1, 0xff, v14
	v_mul_u32_u24_e32 v5, 12, v1
	v_mad_u32_u24 v1, v1, 12, v12
	; wave barrier
	ds_read_b32 v18, v1 offset:12
	v_and_b32_e32 v1, 1, v14
	v_add_co_u32_e64 v2, s[24:25], -1, v1
	v_addc_co_u32_e64 v4, s[24:25], 0, -1, s[24:25]
	v_cmp_ne_u32_e64 s[24:25], 0, v1
	v_xor_b32_e32 v1, s25, v4
	v_lshlrev_b32_e32 v4, 30, v14
	v_xor_b32_e32 v2, s24, v2
	v_cmp_gt_i64_e64 s[24:25], 0, v[3:4]
	v_not_b32_e32 v4, v4
	v_ashrrev_i32_e32 v4, 31, v4
	v_and_b32_e32 v2, exec_lo, v2
	v_xor_b32_e32 v19, s25, v4
	v_xor_b32_e32 v4, s24, v4
	v_and_b32_e32 v2, v2, v4
	v_lshlrev_b32_e32 v4, 29, v14
	v_cmp_gt_i64_e64 s[24:25], 0, v[3:4]
	v_not_b32_e32 v4, v4
	v_and_b32_e32 v1, exec_hi, v1
	v_ashrrev_i32_e32 v4, 31, v4
	v_and_b32_e32 v1, v1, v19
	v_xor_b32_e32 v19, s25, v4
	v_xor_b32_e32 v4, s24, v4
	v_and_b32_e32 v2, v2, v4
	v_lshlrev_b32_e32 v4, 28, v14
	v_cmp_gt_i64_e64 s[24:25], 0, v[3:4]
	v_not_b32_e32 v4, v4
	v_ashrrev_i32_e32 v4, 31, v4
	v_and_b32_e32 v1, v1, v19
	v_xor_b32_e32 v19, s25, v4
	v_xor_b32_e32 v4, s24, v4
	v_and_b32_e32 v2, v2, v4
	v_lshlrev_b32_e32 v4, 27, v14
	v_cmp_gt_i64_e64 s[24:25], 0, v[3:4]
	v_not_b32_e32 v4, v4
	;; [unrolled: 8-line block ×4, first 2 shown]
	v_ashrrev_i32_e32 v4, 31, v4
	v_and_b32_e32 v1, v1, v19
	v_xor_b32_e32 v19, s25, v4
	v_xor_b32_e32 v4, s24, v4
	v_and_b32_e32 v1, v1, v19
	v_and_b32_e32 v19, v2, v4
	v_lshlrev_b32_e32 v4, 24, v14
	v_cmp_gt_i64_e64 s[24:25], 0, v[3:4]
	v_not_b32_e32 v2, v4
	v_ashrrev_i32_e32 v2, 31, v2
	v_xor_b32_e32 v4, s25, v2
	v_xor_b32_e32 v20, s24, v2
	v_and_b32_e32 v2, v1, v4
	v_and_b32_e32 v1, v19, v20
	v_mbcnt_lo_u32_b32 v4, v1, 0
	v_mbcnt_hi_u32_b32 v19, v2, v4
	v_cmp_ne_u64_e64 s[24:25], 0, v[1:2]
	v_cmp_eq_u32_e64 s[26:27], 0, v19
	s_and_b64 s[26:27], s[24:25], s[26:27]
	v_add_u32_e32 v20, v12, v5
	; wave barrier
	s_and_saveexec_b64 s[24:25], s[26:27]
	s_cbranch_execz .LBB258_6
; %bb.5:                                ;   in Loop: Header=BB258_2 Depth=1
	v_bcnt_u32_b32 v1, v1, 0
	v_bcnt_u32_b32 v1, v2, v1
	s_waitcnt lgkmcnt(0)
	v_add_u32_e32 v1, v18, v1
	ds_write_b32 v20, v1 offset:12
.LBB258_6:                              ;   in Loop: Header=BB258_2 Depth=1
	s_or_b64 exec, exec, s[24:25]
	v_and_b32_e32 v1, 0xff, v13
	v_mul_u32_u24_e32 v5, 12, v1
	v_mad_u32_u24 v1, v1, 12, v12
	; wave barrier
	ds_read_b32 v21, v1 offset:12
	v_and_b32_e32 v1, 1, v13
	v_add_co_u32_e64 v2, s[24:25], -1, v1
	v_addc_co_u32_e64 v4, s[24:25], 0, -1, s[24:25]
	v_cmp_ne_u32_e64 s[24:25], 0, v1
	v_xor_b32_e32 v1, s25, v4
	v_lshlrev_b32_e32 v4, 30, v13
	v_xor_b32_e32 v2, s24, v2
	v_cmp_gt_i64_e64 s[24:25], 0, v[3:4]
	v_not_b32_e32 v4, v4
	v_ashrrev_i32_e32 v4, 31, v4
	v_and_b32_e32 v2, exec_lo, v2
	v_xor_b32_e32 v22, s25, v4
	v_xor_b32_e32 v4, s24, v4
	v_and_b32_e32 v2, v2, v4
	v_lshlrev_b32_e32 v4, 29, v13
	v_cmp_gt_i64_e64 s[24:25], 0, v[3:4]
	v_not_b32_e32 v4, v4
	v_and_b32_e32 v1, exec_hi, v1
	v_ashrrev_i32_e32 v4, 31, v4
	v_and_b32_e32 v1, v1, v22
	v_xor_b32_e32 v22, s25, v4
	v_xor_b32_e32 v4, s24, v4
	v_and_b32_e32 v2, v2, v4
	v_lshlrev_b32_e32 v4, 28, v13
	v_cmp_gt_i64_e64 s[24:25], 0, v[3:4]
	v_not_b32_e32 v4, v4
	v_ashrrev_i32_e32 v4, 31, v4
	v_and_b32_e32 v1, v1, v22
	v_xor_b32_e32 v22, s25, v4
	v_xor_b32_e32 v4, s24, v4
	v_and_b32_e32 v2, v2, v4
	v_lshlrev_b32_e32 v4, 27, v13
	v_cmp_gt_i64_e64 s[24:25], 0, v[3:4]
	v_not_b32_e32 v4, v4
	;; [unrolled: 8-line block ×4, first 2 shown]
	v_ashrrev_i32_e32 v4, 31, v4
	v_and_b32_e32 v1, v1, v22
	v_xor_b32_e32 v22, s25, v4
	v_xor_b32_e32 v4, s24, v4
	v_and_b32_e32 v1, v1, v22
	v_and_b32_e32 v22, v2, v4
	v_lshlrev_b32_e32 v4, 24, v13
	v_cmp_gt_i64_e64 s[24:25], 0, v[3:4]
	v_not_b32_e32 v2, v4
	v_ashrrev_i32_e32 v2, 31, v2
	v_xor_b32_e32 v4, s25, v2
	v_xor_b32_e32 v23, s24, v2
	v_and_b32_e32 v2, v1, v4
	v_and_b32_e32 v1, v22, v23
	v_mbcnt_lo_u32_b32 v4, v1, 0
	v_mbcnt_hi_u32_b32 v22, v2, v4
	v_cmp_ne_u64_e64 s[24:25], 0, v[1:2]
	v_cmp_eq_u32_e64 s[26:27], 0, v22
	s_and_b64 s[26:27], s[24:25], s[26:27]
	v_add_u32_e32 v23, v12, v5
	; wave barrier
	s_and_saveexec_b64 s[24:25], s[26:27]
	s_cbranch_execz .LBB258_8
; %bb.7:                                ;   in Loop: Header=BB258_2 Depth=1
	v_bcnt_u32_b32 v1, v1, 0
	v_bcnt_u32_b32 v1, v2, v1
	s_waitcnt lgkmcnt(0)
	v_add_u32_e32 v1, v21, v1
	ds_write_b32 v23, v1 offset:12
.LBB258_8:                              ;   in Loop: Header=BB258_2 Depth=1
	s_or_b64 exec, exec, s[24:25]
	; wave barrier
	s_waitcnt lgkmcnt(0)
	s_barrier
	ds_read2_b32 v[4:5], v7 offset0:3 offset1:4
	ds_read2_b32 v[1:2], v7 offset0:5 offset1:6
	s_waitcnt lgkmcnt(1)
	v_add_u32_e32 v24, v5, v4
	s_waitcnt lgkmcnt(0)
	v_add3_u32 v2, v24, v1, v2
	s_nop 1
	v_mov_b32_dpp v24, v2 row_shr:1 row_mask:0xf bank_mask:0xf
	v_cndmask_b32_e64 v24, v24, 0, s[8:9]
	v_add_u32_e32 v2, v24, v2
	s_nop 1
	v_mov_b32_dpp v24, v2 row_shr:2 row_mask:0xf bank_mask:0xf
	v_cndmask_b32_e64 v24, 0, v24, s[10:11]
	v_add_u32_e32 v2, v2, v24
	;; [unrolled: 4-line block ×4, first 2 shown]
	s_nop 1
	v_mov_b32_dpp v24, v2 row_bcast:15 row_mask:0xf bank_mask:0xf
	v_cndmask_b32_e64 v24, v24, 0, s[16:17]
	v_add_u32_e32 v2, v2, v24
	s_nop 1
	v_mov_b32_dpp v24, v2 row_bcast:31 row_mask:0xf bank_mask:0xf
	v_cndmask_b32_e64 v24, 0, v24, s[4:5]
	v_add_u32_e32 v2, v2, v24
	s_and_saveexec_b64 s[24:25], s[22:23]
; %bb.9:                                ;   in Loop: Header=BB258_2 Depth=1
	ds_write_b32 v8, v2
; %bb.10:                               ;   in Loop: Header=BB258_2 Depth=1
	s_or_b64 exec, exec, s[24:25]
	s_waitcnt lgkmcnt(0)
	s_barrier
	s_and_saveexec_b64 s[24:25], vcc
	s_cbranch_execz .LBB258_12
; %bb.11:                               ;   in Loop: Header=BB258_2 Depth=1
	v_add_u32_e32 v24, v0, v6
	ds_read_b32 v25, v24
	s_waitcnt lgkmcnt(0)
	s_nop 0
	v_mov_b32_dpp v26, v25 row_shr:1 row_mask:0xf bank_mask:0xf
	v_cndmask_b32_e64 v26, v26, 0, s[18:19]
	v_add_u32_e32 v25, v26, v25
	s_nop 1
	v_mov_b32_dpp v26, v25 row_shr:2 row_mask:0xf bank_mask:0xf
	v_cndmask_b32_e64 v26, 0, v26, s[20:21]
	v_add_u32_e32 v25, v25, v26
	ds_write_b32 v24, v25
.LBB258_12:                             ;   in Loop: Header=BB258_2 Depth=1
	s_or_b64 exec, exec, s[24:25]
	v_mov_b32_e32 v24, 0
	s_waitcnt lgkmcnt(0)
	s_barrier
	s_and_saveexec_b64 s[24:25], s[0:1]
	s_cbranch_execz .LBB258_1
; %bb.13:                               ;   in Loop: Header=BB258_2 Depth=1
	v_add_u32_e32 v24, -4, v8
	ds_read_b32 v24, v24
	s_branch .LBB258_1
.LBB258_14:
	s_add_u32 s0, s30, s33
	s_addc_u32 s1, s31, 0
	global_store_byte v0, v4, s[0:1]
	global_store_byte v0, v1, s[0:1] offset:192
	global_store_byte v0, v5, s[0:1] offset:384
	s_endpgm
	.section	.rodata,"a",@progbits
	.p2align	6, 0x0
	.amdhsa_kernel _Z16sort_keys_kernelI22helper_blocked_stripedaLj192ELj3ELj10EEvPKT0_PS1_
		.amdhsa_group_segment_fixed_size 3088
		.amdhsa_private_segment_fixed_size 0
		.amdhsa_kernarg_size 272
		.amdhsa_user_sgpr_count 6
		.amdhsa_user_sgpr_private_segment_buffer 1
		.amdhsa_user_sgpr_dispatch_ptr 0
		.amdhsa_user_sgpr_queue_ptr 0
		.amdhsa_user_sgpr_kernarg_segment_ptr 1
		.amdhsa_user_sgpr_dispatch_id 0
		.amdhsa_user_sgpr_flat_scratch_init 0
		.amdhsa_user_sgpr_private_segment_size 0
		.amdhsa_uses_dynamic_stack 0
		.amdhsa_system_sgpr_private_segment_wavefront_offset 0
		.amdhsa_system_sgpr_workgroup_id_x 1
		.amdhsa_system_sgpr_workgroup_id_y 0
		.amdhsa_system_sgpr_workgroup_id_z 0
		.amdhsa_system_sgpr_workgroup_info 0
		.amdhsa_system_vgpr_workitem_id 2
		.amdhsa_next_free_vgpr 27
		.amdhsa_next_free_sgpr 34
		.amdhsa_reserve_vcc 1
		.amdhsa_reserve_flat_scratch 0
		.amdhsa_float_round_mode_32 0
		.amdhsa_float_round_mode_16_64 0
		.amdhsa_float_denorm_mode_32 3
		.amdhsa_float_denorm_mode_16_64 3
		.amdhsa_dx10_clamp 1
		.amdhsa_ieee_mode 1
		.amdhsa_fp16_overflow 0
		.amdhsa_exception_fp_ieee_invalid_op 0
		.amdhsa_exception_fp_denorm_src 0
		.amdhsa_exception_fp_ieee_div_zero 0
		.amdhsa_exception_fp_ieee_overflow 0
		.amdhsa_exception_fp_ieee_underflow 0
		.amdhsa_exception_fp_ieee_inexact 0
		.amdhsa_exception_int_div_zero 0
	.end_amdhsa_kernel
	.section	.text._Z16sort_keys_kernelI22helper_blocked_stripedaLj192ELj3ELj10EEvPKT0_PS1_,"axG",@progbits,_Z16sort_keys_kernelI22helper_blocked_stripedaLj192ELj3ELj10EEvPKT0_PS1_,comdat
.Lfunc_end258:
	.size	_Z16sort_keys_kernelI22helper_blocked_stripedaLj192ELj3ELj10EEvPKT0_PS1_, .Lfunc_end258-_Z16sort_keys_kernelI22helper_blocked_stripedaLj192ELj3ELj10EEvPKT0_PS1_
                                        ; -- End function
	.set _Z16sort_keys_kernelI22helper_blocked_stripedaLj192ELj3ELj10EEvPKT0_PS1_.num_vgpr, 27
	.set _Z16sort_keys_kernelI22helper_blocked_stripedaLj192ELj3ELj10EEvPKT0_PS1_.num_agpr, 0
	.set _Z16sort_keys_kernelI22helper_blocked_stripedaLj192ELj3ELj10EEvPKT0_PS1_.numbered_sgpr, 34
	.set _Z16sort_keys_kernelI22helper_blocked_stripedaLj192ELj3ELj10EEvPKT0_PS1_.num_named_barrier, 0
	.set _Z16sort_keys_kernelI22helper_blocked_stripedaLj192ELj3ELj10EEvPKT0_PS1_.private_seg_size, 0
	.set _Z16sort_keys_kernelI22helper_blocked_stripedaLj192ELj3ELj10EEvPKT0_PS1_.uses_vcc, 1
	.set _Z16sort_keys_kernelI22helper_blocked_stripedaLj192ELj3ELj10EEvPKT0_PS1_.uses_flat_scratch, 0
	.set _Z16sort_keys_kernelI22helper_blocked_stripedaLj192ELj3ELj10EEvPKT0_PS1_.has_dyn_sized_stack, 0
	.set _Z16sort_keys_kernelI22helper_blocked_stripedaLj192ELj3ELj10EEvPKT0_PS1_.has_recursion, 0
	.set _Z16sort_keys_kernelI22helper_blocked_stripedaLj192ELj3ELj10EEvPKT0_PS1_.has_indirect_call, 0
	.section	.AMDGPU.csdata,"",@progbits
; Kernel info:
; codeLenInByte = 2228
; TotalNumSgprs: 38
; NumVgprs: 27
; ScratchSize: 0
; MemoryBound: 0
; FloatMode: 240
; IeeeMode: 1
; LDSByteSize: 3088 bytes/workgroup (compile time only)
; SGPRBlocks: 4
; VGPRBlocks: 6
; NumSGPRsForWavesPerEU: 38
; NumVGPRsForWavesPerEU: 27
; Occupancy: 9
; WaveLimiterHint : 1
; COMPUTE_PGM_RSRC2:SCRATCH_EN: 0
; COMPUTE_PGM_RSRC2:USER_SGPR: 6
; COMPUTE_PGM_RSRC2:TRAP_HANDLER: 0
; COMPUTE_PGM_RSRC2:TGID_X_EN: 1
; COMPUTE_PGM_RSRC2:TGID_Y_EN: 0
; COMPUTE_PGM_RSRC2:TGID_Z_EN: 0
; COMPUTE_PGM_RSRC2:TIDIG_COMP_CNT: 2
	.section	.text._Z17sort_pairs_kernelI22helper_blocked_stripedaLj192ELj3ELj10EEvPKT0_PS1_,"axG",@progbits,_Z17sort_pairs_kernelI22helper_blocked_stripedaLj192ELj3ELj10EEvPKT0_PS1_,comdat
	.protected	_Z17sort_pairs_kernelI22helper_blocked_stripedaLj192ELj3ELj10EEvPKT0_PS1_ ; -- Begin function _Z17sort_pairs_kernelI22helper_blocked_stripedaLj192ELj3ELj10EEvPKT0_PS1_
	.globl	_Z17sort_pairs_kernelI22helper_blocked_stripedaLj192ELj3ELj10EEvPKT0_PS1_
	.p2align	8
	.type	_Z17sort_pairs_kernelI22helper_blocked_stripedaLj192ELj3ELj10EEvPKT0_PS1_,@function
_Z17sort_pairs_kernelI22helper_blocked_stripedaLj192ELj3ELj10EEvPKT0_PS1_: ; @_Z17sort_pairs_kernelI22helper_blocked_stripedaLj192ELj3ELj10EEvPKT0_PS1_
; %bb.0:
	s_load_dwordx4 s[28:31], s[4:5], 0x0
	s_load_dword s22, s[4:5], 0x1c
	s_mul_i32 s33, s6, 0x240
	v_mul_u32_u24_e32 v6, 3, v0
	v_mbcnt_lo_u32_b32 v7, -1, 0
	s_waitcnt lgkmcnt(0)
	s_add_u32 s0, s28, s33
	s_addc_u32 s1, s29, 0
	global_load_ushort v4, v6, s[0:1]
	global_load_sbyte v5, v6, s[0:1] offset:2
	s_lshr_b32 s23, s22, 16
	s_and_b32 s22, s22, 0xffff
	v_mad_u32_u24 v1, v2, s23, v1
	v_mad_u64_u32 v[1:2], s[22:23], v1, s22, v[0:1]
	v_mbcnt_hi_u32_b32 v10, -1, v7
	v_and_b32_e32 v9, 0xc0, v0
	v_lshrrev_b32_e32 v8, 6, v0
	v_and_b32_e32 v15, 16, v10
	v_min_u32_e32 v9, 0x80, v9
	v_mul_u32_u24_e32 v11, 0xc0, v8
	v_mul_u32_u24_e32 v12, 3, v10
	v_cmp_eq_u32_e64 s[16:17], 0, v15
	v_or_b32_e32 v15, 63, v9
	v_lshrrev_b32_e32 v1, 4, v1
	v_and_b32_e32 v14, 15, v10
	v_subrev_co_u32_e64 v16, s[6:7], 1, v10
	v_and_b32_e32 v17, 64, v10
	v_add_u32_e32 v9, v12, v11
	v_cmp_eq_u32_e64 s[22:23], v0, v15
	v_and_b32_e32 v12, 0xffffffc, v1
	v_cmp_eq_u32_e64 s[8:9], 0, v14
	v_cmp_lt_u32_e64 s[10:11], 1, v14
	v_cmp_lt_u32_e64 s[12:13], 3, v14
	;; [unrolled: 1-line block ×3, first 2 shown]
	v_and_b32_e32 v14, 3, v10
	v_cmp_lt_i32_e64 s[18:19], v16, v17
	v_mov_b32_e32 v13, 8
	v_cndmask_b32_e64 v16, v16, v10, s[18:19]
	v_cmp_eq_u32_e64 s[18:19], 0, v14
	v_cmp_lt_u32_e64 s[20:21], 1, v14
	s_mov_b32 s28, 10
	v_mov_b32_e32 v3, 0
	s_mov_b32 s29, 0xc0c0004
	v_lshlrev_b32_e32 v7, 4, v0
	v_cmp_gt_u32_e32 vcc, 3, v0
	v_cmp_lt_u32_e64 s[0:1], 63, v0
	v_cmp_eq_u32_e64 s[2:3], 0, v0
	v_cmp_lt_u32_e64 s[4:5], 31, v10
	v_lshlrev_b32_e32 v8, 2, v8
	v_add_u32_e32 v10, v10, v11
	v_lshlrev_b32_e32 v11, 2, v16
	s_waitcnt vmcnt(1)
	v_lshrrev_b32_e32 v2, 8, v4
	v_add_u16_e32 v1, 1, v4
	v_lshlrev_b16_e32 v15, 8, v2
	v_or_b32_sdwa v1, v15, v1 dst_sel:DWORD dst_unused:UNUSED_PAD src0_sel:DWORD src1_sel:BYTE_0
	s_waitcnt vmcnt(0)
	v_add_u16_e32 v14, 1, v5
	v_add_u16_e32 v1, 0x100, v1
	v_and_b32_e32 v14, 0xff, v14
	v_lshrrev_b32_sdwa v13, v13, v1 dst_sel:BYTE_1 dst_unused:UNUSED_PAD src0_sel:DWORD src1_sel:DWORD
	v_lshlrev_b32_e32 v14, 16, v14
	v_or_b32_sdwa v1, v1, v13 dst_sel:DWORD dst_unused:UNUSED_PAD src0_sel:BYTE_0 src1_sel:DWORD
	v_or_b32_sdwa v1, v1, v14 dst_sel:DWORD dst_unused:UNUSED_PAD src0_sel:WORD_0 src1_sel:DWORD
	v_mov_b32_e32 v13, 12
	s_branch .LBB259_2
.LBB259_1:                              ;   in Loop: Header=BB259_2 Depth=1
	s_or_b64 exec, exec, s[24:25]
	s_waitcnt lgkmcnt(0)
	v_add_u32_e32 v2, v28, v2
	ds_bpermute_b32 v2, v11, v2
	s_add_i32 s28, s28, -1
	s_cmp_eq_u32 s28, 0
	s_waitcnt lgkmcnt(0)
	v_cndmask_b32_e64 v2, v2, v28, s[6:7]
	v_cndmask_b32_e64 v2, v2, 0, s[2:3]
	v_add_u32_e32 v4, v2, v4
	v_add_u32_e32 v5, v4, v5
	;; [unrolled: 1-line block ×3, first 2 shown]
	ds_write2_b32 v7, v2, v4 offset0:3 offset1:4
	ds_write2_b32 v7, v5, v1 offset0:5 offset1:6
	s_waitcnt lgkmcnt(0)
	s_barrier
	ds_read_b32 v1, v21 offset:12
	ds_read_b32 v2, v24 offset:12
	;; [unrolled: 1-line block ×3, first 2 shown]
	s_waitcnt lgkmcnt(0)
	s_barrier
	v_add_u32_e32 v1, v1, v20
	v_add3_u32 v2, v23, v22, v2
	v_add3_u32 v4, v26, v25, v4
	ds_write_b8 v1, v16
	ds_write_b8 v2, v15
	;; [unrolled: 1-line block ×3, first 2 shown]
	s_waitcnt lgkmcnt(0)
	s_barrier
	ds_read_u8 v5, v0
	ds_read_u8 v20, v0 offset:192
	ds_read_u8 v21, v0 offset:384
	s_waitcnt lgkmcnt(0)
	s_barrier
	ds_write_b8 v1, v17
	ds_write_b8 v2, v18
	;; [unrolled: 1-line block ×3, first 2 shown]
	s_waitcnt lgkmcnt(0)
	s_barrier
	ds_read_u8 v14, v0
	ds_read_u8 v15, v0 offset:192
	ds_read_u8 v16, v0 offset:384
	v_xor_b32_e32 v4, 0xffffff80, v5
	v_xor_b32_e32 v5, 0xffffff80, v21
	s_waitcnt lgkmcnt(1)
	v_perm_b32 v1, v14, v15, s29
	s_waitcnt lgkmcnt(0)
	v_lshlrev_b32_e32 v2, 16, v16
	v_or_b32_e32 v1, v1, v2
	v_xor_b32_e32 v2, 0xffffff80, v20
	s_cbranch_scc1 .LBB259_14
.LBB259_2:                              ; =>This Inner Loop Header: Depth=1
	v_xor_b32_e32 v4, 0x80, v4
	v_xor_b32_e32 v2, 0x80, v2
	;; [unrolled: 1-line block ×3, first 2 shown]
	ds_write_b8 v9, v4
	ds_write_b8 v9, v2 offset:1
	ds_write_b8 v9, v5 offset:2
	; wave barrier
	ds_read_u8 v16, v10
	ds_read_u8 v15, v10 offset:64
	ds_read_u8 v14, v10 offset:128
	v_lshrrev_b32_e32 v2, 8, v1
	; wave barrier
	ds_write_b8 v9, v1
	ds_write_b8 v9, v2 offset:1
	ds_write_b8_d16_hi v9, v1 offset:2
	s_waitcnt lgkmcnt(5)
	v_and_b32_e32 v1, 1, v16
	v_add_co_u32_e64 v2, s[24:25], -1, v1
	v_addc_co_u32_e64 v4, s[24:25], 0, -1, s[24:25]
	v_cmp_ne_u32_e64 s[24:25], 0, v1
	v_xor_b32_e32 v1, s25, v4
	v_lshlrev_b32_e32 v4, 30, v16
	v_xor_b32_e32 v2, s24, v2
	v_cmp_gt_i64_e64 s[24:25], 0, v[3:4]
	v_not_b32_e32 v4, v4
	v_ashrrev_i32_e32 v4, 31, v4
	v_and_b32_e32 v2, exec_lo, v2
	v_xor_b32_e32 v20, s25, v4
	v_xor_b32_e32 v4, s24, v4
	v_and_b32_e32 v2, v2, v4
	v_lshlrev_b32_e32 v4, 29, v16
	v_cmp_gt_i64_e64 s[24:25], 0, v[3:4]
	v_not_b32_e32 v4, v4
	v_and_b32_e32 v1, exec_hi, v1
	v_ashrrev_i32_e32 v4, 31, v4
	v_and_b32_e32 v1, v1, v20
	v_xor_b32_e32 v20, s25, v4
	v_xor_b32_e32 v4, s24, v4
	v_and_b32_e32 v2, v2, v4
	v_lshlrev_b32_e32 v4, 28, v16
	v_cmp_gt_i64_e64 s[24:25], 0, v[3:4]
	v_not_b32_e32 v4, v4
	v_ashrrev_i32_e32 v4, 31, v4
	v_and_b32_e32 v1, v1, v20
	v_xor_b32_e32 v20, s25, v4
	v_xor_b32_e32 v4, s24, v4
	v_and_b32_e32 v2, v2, v4
	v_lshlrev_b32_e32 v4, 27, v16
	v_cmp_gt_i64_e64 s[24:25], 0, v[3:4]
	v_not_b32_e32 v4, v4
	;; [unrolled: 8-line block ×4, first 2 shown]
	v_ashrrev_i32_e32 v4, 31, v4
	v_and_b32_e32 v1, v1, v20
	v_xor_b32_e32 v20, s25, v4
	v_xor_b32_e32 v4, s24, v4
	v_and_b32_e32 v1, v1, v20
	v_and_b32_e32 v20, v2, v4
	v_lshlrev_b32_e32 v4, 24, v16
	v_cmp_gt_i64_e64 s[24:25], 0, v[3:4]
	v_not_b32_e32 v2, v4
	v_ashrrev_i32_e32 v2, 31, v2
	; wave barrier
	ds_read_u8 v17, v10
	ds_read_u8 v18, v10 offset:64
	ds_read_u8 v19, v10 offset:128
	v_xor_b32_e32 v4, s25, v2
	v_xor_b32_e32 v21, s24, v2
	v_and_b32_e32 v2, v1, v4
	v_and_b32_e32 v1, v20, v21
	v_mbcnt_lo_u32_b32 v4, v1, 0
	v_mbcnt_hi_u32_b32 v20, v2, v4
	v_cmp_ne_u64_e64 s[24:25], 0, v[1:2]
	v_mul_u32_u24_sdwa v5, v16, v13 dst_sel:DWORD dst_unused:UNUSED_PAD src0_sel:BYTE_0 src1_sel:DWORD
	v_cmp_eq_u32_e64 s[26:27], 0, v20
	s_and_b64 s[26:27], s[24:25], s[26:27]
	v_add_u32_e32 v21, v12, v5
	s_waitcnt lgkmcnt(0)
	s_barrier
	ds_write2_b32 v7, v3, v3 offset0:3 offset1:4
	ds_write2_b32 v7, v3, v3 offset0:5 offset1:6
	s_waitcnt lgkmcnt(0)
	s_barrier
	; wave barrier
	s_and_saveexec_b64 s[24:25], s[26:27]
; %bb.3:                                ;   in Loop: Header=BB259_2 Depth=1
	v_bcnt_u32_b32 v1, v1, 0
	v_bcnt_u32_b32 v1, v2, v1
	ds_write_b32 v21, v1 offset:12
; %bb.4:                                ;   in Loop: Header=BB259_2 Depth=1
	s_or_b64 exec, exec, s[24:25]
	v_and_b32_e32 v1, 0xff, v15
	v_mul_u32_u24_e32 v5, 12, v1
	v_mad_u32_u24 v1, v1, 12, v12
	; wave barrier
	ds_read_b32 v22, v1 offset:12
	v_and_b32_e32 v1, 1, v15
	v_add_co_u32_e64 v2, s[24:25], -1, v1
	v_addc_co_u32_e64 v4, s[24:25], 0, -1, s[24:25]
	v_cmp_ne_u32_e64 s[24:25], 0, v1
	v_xor_b32_e32 v1, s25, v4
	v_lshlrev_b32_e32 v4, 30, v15
	v_xor_b32_e32 v2, s24, v2
	v_cmp_gt_i64_e64 s[24:25], 0, v[3:4]
	v_not_b32_e32 v4, v4
	v_ashrrev_i32_e32 v4, 31, v4
	v_and_b32_e32 v2, exec_lo, v2
	v_xor_b32_e32 v23, s25, v4
	v_xor_b32_e32 v4, s24, v4
	v_and_b32_e32 v2, v2, v4
	v_lshlrev_b32_e32 v4, 29, v15
	v_cmp_gt_i64_e64 s[24:25], 0, v[3:4]
	v_not_b32_e32 v4, v4
	v_and_b32_e32 v1, exec_hi, v1
	v_ashrrev_i32_e32 v4, 31, v4
	v_and_b32_e32 v1, v1, v23
	v_xor_b32_e32 v23, s25, v4
	v_xor_b32_e32 v4, s24, v4
	v_and_b32_e32 v2, v2, v4
	v_lshlrev_b32_e32 v4, 28, v15
	v_cmp_gt_i64_e64 s[24:25], 0, v[3:4]
	v_not_b32_e32 v4, v4
	v_ashrrev_i32_e32 v4, 31, v4
	v_and_b32_e32 v1, v1, v23
	v_xor_b32_e32 v23, s25, v4
	v_xor_b32_e32 v4, s24, v4
	v_and_b32_e32 v2, v2, v4
	v_lshlrev_b32_e32 v4, 27, v15
	v_cmp_gt_i64_e64 s[24:25], 0, v[3:4]
	v_not_b32_e32 v4, v4
	;; [unrolled: 8-line block ×4, first 2 shown]
	v_ashrrev_i32_e32 v4, 31, v4
	v_and_b32_e32 v1, v1, v23
	v_xor_b32_e32 v23, s25, v4
	v_xor_b32_e32 v4, s24, v4
	v_and_b32_e32 v1, v1, v23
	v_and_b32_e32 v23, v2, v4
	v_lshlrev_b32_e32 v4, 24, v15
	v_cmp_gt_i64_e64 s[24:25], 0, v[3:4]
	v_not_b32_e32 v2, v4
	v_ashrrev_i32_e32 v2, 31, v2
	v_xor_b32_e32 v4, s25, v2
	v_xor_b32_e32 v24, s24, v2
	v_and_b32_e32 v2, v1, v4
	v_and_b32_e32 v1, v23, v24
	v_mbcnt_lo_u32_b32 v4, v1, 0
	v_mbcnt_hi_u32_b32 v23, v2, v4
	v_cmp_ne_u64_e64 s[24:25], 0, v[1:2]
	v_cmp_eq_u32_e64 s[26:27], 0, v23
	s_and_b64 s[26:27], s[24:25], s[26:27]
	v_add_u32_e32 v24, v12, v5
	; wave barrier
	s_and_saveexec_b64 s[24:25], s[26:27]
	s_cbranch_execz .LBB259_6
; %bb.5:                                ;   in Loop: Header=BB259_2 Depth=1
	v_bcnt_u32_b32 v1, v1, 0
	v_bcnt_u32_b32 v1, v2, v1
	s_waitcnt lgkmcnt(0)
	v_add_u32_e32 v1, v22, v1
	ds_write_b32 v24, v1 offset:12
.LBB259_6:                              ;   in Loop: Header=BB259_2 Depth=1
	s_or_b64 exec, exec, s[24:25]
	v_and_b32_e32 v1, 0xff, v14
	v_mul_u32_u24_e32 v5, 12, v1
	v_mad_u32_u24 v1, v1, 12, v12
	; wave barrier
	ds_read_b32 v25, v1 offset:12
	v_and_b32_e32 v1, 1, v14
	v_add_co_u32_e64 v2, s[24:25], -1, v1
	v_addc_co_u32_e64 v4, s[24:25], 0, -1, s[24:25]
	v_cmp_ne_u32_e64 s[24:25], 0, v1
	v_xor_b32_e32 v1, s25, v4
	v_lshlrev_b32_e32 v4, 30, v14
	v_xor_b32_e32 v2, s24, v2
	v_cmp_gt_i64_e64 s[24:25], 0, v[3:4]
	v_not_b32_e32 v4, v4
	v_ashrrev_i32_e32 v4, 31, v4
	v_and_b32_e32 v2, exec_lo, v2
	v_xor_b32_e32 v26, s25, v4
	v_xor_b32_e32 v4, s24, v4
	v_and_b32_e32 v2, v2, v4
	v_lshlrev_b32_e32 v4, 29, v14
	v_cmp_gt_i64_e64 s[24:25], 0, v[3:4]
	v_not_b32_e32 v4, v4
	v_and_b32_e32 v1, exec_hi, v1
	v_ashrrev_i32_e32 v4, 31, v4
	v_and_b32_e32 v1, v1, v26
	v_xor_b32_e32 v26, s25, v4
	v_xor_b32_e32 v4, s24, v4
	v_and_b32_e32 v2, v2, v4
	v_lshlrev_b32_e32 v4, 28, v14
	v_cmp_gt_i64_e64 s[24:25], 0, v[3:4]
	v_not_b32_e32 v4, v4
	v_ashrrev_i32_e32 v4, 31, v4
	v_and_b32_e32 v1, v1, v26
	v_xor_b32_e32 v26, s25, v4
	v_xor_b32_e32 v4, s24, v4
	v_and_b32_e32 v2, v2, v4
	v_lshlrev_b32_e32 v4, 27, v14
	v_cmp_gt_i64_e64 s[24:25], 0, v[3:4]
	v_not_b32_e32 v4, v4
	v_ashrrev_i32_e32 v4, 31, v4
	v_and_b32_e32 v1, v1, v26
	v_xor_b32_e32 v26, s25, v4
	v_xor_b32_e32 v4, s24, v4
	v_and_b32_e32 v2, v2, v4
	v_lshlrev_b32_e32 v4, 26, v14
	v_cmp_gt_i64_e64 s[24:25], 0, v[3:4]
	v_not_b32_e32 v4, v4
	v_ashrrev_i32_e32 v4, 31, v4
	v_and_b32_e32 v1, v1, v26
	v_xor_b32_e32 v26, s25, v4
	v_xor_b32_e32 v4, s24, v4
	v_and_b32_e32 v2, v2, v4
	v_lshlrev_b32_e32 v4, 25, v14
	v_cmp_gt_i64_e64 s[24:25], 0, v[3:4]
	v_not_b32_e32 v4, v4
	v_ashrrev_i32_e32 v4, 31, v4
	v_and_b32_e32 v1, v1, v26
	v_xor_b32_e32 v26, s25, v4
	v_xor_b32_e32 v4, s24, v4
	v_and_b32_e32 v1, v1, v26
	v_and_b32_e32 v26, v2, v4
	v_lshlrev_b32_e32 v4, 24, v14
	v_cmp_gt_i64_e64 s[24:25], 0, v[3:4]
	v_not_b32_e32 v2, v4
	v_ashrrev_i32_e32 v2, 31, v2
	v_xor_b32_e32 v4, s25, v2
	v_xor_b32_e32 v27, s24, v2
	v_and_b32_e32 v2, v1, v4
	v_and_b32_e32 v1, v26, v27
	v_mbcnt_lo_u32_b32 v4, v1, 0
	v_mbcnt_hi_u32_b32 v26, v2, v4
	v_cmp_ne_u64_e64 s[24:25], 0, v[1:2]
	v_cmp_eq_u32_e64 s[26:27], 0, v26
	s_and_b64 s[26:27], s[24:25], s[26:27]
	v_add_u32_e32 v27, v12, v5
	; wave barrier
	s_and_saveexec_b64 s[24:25], s[26:27]
	s_cbranch_execz .LBB259_8
; %bb.7:                                ;   in Loop: Header=BB259_2 Depth=1
	v_bcnt_u32_b32 v1, v1, 0
	v_bcnt_u32_b32 v1, v2, v1
	s_waitcnt lgkmcnt(0)
	v_add_u32_e32 v1, v25, v1
	ds_write_b32 v27, v1 offset:12
.LBB259_8:                              ;   in Loop: Header=BB259_2 Depth=1
	s_or_b64 exec, exec, s[24:25]
	; wave barrier
	s_waitcnt lgkmcnt(0)
	s_barrier
	ds_read2_b32 v[4:5], v7 offset0:3 offset1:4
	ds_read2_b32 v[1:2], v7 offset0:5 offset1:6
	s_waitcnt lgkmcnt(1)
	v_add_u32_e32 v28, v5, v4
	s_waitcnt lgkmcnt(0)
	v_add3_u32 v2, v28, v1, v2
	s_nop 1
	v_mov_b32_dpp v28, v2 row_shr:1 row_mask:0xf bank_mask:0xf
	v_cndmask_b32_e64 v28, v28, 0, s[8:9]
	v_add_u32_e32 v2, v28, v2
	s_nop 1
	v_mov_b32_dpp v28, v2 row_shr:2 row_mask:0xf bank_mask:0xf
	v_cndmask_b32_e64 v28, 0, v28, s[10:11]
	v_add_u32_e32 v2, v2, v28
	s_nop 1
	v_mov_b32_dpp v28, v2 row_shr:4 row_mask:0xf bank_mask:0xf
	v_cndmask_b32_e64 v28, 0, v28, s[12:13]
	v_add_u32_e32 v2, v2, v28
	s_nop 1
	v_mov_b32_dpp v28, v2 row_shr:8 row_mask:0xf bank_mask:0xf
	v_cndmask_b32_e64 v28, 0, v28, s[14:15]
	v_add_u32_e32 v2, v2, v28
	s_nop 1
	v_mov_b32_dpp v28, v2 row_bcast:15 row_mask:0xf bank_mask:0xf
	v_cndmask_b32_e64 v28, v28, 0, s[16:17]
	v_add_u32_e32 v2, v2, v28
	s_nop 1
	v_mov_b32_dpp v28, v2 row_bcast:31 row_mask:0xf bank_mask:0xf
	v_cndmask_b32_e64 v28, 0, v28, s[4:5]
	v_add_u32_e32 v2, v2, v28
	s_and_saveexec_b64 s[24:25], s[22:23]
; %bb.9:                                ;   in Loop: Header=BB259_2 Depth=1
	ds_write_b32 v8, v2
; %bb.10:                               ;   in Loop: Header=BB259_2 Depth=1
	s_or_b64 exec, exec, s[24:25]
	s_waitcnt lgkmcnt(0)
	s_barrier
	s_and_saveexec_b64 s[24:25], vcc
	s_cbranch_execz .LBB259_12
; %bb.11:                               ;   in Loop: Header=BB259_2 Depth=1
	v_add_u32_e32 v28, v0, v6
	ds_read_b32 v29, v28
	s_waitcnt lgkmcnt(0)
	s_nop 0
	v_mov_b32_dpp v30, v29 row_shr:1 row_mask:0xf bank_mask:0xf
	v_cndmask_b32_e64 v30, v30, 0, s[18:19]
	v_add_u32_e32 v29, v30, v29
	s_nop 1
	v_mov_b32_dpp v30, v29 row_shr:2 row_mask:0xf bank_mask:0xf
	v_cndmask_b32_e64 v30, 0, v30, s[20:21]
	v_add_u32_e32 v29, v29, v30
	ds_write_b32 v28, v29
.LBB259_12:                             ;   in Loop: Header=BB259_2 Depth=1
	s_or_b64 exec, exec, s[24:25]
	v_mov_b32_e32 v28, 0
	s_waitcnt lgkmcnt(0)
	s_barrier
	s_and_saveexec_b64 s[24:25], s[0:1]
	s_cbranch_execz .LBB259_1
; %bb.13:                               ;   in Loop: Header=BB259_2 Depth=1
	v_add_u32_e32 v28, -4, v8
	ds_read_b32 v28, v28
	s_branch .LBB259_1
.LBB259_14:
	s_add_u32 s0, s30, s33
	v_add_u16_e32 v1, v4, v14
	s_addc_u32 s1, s31, 0
	v_add_u16_e32 v2, v2, v15
	v_add_u16_e32 v3, v5, v16
	global_store_byte v0, v1, s[0:1]
	global_store_byte v0, v2, s[0:1] offset:192
	global_store_byte v0, v3, s[0:1] offset:384
	s_endpgm
	.section	.rodata,"a",@progbits
	.p2align	6, 0x0
	.amdhsa_kernel _Z17sort_pairs_kernelI22helper_blocked_stripedaLj192ELj3ELj10EEvPKT0_PS1_
		.amdhsa_group_segment_fixed_size 3088
		.amdhsa_private_segment_fixed_size 0
		.amdhsa_kernarg_size 272
		.amdhsa_user_sgpr_count 6
		.amdhsa_user_sgpr_private_segment_buffer 1
		.amdhsa_user_sgpr_dispatch_ptr 0
		.amdhsa_user_sgpr_queue_ptr 0
		.amdhsa_user_sgpr_kernarg_segment_ptr 1
		.amdhsa_user_sgpr_dispatch_id 0
		.amdhsa_user_sgpr_flat_scratch_init 0
		.amdhsa_user_sgpr_private_segment_size 0
		.amdhsa_uses_dynamic_stack 0
		.amdhsa_system_sgpr_private_segment_wavefront_offset 0
		.amdhsa_system_sgpr_workgroup_id_x 1
		.amdhsa_system_sgpr_workgroup_id_y 0
		.amdhsa_system_sgpr_workgroup_id_z 0
		.amdhsa_system_sgpr_workgroup_info 0
		.amdhsa_system_vgpr_workitem_id 2
		.amdhsa_next_free_vgpr 31
		.amdhsa_next_free_sgpr 34
		.amdhsa_reserve_vcc 1
		.amdhsa_reserve_flat_scratch 0
		.amdhsa_float_round_mode_32 0
		.amdhsa_float_round_mode_16_64 0
		.amdhsa_float_denorm_mode_32 3
		.amdhsa_float_denorm_mode_16_64 3
		.amdhsa_dx10_clamp 1
		.amdhsa_ieee_mode 1
		.amdhsa_fp16_overflow 0
		.amdhsa_exception_fp_ieee_invalid_op 0
		.amdhsa_exception_fp_denorm_src 0
		.amdhsa_exception_fp_ieee_div_zero 0
		.amdhsa_exception_fp_ieee_overflow 0
		.amdhsa_exception_fp_ieee_underflow 0
		.amdhsa_exception_fp_ieee_inexact 0
		.amdhsa_exception_int_div_zero 0
	.end_amdhsa_kernel
	.section	.text._Z17sort_pairs_kernelI22helper_blocked_stripedaLj192ELj3ELj10EEvPKT0_PS1_,"axG",@progbits,_Z17sort_pairs_kernelI22helper_blocked_stripedaLj192ELj3ELj10EEvPKT0_PS1_,comdat
.Lfunc_end259:
	.size	_Z17sort_pairs_kernelI22helper_blocked_stripedaLj192ELj3ELj10EEvPKT0_PS1_, .Lfunc_end259-_Z17sort_pairs_kernelI22helper_blocked_stripedaLj192ELj3ELj10EEvPKT0_PS1_
                                        ; -- End function
	.set _Z17sort_pairs_kernelI22helper_blocked_stripedaLj192ELj3ELj10EEvPKT0_PS1_.num_vgpr, 31
	.set _Z17sort_pairs_kernelI22helper_blocked_stripedaLj192ELj3ELj10EEvPKT0_PS1_.num_agpr, 0
	.set _Z17sort_pairs_kernelI22helper_blocked_stripedaLj192ELj3ELj10EEvPKT0_PS1_.numbered_sgpr, 34
	.set _Z17sort_pairs_kernelI22helper_blocked_stripedaLj192ELj3ELj10EEvPKT0_PS1_.num_named_barrier, 0
	.set _Z17sort_pairs_kernelI22helper_blocked_stripedaLj192ELj3ELj10EEvPKT0_PS1_.private_seg_size, 0
	.set _Z17sort_pairs_kernelI22helper_blocked_stripedaLj192ELj3ELj10EEvPKT0_PS1_.uses_vcc, 1
	.set _Z17sort_pairs_kernelI22helper_blocked_stripedaLj192ELj3ELj10EEvPKT0_PS1_.uses_flat_scratch, 0
	.set _Z17sort_pairs_kernelI22helper_blocked_stripedaLj192ELj3ELj10EEvPKT0_PS1_.has_dyn_sized_stack, 0
	.set _Z17sort_pairs_kernelI22helper_blocked_stripedaLj192ELj3ELj10EEvPKT0_PS1_.has_recursion, 0
	.set _Z17sort_pairs_kernelI22helper_blocked_stripedaLj192ELj3ELj10EEvPKT0_PS1_.has_indirect_call, 0
	.section	.AMDGPU.csdata,"",@progbits
; Kernel info:
; codeLenInByte = 2444
; TotalNumSgprs: 38
; NumVgprs: 31
; ScratchSize: 0
; MemoryBound: 0
; FloatMode: 240
; IeeeMode: 1
; LDSByteSize: 3088 bytes/workgroup (compile time only)
; SGPRBlocks: 4
; VGPRBlocks: 7
; NumSGPRsForWavesPerEU: 38
; NumVGPRsForWavesPerEU: 31
; Occupancy: 8
; WaveLimiterHint : 1
; COMPUTE_PGM_RSRC2:SCRATCH_EN: 0
; COMPUTE_PGM_RSRC2:USER_SGPR: 6
; COMPUTE_PGM_RSRC2:TRAP_HANDLER: 0
; COMPUTE_PGM_RSRC2:TGID_X_EN: 1
; COMPUTE_PGM_RSRC2:TGID_Y_EN: 0
; COMPUTE_PGM_RSRC2:TGID_Z_EN: 0
; COMPUTE_PGM_RSRC2:TIDIG_COMP_CNT: 2
	.section	.text._Z16sort_keys_kernelI22helper_blocked_stripedaLj192ELj4ELj10EEvPKT0_PS1_,"axG",@progbits,_Z16sort_keys_kernelI22helper_blocked_stripedaLj192ELj4ELj10EEvPKT0_PS1_,comdat
	.protected	_Z16sort_keys_kernelI22helper_blocked_stripedaLj192ELj4ELj10EEvPKT0_PS1_ ; -- Begin function _Z16sort_keys_kernelI22helper_blocked_stripedaLj192ELj4ELj10EEvPKT0_PS1_
	.globl	_Z16sort_keys_kernelI22helper_blocked_stripedaLj192ELj4ELj10EEvPKT0_PS1_
	.p2align	8
	.type	_Z16sort_keys_kernelI22helper_blocked_stripedaLj192ELj4ELj10EEvPKT0_PS1_,@function
_Z16sort_keys_kernelI22helper_blocked_stripedaLj192ELj4ELj10EEvPKT0_PS1_: ; @_Z16sort_keys_kernelI22helper_blocked_stripedaLj192ELj4ELj10EEvPKT0_PS1_
; %bb.0:
	s_load_dwordx4 s[36:39], s[4:5], 0x0
	s_load_dword s30, s[4:5], 0x1c
	s_mul_i32 s33, s6, 0x300
	v_lshlrev_b32_e32 v3, 2, v0
	v_mbcnt_lo_u32_b32 v5, -1, 0
	s_waitcnt lgkmcnt(0)
	s_add_u32 s0, s36, s33
	s_addc_u32 s1, s37, 0
	global_load_dword v4, v3, s[0:1]
	s_lshr_b32 s31, s30, 16
	s_and_b32 s30, s30, 0xffff
	v_mad_u32_u24 v1, v2, s31, v1
	v_mad_u64_u32 v[1:2], s[30:31], v1, s30, v[0:1]
	v_mbcnt_hi_u32_b32 v5, -1, v5
	v_and_b32_e32 v7, 0xc0, v0
	v_lshrrev_b32_e32 v10, 2, v5
	v_and_b32_e32 v12, 64, v5
	v_subrev_co_u32_e64 v16, s[6:7], 1, v5
	v_lshrrev_b32_e32 v8, 4, v0
	v_and_b32_e32 v13, 15, v5
	v_and_b32_e32 v14, 16, v5
	v_min_u32_e32 v15, 0x80, v7
	v_or_b32_e32 v17, v10, v12
	v_add_u32_e32 v18, 48, v10
	v_cmp_lt_i32_e64 s[26:27], v16, v12
	v_mul_u32_u24_e32 v9, 3, v0
	v_and_b32_e32 v11, 3, v5
	v_cmp_lt_u32_e64 s[4:5], 31, v5
	v_and_b32_e32 v7, 12, v8
	v_cmp_eq_u32_e64 s[16:17], 0, v13
	v_cmp_lt_u32_e64 s[18:19], 1, v13
	v_cmp_lt_u32_e64 s[20:21], 3, v13
	v_cmp_lt_u32_e64 s[22:23], 7, v13
	v_cmp_eq_u32_e64 s[24:25], 0, v14
	v_or_b32_e32 v13, 63, v15
	v_cndmask_b32_e64 v5, v16, v5, s[26:27]
	v_lshlrev_b32_e32 v10, 2, v17
	v_and_or_b32 v14, v18, 63, v12
	v_lshrrev_b32_e32 v1, 4, v1
	s_mov_b32 s36, 0xffff
	s_mov_b32 s37, 10
	s_movk_i32 s40, 0xff
	s_mov_b32 s41, 0x3020104
	s_mov_b32 s42, 0xffff0000
	;; [unrolled: 1-line block ×3, first 2 shown]
	v_mov_b32_e32 v3, 0
	v_lshlrev_b32_e32 v6, 4, v0
	v_cmp_gt_u32_e32 vcc, 3, v0
	v_cmp_lt_u32_e64 s[0:1], 63, v0
	v_cmp_eq_u32_e64 s[2:3], 0, v0
	v_add_u32_e32 v8, v0, v9
	v_cmp_eq_u32_e64 s[8:9], 3, v11
	v_cmp_eq_u32_e64 s[10:11], 2, v11
	;; [unrolled: 1-line block ×4, first 2 shown]
	v_cmp_lt_u32_e64 s[26:27], 1, v11
	v_add_u32_e32 v9, -4, v7
	v_cmp_eq_u32_e64 s[28:29], v0, v13
	v_lshlrev_b32_e32 v11, 2, v5
	v_add_u32_e32 v12, 64, v10
	v_or_b32_e32 v13, 0x80, v10
	v_lshlrev_b32_e32 v14, 2, v14
	v_and_b32_e32 v15, 0xffffffc, v1
	v_mov_b32_e32 v16, 12
	s_waitcnt vmcnt(0)
	v_lshrrev_b32_e32 v2, 24, v4
	v_lshrrev_b32_e32 v1, 16, v4
	v_lshrrev_b32_e32 v5, 8, v4
	s_branch .LBB260_2
.LBB260_1:                              ;   in Loop: Header=BB260_2 Depth=1
	s_or_b64 exec, exec, s[30:31]
	s_waitcnt lgkmcnt(0)
	v_add_u32_e32 v2, v32, v2
	ds_bpermute_b32 v2, v11, v2
	s_add_i32 s37, s37, -1
	s_cmp_eq_u32 s37, 0
	s_waitcnt lgkmcnt(0)
	v_cndmask_b32_e64 v2, v2, v32, s[6:7]
	v_cndmask_b32_e64 v2, v2, 0, s[2:3]
	v_add_u32_e32 v4, v2, v4
	v_add_u32_e32 v5, v4, v5
	;; [unrolled: 1-line block ×3, first 2 shown]
	ds_write2_b32 v6, v2, v4 offset0:3 offset1:4
	ds_write2_b32 v6, v5, v1 offset0:5 offset1:6
	s_waitcnt lgkmcnt(0)
	s_barrier
	ds_read_b32 v1, v19 offset:12
	ds_read_b32 v2, v23 offset:12
	;; [unrolled: 1-line block ×4, first 2 shown]
	s_waitcnt lgkmcnt(0)
	v_add_u32_e32 v1, v1, v18
	s_barrier
	ds_write_b8 v1, v17
	v_add3_u32 v1, v22, v21, v2
	ds_write_b8 v1, v20
	v_add3_u32 v1, v26, v25, v4
	;; [unrolled: 2-line block ×3, first 2 shown]
	ds_write_b8 v1, v28
	s_waitcnt lgkmcnt(0)
	s_barrier
	ds_read_u8 v1, v0
	ds_read_u8 v2, v0 offset:192
	ds_read_u8 v17, v0 offset:384
	;; [unrolled: 1-line block ×3, first 2 shown]
	s_waitcnt lgkmcnt(3)
	v_xor_b32_e32 v4, 0xffffff80, v1
	s_waitcnt lgkmcnt(2)
	v_xor_b32_e32 v5, 0xffffff80, v2
	;; [unrolled: 2-line block ×4, first 2 shown]
	s_cbranch_scc1 .LBB260_16
.LBB260_2:                              ; =>This Inner Loop Header: Depth=1
	v_xor_b32_e32 v4, 0x80, v4
	v_xor_b32_e32 v5, 0x80, v5
	v_and_b32_e32 v4, 0xff, v4
	ds_bpermute_b32 v17, v10, v4
	v_xor_b32_e32 v1, 0x80, v1
	v_and_b32_e32 v5, 0xff, v5
	ds_bpermute_b32 v18, v10, v5
	v_and_b32_e32 v1, 0xff, v1
	ds_bpermute_b32 v19, v10, v1
	v_xor_b32_e32 v2, 0x80, v2
	v_and_b32_e32 v2, 0xff, v2
	s_waitcnt lgkmcnt(2)
	v_and_b32_e32 v17, 0xff, v17
	ds_bpermute_b32 v20, v10, v2
	v_cndmask_b32_e64 v17, 0, v17, s[14:15]
	s_waitcnt lgkmcnt(2)
	v_and_b32_e32 v18, 0xff, v18
	v_cndmask_b32_e64 v17, v17, v18, s[12:13]
	s_waitcnt lgkmcnt(1)
	v_and_b32_e32 v18, 0xff, v19
	ds_bpermute_b32 v19, v12, v4
	v_cndmask_b32_e64 v17, v17, v18, s[10:11]
	s_waitcnt lgkmcnt(1)
	v_perm_b32 v18, v20, v17, s41
	v_cndmask_b32_e64 v17, v17, v18, s[8:9]
	ds_bpermute_b32 v18, v12, v5
	s_waitcnt lgkmcnt(1)
	v_lshlrev_b16_e32 v19, 8, v19
	v_or_b32_sdwa v19, v17, v19 dst_sel:DWORD dst_unused:UNUSED_PAD src0_sel:BYTE_0 src1_sel:DWORD
	v_and_b32_e32 v19, 0xffff, v19
	v_cndmask_b32_e64 v17, v17, v19, s[14:15]
	ds_bpermute_b32 v19, v12, v1
	s_waitcnt lgkmcnt(1)
	v_lshlrev_b16_e32 v18, 8, v18
	v_or_b32_sdwa v18, v17, v18 dst_sel:DWORD dst_unused:UNUSED_PAD src0_sel:BYTE_0 src1_sel:DWORD
	v_and_b32_e32 v18, 0xffff, v18
	v_and_or_b32 v18, v17, s42, v18
	v_cndmask_b32_e64 v17, v17, v18, s[12:13]
	s_waitcnt lgkmcnt(0)
	v_lshlrev_b16_e32 v18, 8, v19
	ds_bpermute_b32 v19, v12, v2
	v_or_b32_sdwa v18, v17, v18 dst_sel:DWORD dst_unused:UNUSED_PAD src0_sel:BYTE_0 src1_sel:DWORD
	v_and_b32_e32 v18, 0xffff, v18
	v_and_or_b32 v18, v17, s42, v18
	v_cndmask_b32_e64 v17, v17, v18, s[10:11]
	s_waitcnt lgkmcnt(0)
	v_lshlrev_b16_e32 v18, 8, v19
	ds_bpermute_b32 v19, v13, v4
	v_or_b32_sdwa v18, v17, v18 dst_sel:DWORD dst_unused:UNUSED_PAD src0_sel:BYTE_0 src1_sel:DWORD
	v_and_b32_e32 v18, 0xffff, v18
	v_and_or_b32 v18, v17, s42, v18
	v_cndmask_b32_e64 v17, v17, v18, s[8:9]
	ds_bpermute_b32 v18, v13, v5
	s_waitcnt lgkmcnt(1)
	v_perm_b32 v19, v19, v17, s43
	v_lshlrev_b32_e32 v19, 16, v19
	v_and_or_b32 v19, v17, s36, v19
	v_cndmask_b32_e64 v17, v17, v19, s[14:15]
	ds_bpermute_b32 v19, v13, v1
	s_waitcnt lgkmcnt(1)
	v_perm_b32 v18, v18, v17, s43
	v_lshlrev_b32_e32 v18, 16, v18
	;; [unrolled: 6-line block ×4, first 2 shown]
	v_and_or_b32 v18, v17, s36, v18
	v_cndmask_b32_e64 v17, v17, v18, s[8:9]
	ds_bpermute_b32 v5, v14, v5
	v_and_b32_sdwa v18, v17, s40 dst_sel:DWORD dst_unused:UNUSED_PAD src0_sel:WORD_1 src1_sel:DWORD
	s_waitcnt lgkmcnt(1)
	v_lshlrev_b16_e32 v4, 8, v4
	v_or_b32_sdwa v4, v18, v4 dst_sel:WORD_1 dst_unused:UNUSED_PAD src0_sel:DWORD src1_sel:DWORD
	v_and_or_b32 v4, v17, s36, v4
	v_cndmask_b32_e64 v4, v17, v4, s[14:15]
	ds_bpermute_b32 v1, v14, v1
	v_and_b32_sdwa v17, v4, s40 dst_sel:DWORD dst_unused:UNUSED_PAD src0_sel:WORD_1 src1_sel:DWORD
	s_waitcnt lgkmcnt(1)
	v_lshlrev_b16_e32 v5, 8, v5
	v_or_b32_sdwa v5, v17, v5 dst_sel:WORD_1 dst_unused:UNUSED_PAD src0_sel:DWORD src1_sel:DWORD
	;; [unrolled: 7-line block ×3, first 2 shown]
	v_and_or_b32 v1, v4, s36, v1
	v_cndmask_b32_e64 v1, v4, v1, s[10:11]
	v_and_b32_sdwa v4, v1, s40 dst_sel:DWORD dst_unused:UNUSED_PAD src0_sel:WORD_1 src1_sel:DWORD
	s_waitcnt lgkmcnt(0)
	v_lshlrev_b16_e32 v2, 8, v2
	v_or_b32_sdwa v2, v4, v2 dst_sel:WORD_1 dst_unused:UNUSED_PAD src0_sel:DWORD src1_sel:DWORD
	v_and_or_b32 v2, v1, s36, v2
	v_cndmask_b32_e64 v17, v1, v2, s[8:9]
	v_and_b32_e32 v1, 1, v17
	v_add_co_u32_e64 v2, s[30:31], -1, v1
	v_addc_co_u32_e64 v4, s[30:31], 0, -1, s[30:31]
	v_cmp_ne_u32_e64 s[30:31], 0, v1
	v_xor_b32_e32 v1, s31, v4
	v_lshlrev_b32_e32 v4, 30, v17
	v_xor_b32_e32 v2, s30, v2
	v_cmp_gt_i64_e64 s[30:31], 0, v[3:4]
	v_not_b32_e32 v4, v4
	v_ashrrev_i32_e32 v4, 31, v4
	v_and_b32_e32 v2, exec_lo, v2
	v_xor_b32_e32 v18, s31, v4
	v_xor_b32_e32 v4, s30, v4
	v_and_b32_e32 v2, v2, v4
	v_lshlrev_b32_e32 v4, 29, v17
	v_cmp_gt_i64_e64 s[30:31], 0, v[3:4]
	v_not_b32_e32 v4, v4
	v_and_b32_e32 v1, exec_hi, v1
	v_ashrrev_i32_e32 v4, 31, v4
	v_and_b32_e32 v1, v1, v18
	v_xor_b32_e32 v18, s31, v4
	v_xor_b32_e32 v4, s30, v4
	v_and_b32_e32 v2, v2, v4
	v_lshlrev_b32_e32 v4, 28, v17
	v_cmp_gt_i64_e64 s[30:31], 0, v[3:4]
	v_not_b32_e32 v4, v4
	v_ashrrev_i32_e32 v4, 31, v4
	v_and_b32_e32 v1, v1, v18
	v_xor_b32_e32 v18, s31, v4
	v_xor_b32_e32 v4, s30, v4
	v_and_b32_e32 v2, v2, v4
	v_lshlrev_b32_e32 v4, 27, v17
	v_cmp_gt_i64_e64 s[30:31], 0, v[3:4]
	v_not_b32_e32 v4, v4
	;; [unrolled: 8-line block ×4, first 2 shown]
	v_ashrrev_i32_e32 v4, 31, v4
	v_and_b32_e32 v1, v1, v18
	v_xor_b32_e32 v18, s31, v4
	v_xor_b32_e32 v4, s30, v4
	v_and_b32_e32 v1, v1, v18
	v_and_b32_e32 v18, v2, v4
	v_lshlrev_b32_e32 v4, 24, v17
	v_cmp_gt_i64_e64 s[30:31], 0, v[3:4]
	v_not_b32_e32 v2, v4
	v_ashrrev_i32_e32 v2, 31, v2
	v_xor_b32_e32 v4, s31, v2
	v_xor_b32_e32 v19, s30, v2
	v_and_b32_e32 v2, v1, v4
	v_and_b32_e32 v1, v18, v19
	v_mbcnt_lo_u32_b32 v4, v1, 0
	v_mbcnt_hi_u32_b32 v18, v2, v4
	v_cmp_ne_u64_e64 s[30:31], 0, v[1:2]
	v_mul_u32_u24_sdwa v5, v17, v16 dst_sel:DWORD dst_unused:UNUSED_PAD src0_sel:BYTE_0 src1_sel:DWORD
	v_cmp_eq_u32_e64 s[34:35], 0, v18
	s_and_b64 s[34:35], s[34:35], s[30:31]
	v_add_u32_e32 v19, v15, v5
	s_barrier
	ds_write2_b32 v6, v3, v3 offset0:3 offset1:4
	ds_write2_b32 v6, v3, v3 offset0:5 offset1:6
	s_waitcnt lgkmcnt(0)
	s_barrier
	; wave barrier
	s_and_saveexec_b64 s[30:31], s[34:35]
; %bb.3:                                ;   in Loop: Header=BB260_2 Depth=1
	v_bcnt_u32_b32 v1, v1, 0
	v_bcnt_u32_b32 v1, v2, v1
	ds_write_b32 v19, v1 offset:12
; %bb.4:                                ;   in Loop: Header=BB260_2 Depth=1
	s_or_b64 exec, exec, s[30:31]
	v_bfe_u32 v1, v17, 8, 8
	v_mul_u32_u24_e32 v5, 12, v1
	v_mad_u32_u24 v1, v1, 12, v15
	; wave barrier
	ds_read_b32 v21, v1 offset:12
	v_bfe_u32 v1, v17, 8, 1
	v_add_co_u32_e64 v2, s[30:31], -1, v1
	v_addc_co_u32_e64 v4, s[30:31], 0, -1, s[30:31]
	v_lshrrev_b32_e32 v20, 8, v17
	v_cmp_ne_u32_e64 s[30:31], 0, v1
	v_xor_b32_e32 v1, s31, v4
	v_lshlrev_b32_e32 v4, 30, v20
	v_xor_b32_e32 v2, s30, v2
	v_cmp_gt_i64_e64 s[30:31], 0, v[3:4]
	v_not_b32_e32 v4, v4
	v_ashrrev_i32_e32 v4, 31, v4
	v_and_b32_e32 v2, exec_lo, v2
	v_xor_b32_e32 v22, s31, v4
	v_xor_b32_e32 v4, s30, v4
	v_and_b32_e32 v2, v2, v4
	v_lshlrev_b32_e32 v4, 29, v20
	v_cmp_gt_i64_e64 s[30:31], 0, v[3:4]
	v_not_b32_e32 v4, v4
	v_and_b32_e32 v1, exec_hi, v1
	v_ashrrev_i32_e32 v4, 31, v4
	v_and_b32_e32 v1, v1, v22
	v_xor_b32_e32 v22, s31, v4
	v_xor_b32_e32 v4, s30, v4
	v_and_b32_e32 v2, v2, v4
	v_lshlrev_b32_e32 v4, 28, v20
	v_cmp_gt_i64_e64 s[30:31], 0, v[3:4]
	v_not_b32_e32 v4, v4
	v_ashrrev_i32_e32 v4, 31, v4
	v_and_b32_e32 v1, v1, v22
	v_xor_b32_e32 v22, s31, v4
	v_xor_b32_e32 v4, s30, v4
	v_and_b32_e32 v2, v2, v4
	v_lshlrev_b32_e32 v4, 27, v20
	v_cmp_gt_i64_e64 s[30:31], 0, v[3:4]
	v_not_b32_e32 v4, v4
	v_ashrrev_i32_e32 v4, 31, v4
	v_and_b32_e32 v1, v1, v22
	v_xor_b32_e32 v22, s31, v4
	v_xor_b32_e32 v4, s30, v4
	v_and_b32_e32 v2, v2, v4
	v_lshlrev_b32_e32 v4, 26, v20
	v_cmp_gt_i64_e64 s[30:31], 0, v[3:4]
	v_not_b32_e32 v4, v4
	v_ashrrev_i32_e32 v4, 31, v4
	v_and_b32_e32 v1, v1, v22
	v_xor_b32_e32 v22, s31, v4
	v_xor_b32_e32 v4, s30, v4
	v_and_b32_e32 v2, v2, v4
	v_lshlrev_b32_e32 v4, 25, v20
	v_cmp_gt_i64_e64 s[30:31], 0, v[3:4]
	v_not_b32_e32 v4, v4
	v_ashrrev_i32_e32 v4, 31, v4
	v_and_b32_e32 v1, v1, v22
	v_xor_b32_e32 v22, s31, v4
	v_xor_b32_e32 v4, s30, v4
	v_and_b32_e32 v1, v1, v22
	v_and_b32_e32 v22, v2, v4
	v_lshlrev_b32_e32 v4, 24, v20
	v_cmp_gt_i64_e64 s[30:31], 0, v[3:4]
	v_not_b32_e32 v2, v4
	v_ashrrev_i32_e32 v2, 31, v2
	v_xor_b32_e32 v4, s31, v2
	v_xor_b32_e32 v23, s30, v2
	v_and_b32_e32 v2, v1, v4
	v_and_b32_e32 v1, v22, v23
	v_mbcnt_lo_u32_b32 v4, v1, 0
	v_mbcnt_hi_u32_b32 v22, v2, v4
	v_cmp_ne_u64_e64 s[30:31], 0, v[1:2]
	v_cmp_eq_u32_e64 s[34:35], 0, v22
	s_and_b64 s[34:35], s[30:31], s[34:35]
	v_add_u32_e32 v23, v15, v5
	; wave barrier
	s_and_saveexec_b64 s[30:31], s[34:35]
	s_cbranch_execz .LBB260_6
; %bb.5:                                ;   in Loop: Header=BB260_2 Depth=1
	v_bcnt_u32_b32 v1, v1, 0
	v_bcnt_u32_b32 v1, v2, v1
	s_waitcnt lgkmcnt(0)
	v_add_u32_e32 v1, v21, v1
	ds_write_b32 v23, v1 offset:12
.LBB260_6:                              ;   in Loop: Header=BB260_2 Depth=1
	s_or_b64 exec, exec, s[30:31]
	v_bfe_u32 v1, v17, 16, 8
	v_mul_u32_u24_e32 v5, 12, v1
	v_mad_u32_u24 v1, v1, 12, v15
	; wave barrier
	ds_read_b32 v25, v1 offset:12
	v_bfe_u32 v1, v17, 16, 1
	v_add_co_u32_e64 v2, s[30:31], -1, v1
	v_addc_co_u32_e64 v4, s[30:31], 0, -1, s[30:31]
	v_lshrrev_b32_e32 v24, 16, v17
	v_cmp_ne_u32_e64 s[30:31], 0, v1
	v_xor_b32_e32 v1, s31, v4
	v_lshlrev_b32_e32 v4, 30, v24
	v_xor_b32_e32 v2, s30, v2
	v_cmp_gt_i64_e64 s[30:31], 0, v[3:4]
	v_not_b32_e32 v4, v4
	v_ashrrev_i32_e32 v4, 31, v4
	v_and_b32_e32 v2, exec_lo, v2
	v_xor_b32_e32 v26, s31, v4
	v_xor_b32_e32 v4, s30, v4
	v_and_b32_e32 v2, v2, v4
	v_lshlrev_b32_e32 v4, 29, v24
	v_cmp_gt_i64_e64 s[30:31], 0, v[3:4]
	v_not_b32_e32 v4, v4
	v_and_b32_e32 v1, exec_hi, v1
	v_ashrrev_i32_e32 v4, 31, v4
	v_and_b32_e32 v1, v1, v26
	v_xor_b32_e32 v26, s31, v4
	v_xor_b32_e32 v4, s30, v4
	v_and_b32_e32 v2, v2, v4
	v_lshlrev_b32_e32 v4, 28, v24
	v_cmp_gt_i64_e64 s[30:31], 0, v[3:4]
	v_not_b32_e32 v4, v4
	v_ashrrev_i32_e32 v4, 31, v4
	v_and_b32_e32 v1, v1, v26
	v_xor_b32_e32 v26, s31, v4
	v_xor_b32_e32 v4, s30, v4
	v_and_b32_e32 v2, v2, v4
	v_lshlrev_b32_e32 v4, 27, v24
	v_cmp_gt_i64_e64 s[30:31], 0, v[3:4]
	v_not_b32_e32 v4, v4
	;; [unrolled: 8-line block ×4, first 2 shown]
	v_ashrrev_i32_e32 v4, 31, v4
	v_and_b32_e32 v1, v1, v26
	v_xor_b32_e32 v26, s31, v4
	v_xor_b32_e32 v4, s30, v4
	v_and_b32_e32 v1, v1, v26
	v_and_b32_e32 v26, v2, v4
	v_lshlrev_b32_e32 v4, 24, v24
	v_cmp_gt_i64_e64 s[30:31], 0, v[3:4]
	v_not_b32_e32 v2, v4
	v_ashrrev_i32_e32 v2, 31, v2
	v_xor_b32_e32 v4, s31, v2
	v_xor_b32_e32 v27, s30, v2
	v_and_b32_e32 v2, v1, v4
	v_and_b32_e32 v1, v26, v27
	v_mbcnt_lo_u32_b32 v4, v1, 0
	v_mbcnt_hi_u32_b32 v26, v2, v4
	v_cmp_ne_u64_e64 s[30:31], 0, v[1:2]
	v_cmp_eq_u32_e64 s[34:35], 0, v26
	s_and_b64 s[34:35], s[30:31], s[34:35]
	v_add_u32_e32 v27, v15, v5
	; wave barrier
	s_and_saveexec_b64 s[30:31], s[34:35]
	s_cbranch_execz .LBB260_8
; %bb.7:                                ;   in Loop: Header=BB260_2 Depth=1
	v_bcnt_u32_b32 v1, v1, 0
	v_bcnt_u32_b32 v1, v2, v1
	s_waitcnt lgkmcnt(0)
	v_add_u32_e32 v1, v25, v1
	ds_write_b32 v27, v1 offset:12
.LBB260_8:                              ;   in Loop: Header=BB260_2 Depth=1
	s_or_b64 exec, exec, s[30:31]
	v_lshrrev_b32_e32 v28, 24, v17
	v_mad_u32_u24 v1, v28, 12, v15
	; wave barrier
	ds_read_b32 v29, v1 offset:12
	v_bfe_u32 v1, v17, 24, 1
	v_add_co_u32_e64 v2, s[30:31], -1, v1
	v_addc_co_u32_e64 v4, s[30:31], 0, -1, s[30:31]
	v_cmp_ne_u32_e64 s[30:31], 0, v1
	v_xor_b32_e32 v1, s31, v4
	v_lshlrev_b32_e32 v4, 30, v28
	v_xor_b32_e32 v2, s30, v2
	v_cmp_gt_i64_e64 s[30:31], 0, v[3:4]
	v_not_b32_e32 v4, v4
	v_ashrrev_i32_e32 v4, 31, v4
	v_and_b32_e32 v2, exec_lo, v2
	v_xor_b32_e32 v30, s31, v4
	v_xor_b32_e32 v4, s30, v4
	v_and_b32_e32 v2, v2, v4
	v_lshlrev_b32_e32 v4, 29, v28
	v_cmp_gt_i64_e64 s[30:31], 0, v[3:4]
	v_not_b32_e32 v4, v4
	v_and_b32_e32 v1, exec_hi, v1
	v_ashrrev_i32_e32 v4, 31, v4
	v_and_b32_e32 v1, v1, v30
	v_xor_b32_e32 v30, s31, v4
	v_xor_b32_e32 v4, s30, v4
	v_and_b32_e32 v2, v2, v4
	v_lshlrev_b32_e32 v4, 28, v28
	v_cmp_gt_i64_e64 s[30:31], 0, v[3:4]
	v_not_b32_e32 v4, v4
	v_ashrrev_i32_e32 v4, 31, v4
	v_and_b32_e32 v1, v1, v30
	v_xor_b32_e32 v30, s31, v4
	v_xor_b32_e32 v4, s30, v4
	v_and_b32_e32 v2, v2, v4
	v_lshlrev_b32_e32 v4, 27, v28
	v_cmp_gt_i64_e64 s[30:31], 0, v[3:4]
	v_not_b32_e32 v4, v4
	;; [unrolled: 8-line block ×4, first 2 shown]
	v_ashrrev_i32_e32 v4, 31, v4
	v_and_b32_e32 v1, v1, v30
	v_xor_b32_e32 v30, s31, v4
	v_xor_b32_e32 v4, s30, v4
	v_and_b32_e32 v1, v1, v30
	v_and_b32_e32 v30, v2, v4
	;; [unrolled: 1-line block ×3, first 2 shown]
	v_cmp_gt_i64_e64 s[30:31], 0, v[3:4]
	v_not_b32_e32 v2, v4
	v_ashrrev_i32_e32 v2, 31, v2
	v_xor_b32_e32 v4, s31, v2
	v_xor_b32_e32 v31, s30, v2
	v_and_b32_e32 v2, v1, v4
	v_and_b32_e32 v1, v30, v31
	v_mbcnt_lo_u32_b32 v4, v1, 0
	v_mbcnt_hi_u32_b32 v30, v2, v4
	v_cmp_ne_u64_e64 s[30:31], 0, v[1:2]
	v_mul_u32_u24_e32 v5, 12, v28
	v_cmp_eq_u32_e64 s[34:35], 0, v30
	s_and_b64 s[34:35], s[30:31], s[34:35]
	v_add_u32_e32 v31, v15, v5
	; wave barrier
	s_and_saveexec_b64 s[30:31], s[34:35]
	s_cbranch_execz .LBB260_10
; %bb.9:                                ;   in Loop: Header=BB260_2 Depth=1
	v_bcnt_u32_b32 v1, v1, 0
	v_bcnt_u32_b32 v1, v2, v1
	s_waitcnt lgkmcnt(0)
	v_add_u32_e32 v1, v29, v1
	ds_write_b32 v31, v1 offset:12
.LBB260_10:                             ;   in Loop: Header=BB260_2 Depth=1
	s_or_b64 exec, exec, s[30:31]
	; wave barrier
	s_waitcnt lgkmcnt(0)
	s_barrier
	ds_read2_b32 v[4:5], v6 offset0:3 offset1:4
	ds_read2_b32 v[1:2], v6 offset0:5 offset1:6
	s_waitcnt lgkmcnt(1)
	v_add_u32_e32 v32, v5, v4
	s_waitcnt lgkmcnt(0)
	v_add3_u32 v2, v32, v1, v2
	s_nop 1
	v_mov_b32_dpp v32, v2 row_shr:1 row_mask:0xf bank_mask:0xf
	v_cndmask_b32_e64 v32, v32, 0, s[16:17]
	v_add_u32_e32 v2, v32, v2
	s_nop 1
	v_mov_b32_dpp v32, v2 row_shr:2 row_mask:0xf bank_mask:0xf
	v_cndmask_b32_e64 v32, 0, v32, s[18:19]
	v_add_u32_e32 v2, v2, v32
	;; [unrolled: 4-line block ×4, first 2 shown]
	s_nop 1
	v_mov_b32_dpp v32, v2 row_bcast:15 row_mask:0xf bank_mask:0xf
	v_cndmask_b32_e64 v32, v32, 0, s[24:25]
	v_add_u32_e32 v2, v2, v32
	s_nop 1
	v_mov_b32_dpp v32, v2 row_bcast:31 row_mask:0xf bank_mask:0xf
	v_cndmask_b32_e64 v32, 0, v32, s[4:5]
	v_add_u32_e32 v2, v2, v32
	s_and_saveexec_b64 s[30:31], s[28:29]
; %bb.11:                               ;   in Loop: Header=BB260_2 Depth=1
	ds_write_b32 v7, v2
; %bb.12:                               ;   in Loop: Header=BB260_2 Depth=1
	s_or_b64 exec, exec, s[30:31]
	s_waitcnt lgkmcnt(0)
	s_barrier
	s_and_saveexec_b64 s[30:31], vcc
	s_cbranch_execz .LBB260_14
; %bb.13:                               ;   in Loop: Header=BB260_2 Depth=1
	ds_read_b32 v32, v8
	s_waitcnt lgkmcnt(0)
	s_nop 0
	v_mov_b32_dpp v33, v32 row_shr:1 row_mask:0xf bank_mask:0xf
	v_cndmask_b32_e64 v33, v33, 0, s[14:15]
	v_add_u32_e32 v32, v33, v32
	s_nop 1
	v_mov_b32_dpp v33, v32 row_shr:2 row_mask:0xf bank_mask:0xf
	v_cndmask_b32_e64 v33, 0, v33, s[26:27]
	v_add_u32_e32 v32, v32, v33
	ds_write_b32 v8, v32
.LBB260_14:                             ;   in Loop: Header=BB260_2 Depth=1
	s_or_b64 exec, exec, s[30:31]
	v_mov_b32_e32 v32, 0
	s_waitcnt lgkmcnt(0)
	s_barrier
	s_and_saveexec_b64 s[30:31], s[0:1]
	s_cbranch_execz .LBB260_1
; %bb.15:                               ;   in Loop: Header=BB260_2 Depth=1
	ds_read_b32 v32, v9
	s_branch .LBB260_1
.LBB260_16:
	s_add_u32 s0, s38, s33
	s_addc_u32 s1, s39, 0
	global_store_byte v0, v4, s[0:1]
	global_store_byte v0, v5, s[0:1] offset:192
	global_store_byte v0, v1, s[0:1] offset:384
	;; [unrolled: 1-line block ×3, first 2 shown]
	s_endpgm
	.section	.rodata,"a",@progbits
	.p2align	6, 0x0
	.amdhsa_kernel _Z16sort_keys_kernelI22helper_blocked_stripedaLj192ELj4ELj10EEvPKT0_PS1_
		.amdhsa_group_segment_fixed_size 3088
		.amdhsa_private_segment_fixed_size 0
		.amdhsa_kernarg_size 272
		.amdhsa_user_sgpr_count 6
		.amdhsa_user_sgpr_private_segment_buffer 1
		.amdhsa_user_sgpr_dispatch_ptr 0
		.amdhsa_user_sgpr_queue_ptr 0
		.amdhsa_user_sgpr_kernarg_segment_ptr 1
		.amdhsa_user_sgpr_dispatch_id 0
		.amdhsa_user_sgpr_flat_scratch_init 0
		.amdhsa_user_sgpr_private_segment_size 0
		.amdhsa_uses_dynamic_stack 0
		.amdhsa_system_sgpr_private_segment_wavefront_offset 0
		.amdhsa_system_sgpr_workgroup_id_x 1
		.amdhsa_system_sgpr_workgroup_id_y 0
		.amdhsa_system_sgpr_workgroup_id_z 0
		.amdhsa_system_sgpr_workgroup_info 0
		.amdhsa_system_vgpr_workitem_id 2
		.amdhsa_next_free_vgpr 34
		.amdhsa_next_free_sgpr 44
		.amdhsa_reserve_vcc 1
		.amdhsa_reserve_flat_scratch 0
		.amdhsa_float_round_mode_32 0
		.amdhsa_float_round_mode_16_64 0
		.amdhsa_float_denorm_mode_32 3
		.amdhsa_float_denorm_mode_16_64 3
		.amdhsa_dx10_clamp 1
		.amdhsa_ieee_mode 1
		.amdhsa_fp16_overflow 0
		.amdhsa_exception_fp_ieee_invalid_op 0
		.amdhsa_exception_fp_denorm_src 0
		.amdhsa_exception_fp_ieee_div_zero 0
		.amdhsa_exception_fp_ieee_overflow 0
		.amdhsa_exception_fp_ieee_underflow 0
		.amdhsa_exception_fp_ieee_inexact 0
		.amdhsa_exception_int_div_zero 0
	.end_amdhsa_kernel
	.section	.text._Z16sort_keys_kernelI22helper_blocked_stripedaLj192ELj4ELj10EEvPKT0_PS1_,"axG",@progbits,_Z16sort_keys_kernelI22helper_blocked_stripedaLj192ELj4ELj10EEvPKT0_PS1_,comdat
.Lfunc_end260:
	.size	_Z16sort_keys_kernelI22helper_blocked_stripedaLj192ELj4ELj10EEvPKT0_PS1_, .Lfunc_end260-_Z16sort_keys_kernelI22helper_blocked_stripedaLj192ELj4ELj10EEvPKT0_PS1_
                                        ; -- End function
	.set _Z16sort_keys_kernelI22helper_blocked_stripedaLj192ELj4ELj10EEvPKT0_PS1_.num_vgpr, 34
	.set _Z16sort_keys_kernelI22helper_blocked_stripedaLj192ELj4ELj10EEvPKT0_PS1_.num_agpr, 0
	.set _Z16sort_keys_kernelI22helper_blocked_stripedaLj192ELj4ELj10EEvPKT0_PS1_.numbered_sgpr, 44
	.set _Z16sort_keys_kernelI22helper_blocked_stripedaLj192ELj4ELj10EEvPKT0_PS1_.num_named_barrier, 0
	.set _Z16sort_keys_kernelI22helper_blocked_stripedaLj192ELj4ELj10EEvPKT0_PS1_.private_seg_size, 0
	.set _Z16sort_keys_kernelI22helper_blocked_stripedaLj192ELj4ELj10EEvPKT0_PS1_.uses_vcc, 1
	.set _Z16sort_keys_kernelI22helper_blocked_stripedaLj192ELj4ELj10EEvPKT0_PS1_.uses_flat_scratch, 0
	.set _Z16sort_keys_kernelI22helper_blocked_stripedaLj192ELj4ELj10EEvPKT0_PS1_.has_dyn_sized_stack, 0
	.set _Z16sort_keys_kernelI22helper_blocked_stripedaLj192ELj4ELj10EEvPKT0_PS1_.has_recursion, 0
	.set _Z16sort_keys_kernelI22helper_blocked_stripedaLj192ELj4ELj10EEvPKT0_PS1_.has_indirect_call, 0
	.section	.AMDGPU.csdata,"",@progbits
; Kernel info:
; codeLenInByte = 3420
; TotalNumSgprs: 48
; NumVgprs: 34
; ScratchSize: 0
; MemoryBound: 0
; FloatMode: 240
; IeeeMode: 1
; LDSByteSize: 3088 bytes/workgroup (compile time only)
; SGPRBlocks: 5
; VGPRBlocks: 8
; NumSGPRsForWavesPerEU: 48
; NumVGPRsForWavesPerEU: 34
; Occupancy: 7
; WaveLimiterHint : 1
; COMPUTE_PGM_RSRC2:SCRATCH_EN: 0
; COMPUTE_PGM_RSRC2:USER_SGPR: 6
; COMPUTE_PGM_RSRC2:TRAP_HANDLER: 0
; COMPUTE_PGM_RSRC2:TGID_X_EN: 1
; COMPUTE_PGM_RSRC2:TGID_Y_EN: 0
; COMPUTE_PGM_RSRC2:TGID_Z_EN: 0
; COMPUTE_PGM_RSRC2:TIDIG_COMP_CNT: 2
	.section	.text._Z17sort_pairs_kernelI22helper_blocked_stripedaLj192ELj4ELj10EEvPKT0_PS1_,"axG",@progbits,_Z17sort_pairs_kernelI22helper_blocked_stripedaLj192ELj4ELj10EEvPKT0_PS1_,comdat
	.protected	_Z17sort_pairs_kernelI22helper_blocked_stripedaLj192ELj4ELj10EEvPKT0_PS1_ ; -- Begin function _Z17sort_pairs_kernelI22helper_blocked_stripedaLj192ELj4ELj10EEvPKT0_PS1_
	.globl	_Z17sort_pairs_kernelI22helper_blocked_stripedaLj192ELj4ELj10EEvPKT0_PS1_
	.p2align	8
	.type	_Z17sort_pairs_kernelI22helper_blocked_stripedaLj192ELj4ELj10EEvPKT0_PS1_,@function
_Z17sort_pairs_kernelI22helper_blocked_stripedaLj192ELj4ELj10EEvPKT0_PS1_: ; @_Z17sort_pairs_kernelI22helper_blocked_stripedaLj192ELj4ELj10EEvPKT0_PS1_
; %bb.0:
	s_load_dwordx4 s[36:39], s[4:5], 0x0
	s_load_dword s30, s[4:5], 0x1c
	s_mul_i32 s33, s6, 0x300
	v_lshlrev_b32_e32 v3, 2, v0
	v_mbcnt_lo_u32_b32 v5, -1, 0
	s_waitcnt lgkmcnt(0)
	s_add_u32 s0, s36, s33
	s_addc_u32 s1, s37, 0
	global_load_dword v4, v3, s[0:1]
	s_lshr_b32 s31, s30, 16
	s_and_b32 s30, s30, 0xffff
	v_mad_u32_u24 v1, v2, s31, v1
	v_mad_u64_u32 v[1:2], s[30:31], v1, s30, v[0:1]
	v_mbcnt_hi_u32_b32 v5, -1, v5
	v_and_b32_e32 v7, 0xc0, v0
	v_and_b32_e32 v12, 64, v5
	v_subrev_co_u32_e64 v16, s[8:9], 1, v5
	v_lshrrev_b32_e32 v10, 2, v5
	v_and_b32_e32 v13, 15, v5
	v_min_u32_e32 v15, 0x80, v7
	v_cmp_lt_i32_e64 s[26:27], v16, v12
	v_lshrrev_b32_e32 v1, 4, v1
	v_and_b32_e32 v11, 3, v5
	v_and_b32_e32 v14, 16, v5
	v_cmp_lt_u32_e64 s[6:7], 31, v5
	v_add_u32_e32 v18, 48, v10
	v_cmp_eq_u32_e64 s[16:17], 0, v13
	v_cmp_lt_u32_e64 s[18:19], 1, v13
	v_cmp_lt_u32_e64 s[20:21], 3, v13
	;; [unrolled: 1-line block ×3, first 2 shown]
	v_or_b32_e32 v13, 63, v15
	v_cndmask_b32_e64 v5, v16, v5, s[26:27]
	v_and_b32_e32 v15, 0xffffffc, v1
	v_cmp_eq_u32_e64 s[24:25], 0, v14
	v_and_or_b32 v14, v18, 63, v12
	s_movk_i32 s34, 0x100
	v_lshrrev_b32_e32 v8, 4, v0
	v_or_b32_e32 v17, v10, v12
	v_mul_u32_u24_e32 v9, 3, v0
	v_and_b32_e32 v7, 12, v8
	v_lshlrev_b32_e32 v10, 2, v17
	s_movk_i32 s36, 0xff
	s_mov_b32 s37, 0xffff
	s_mov_b32 s40, 10
	;; [unrolled: 1-line block ×5, first 2 shown]
	v_mov_b32_e32 v3, 0
	s_mov_b32 s44, 0x7060004
	s_mov_b32 s45, 0xc0c0006
	;; [unrolled: 1-line block ×3, first 2 shown]
	v_lshlrev_b32_e32 v6, 4, v0
	v_cmp_gt_u32_e64 s[0:1], 3, v0
	v_cmp_lt_u32_e64 s[2:3], 63, v0
	v_cmp_eq_u32_e64 s[4:5], 0, v0
	v_add_u32_e32 v8, v0, v9
	v_cmp_eq_u32_e64 s[10:11], 3, v11
	v_cmp_eq_u32_e64 s[12:13], 2, v11
	;; [unrolled: 1-line block ×3, first 2 shown]
	v_cmp_eq_u32_e32 vcc, 0, v11
	v_cmp_lt_u32_e64 s[26:27], 1, v11
	v_add_u32_e32 v9, -4, v7
	v_cmp_eq_u32_e64 s[28:29], v0, v13
	v_lshlrev_b32_e32 v11, 2, v5
	v_add_u32_e32 v12, 64, v10
	v_or_b32_e32 v13, 0x80, v10
	v_lshlrev_b32_e32 v14, 2, v14
	s_waitcnt vmcnt(0)
	v_lshrrev_b32_e32 v2, 16, v4
	v_and_b32_e32 v1, 0xffffff00, v4
	v_add_u16_e32 v16, 1, v4
	v_or_b32_sdwa v1, v1, v16 dst_sel:DWORD dst_unused:UNUSED_PAD src0_sel:DWORD src1_sel:BYTE_0
	v_and_b32_e32 v16, 0xffffff00, v2
	v_add_u16_e32 v18, 1, v2
	v_or_b32_sdwa v16, v16, v18 dst_sel:DWORD dst_unused:UNUSED_PAD src0_sel:DWORD src1_sel:BYTE_0
	v_add_u16_e32 v1, 0x100, v1
	v_add_u16_sdwa v16, v16, s34 dst_sel:WORD_1 dst_unused:UNUSED_PAD src0_sel:DWORD src1_sel:DWORD
	v_lshrrev_b32_e32 v5, 24, v4
	v_lshrrev_b32_e32 v17, 8, v4
	v_or_b32_e32 v1, v1, v16
	v_mov_b32_e32 v16, 12
	s_branch .LBB261_2
.LBB261_1:                              ;   in Loop: Header=BB261_2 Depth=1
	s_or_b64 exec, exec, s[30:31]
	v_cndmask_b32_sdwa v18, v3, v18, vcc dst_sel:DWORD dst_unused:UNUSED_PAD src0_sel:DWORD src1_sel:BYTE_0
	v_and_b32_e32 v19, 0xff, v19
	v_cndmask_b32_e64 v18, v18, v19, s[14:15]
	v_and_b32_e32 v19, 0xff, v36
	v_cndmask_b32_e64 v18, v18, v19, s[12:13]
	v_perm_b32 v19, v37, v18, s41
	v_cndmask_b32_e64 v18, v18, v19, s[10:11]
	v_perm_b32 v19, v18, v32, s44
	v_cndmask_b32_e32 v18, v18, v19, vcc
	v_perm_b32 v19, v18, v33, s44
	v_cndmask_b32_e64 v18, v18, v19, s[14:15]
	v_perm_b32 v19, v18, v34, s44
	v_cndmask_b32_e64 v18, v18, v19, s[12:13]
	;; [unrolled: 2-line block ×3, first 2 shown]
	v_perm_b32 v19, v31, v18, s43
	v_lshlrev_b32_e32 v19, 16, v19
	v_and_or_b32 v19, v18, s37, v19
	v_cndmask_b32_e32 v18, v18, v19, vcc
	v_perm_b32 v19, v28, v18, s43
	v_lshlrev_b32_e32 v19, 16, v19
	v_and_or_b32 v19, v18, s37, v19
	v_cndmask_b32_e64 v18, v18, v19, s[14:15]
	v_perm_b32 v19, v29, v18, s43
	v_lshlrev_b32_e32 v19, 16, v19
	v_and_or_b32 v19, v18, s37, v19
	v_cndmask_b32_e64 v18, v18, v19, s[12:13]
	;; [unrolled: 4-line block ×3, first 2 shown]
	v_perm_b32 v19, v18, v25, s45
	s_waitcnt lgkmcnt(0)
	v_add_u32_e32 v5, v48, v5
	v_lshlrev_b32_e32 v19, 16, v19
	ds_bpermute_b32 v5, v11, v5
	v_and_or_b32 v19, v18, s37, v19
	v_cndmask_b32_e32 v18, v18, v19, vcc
	v_perm_b32 v19, v18, v22, s45
	v_lshlrev_b32_e32 v19, 16, v19
	v_and_or_b32 v19, v18, s37, v19
	s_waitcnt lgkmcnt(0)
	v_cndmask_b32_e64 v5, v5, v48, s[8:9]
	v_cndmask_b32_e64 v18, v18, v19, s[14:15]
	;; [unrolled: 1-line block ×3, first 2 shown]
	v_perm_b32 v19, v18, v23, s45
	v_add_u32_e32 v1, v5, v1
	v_lshlrev_b32_e32 v19, 16, v19
	v_add_u32_e32 v2, v1, v2
	v_and_or_b32 v19, v18, s37, v19
	v_add_u32_e32 v4, v2, v4
	v_cndmask_b32_e64 v18, v18, v19, s[12:13]
	ds_write2_b32 v6, v5, v1 offset0:3 offset1:4
	ds_write2_b32 v6, v2, v4 offset0:5 offset1:6
	s_waitcnt lgkmcnt(0)
	s_barrier
	ds_read_b32 v1, v21 offset:12
	ds_read_b32 v2, v39 offset:12
	ds_read_b32 v4, v43 offset:12
	ds_read_b32 v5, v47 offset:12
	v_perm_b32 v19, v18, v24, s45
	v_lshlrev_b32_e32 v19, 16, v19
	v_and_or_b32 v19, v18, s37, v19
	v_cndmask_b32_e64 v18, v18, v19, s[10:11]
	v_lshrrev_b32_e32 v19, 8, v18
	s_waitcnt lgkmcnt(3)
	v_add_u32_e32 v1, v1, v20
	s_waitcnt lgkmcnt(2)
	v_add3_u32 v2, v38, v27, v2
	s_waitcnt lgkmcnt(1)
	v_add3_u32 v4, v42, v41, v4
	;; [unrolled: 2-line block ×3, first 2 shown]
	v_lshrrev_b32_e32 v22, 24, v18
	s_barrier
	ds_write_b8 v1, v17
	ds_write_b8 v2, v26
	;; [unrolled: 1-line block ×4, first 2 shown]
	s_waitcnt lgkmcnt(0)
	s_barrier
	ds_read_u8 v17, v0
	ds_read_u8 v23, v0 offset:192
	ds_read_u8 v24, v0 offset:384
	;; [unrolled: 1-line block ×3, first 2 shown]
	s_waitcnt lgkmcnt(0)
	s_barrier
	ds_write_b8 v1, v18
	ds_write_b8 v2, v19
	ds_write_b8_d16_hi v4, v18
	ds_write_b8 v5, v22
	s_waitcnt lgkmcnt(0)
	s_barrier
	ds_read_u8 v18, v0
	ds_read_u8 v19, v0 offset:192
	ds_read_u8 v20, v0 offset:384
	;; [unrolled: 1-line block ×3, first 2 shown]
	s_add_i32 s40, s40, -1
	v_xor_b32_e32 v4, 0xffffff80, v17
	s_waitcnt lgkmcnt(2)
	v_perm_b32 v1, v18, v19, s46
	v_xor_b32_e32 v17, 0xffffff80, v23
	s_waitcnt lgkmcnt(0)
	v_perm_b32 v2, v20, v21, s46
	v_lshl_or_b32 v1, v2, 16, v1
	v_xor_b32_e32 v2, 0xffffff80, v24
	s_cmp_eq_u32 s40, 0
	v_xor_b32_e32 v5, 0xffffff80, v25
	s_cbranch_scc1 .LBB261_16
.LBB261_2:                              ; =>This Inner Loop Header: Depth=1
	v_xor_b32_e32 v4, 0x80, v4
	v_xor_b32_e32 v17, 0x80, v17
	v_and_b32_e32 v4, 0xff, v4
	ds_bpermute_b32 v18, v10, v4
	v_xor_b32_e32 v2, 0x80, v2
	v_and_b32_e32 v17, 0xff, v17
	ds_bpermute_b32 v19, v10, v17
	v_and_b32_e32 v2, 0xff, v2
	ds_bpermute_b32 v20, v10, v2
	v_xor_b32_e32 v5, 0x80, v5
	v_and_b32_e32 v5, 0xff, v5
	s_waitcnt lgkmcnt(2)
	v_and_b32_e32 v18, 0xff, v18
	ds_bpermute_b32 v21, v10, v5
	v_cndmask_b32_e32 v18, 0, v18, vcc
	s_waitcnt lgkmcnt(2)
	v_and_b32_e32 v19, 0xff, v19
	v_cndmask_b32_e64 v18, v18, v19, s[14:15]
	s_waitcnt lgkmcnt(1)
	v_and_b32_e32 v19, 0xff, v20
	ds_bpermute_b32 v20, v12, v4
	v_cndmask_b32_e64 v18, v18, v19, s[12:13]
	s_waitcnt lgkmcnt(1)
	v_perm_b32 v19, v21, v18, s41
	v_cndmask_b32_e64 v18, v18, v19, s[10:11]
	ds_bpermute_b32 v19, v12, v17
	s_waitcnt lgkmcnt(1)
	v_lshlrev_b16_e32 v20, 8, v20
	v_or_b32_sdwa v20, v18, v20 dst_sel:DWORD dst_unused:UNUSED_PAD src0_sel:BYTE_0 src1_sel:DWORD
	v_and_b32_e32 v20, 0xffff, v20
	v_cndmask_b32_e32 v18, v18, v20, vcc
	ds_bpermute_b32 v20, v12, v2
	s_waitcnt lgkmcnt(1)
	v_lshlrev_b16_e32 v19, 8, v19
	v_or_b32_sdwa v19, v18, v19 dst_sel:DWORD dst_unused:UNUSED_PAD src0_sel:BYTE_0 src1_sel:DWORD
	v_and_b32_e32 v19, 0xffff, v19
	v_and_or_b32 v19, v18, s42, v19
	v_cndmask_b32_e64 v18, v18, v19, s[14:15]
	s_waitcnt lgkmcnt(0)
	v_lshlrev_b16_e32 v19, 8, v20
	ds_bpermute_b32 v20, v12, v5
	v_or_b32_sdwa v19, v18, v19 dst_sel:DWORD dst_unused:UNUSED_PAD src0_sel:BYTE_0 src1_sel:DWORD
	v_and_b32_e32 v19, 0xffff, v19
	v_and_or_b32 v19, v18, s42, v19
	v_cndmask_b32_e64 v18, v18, v19, s[12:13]
	s_waitcnt lgkmcnt(0)
	v_lshlrev_b16_e32 v19, 8, v20
	ds_bpermute_b32 v20, v13, v4
	v_or_b32_sdwa v19, v18, v19 dst_sel:DWORD dst_unused:UNUSED_PAD src0_sel:BYTE_0 src1_sel:DWORD
	v_and_b32_e32 v19, 0xffff, v19
	v_and_or_b32 v19, v18, s42, v19
	v_cndmask_b32_e64 v18, v18, v19, s[10:11]
	ds_bpermute_b32 v19, v13, v17
	s_waitcnt lgkmcnt(1)
	v_perm_b32 v20, v20, v18, s43
	v_lshlrev_b32_e32 v20, 16, v20
	v_and_or_b32 v20, v18, s37, v20
	v_cndmask_b32_e32 v18, v18, v20, vcc
	ds_bpermute_b32 v20, v13, v2
	s_waitcnt lgkmcnt(1)
	v_perm_b32 v19, v19, v18, s43
	v_lshlrev_b32_e32 v19, 16, v19
	v_and_or_b32 v19, v18, s37, v19
	v_cndmask_b32_e64 v18, v18, v19, s[14:15]
	ds_bpermute_b32 v19, v13, v5
	s_waitcnt lgkmcnt(1)
	v_perm_b32 v20, v20, v18, s43
	v_lshlrev_b32_e32 v20, 16, v20
	v_and_or_b32 v20, v18, s37, v20
	v_cndmask_b32_e64 v18, v18, v20, s[12:13]
	;; [unrolled: 6-line block ×3, first 2 shown]
	ds_bpermute_b32 v17, v14, v17
	v_and_b32_sdwa v19, v18, s36 dst_sel:DWORD dst_unused:UNUSED_PAD src0_sel:WORD_1 src1_sel:DWORD
	s_waitcnt lgkmcnt(1)
	v_lshlrev_b16_e32 v4, 8, v4
	v_or_b32_sdwa v4, v19, v4 dst_sel:WORD_1 dst_unused:UNUSED_PAD src0_sel:DWORD src1_sel:DWORD
	v_and_or_b32 v4, v18, s37, v4
	v_cndmask_b32_e32 v4, v18, v4, vcc
	ds_bpermute_b32 v2, v14, v2
	v_and_b32_sdwa v18, v4, s36 dst_sel:DWORD dst_unused:UNUSED_PAD src0_sel:WORD_1 src1_sel:DWORD
	s_waitcnt lgkmcnt(1)
	v_lshlrev_b16_e32 v17, 8, v17
	v_or_b32_sdwa v17, v18, v17 dst_sel:WORD_1 dst_unused:UNUSED_PAD src0_sel:DWORD src1_sel:DWORD
	v_and_or_b32 v17, v4, s37, v17
	v_cndmask_b32_e64 v4, v4, v17, s[14:15]
	ds_bpermute_b32 v5, v14, v5
	v_and_b32_sdwa v17, v4, s36 dst_sel:DWORD dst_unused:UNUSED_PAD src0_sel:WORD_1 src1_sel:DWORD
	s_waitcnt lgkmcnt(1)
	v_lshlrev_b16_e32 v2, 8, v2
	v_or_b32_sdwa v2, v17, v2 dst_sel:WORD_1 dst_unused:UNUSED_PAD src0_sel:DWORD src1_sel:DWORD
	v_and_or_b32 v2, v4, s37, v2
	v_cndmask_b32_e64 v2, v4, v2, s[12:13]
	v_and_b32_sdwa v4, v2, s36 dst_sel:DWORD dst_unused:UNUSED_PAD src0_sel:WORD_1 src1_sel:DWORD
	s_waitcnt lgkmcnt(0)
	v_lshlrev_b16_e32 v5, 8, v5
	v_or_b32_sdwa v4, v4, v5 dst_sel:WORD_1 dst_unused:UNUSED_PAD src0_sel:DWORD src1_sel:DWORD
	v_and_or_b32 v4, v2, s37, v4
	v_cndmask_b32_e64 v17, v2, v4, s[10:11]
	v_and_b32_e32 v5, 0xff, v1
	v_bfe_u32 v20, v1, 8, 8
	v_bfe_u32 v21, v1, 16, 8
	v_lshrrev_b32_e32 v24, 24, v1
	v_and_b32_e32 v1, 1, v17
	v_add_co_u32_e64 v2, s[30:31], -1, v1
	v_addc_co_u32_e64 v4, s[30:31], 0, -1, s[30:31]
	v_cmp_ne_u32_e64 s[30:31], 0, v1
	v_xor_b32_e32 v1, s31, v4
	v_lshlrev_b32_e32 v4, 30, v17
	v_xor_b32_e32 v2, s30, v2
	v_cmp_gt_i64_e64 s[30:31], 0, v[3:4]
	v_not_b32_e32 v4, v4
	v_ashrrev_i32_e32 v4, 31, v4
	v_and_b32_e32 v2, exec_lo, v2
	v_xor_b32_e32 v22, s31, v4
	v_xor_b32_e32 v4, s30, v4
	v_and_b32_e32 v2, v2, v4
	v_lshlrev_b32_e32 v4, 29, v17
	v_cmp_gt_i64_e64 s[30:31], 0, v[3:4]
	v_not_b32_e32 v4, v4
	v_and_b32_e32 v1, exec_hi, v1
	v_ashrrev_i32_e32 v4, 31, v4
	v_and_b32_e32 v1, v1, v22
	v_xor_b32_e32 v22, s31, v4
	v_xor_b32_e32 v4, s30, v4
	v_and_b32_e32 v2, v2, v4
	v_lshlrev_b32_e32 v4, 28, v17
	v_cmp_gt_i64_e64 s[30:31], 0, v[3:4]
	v_not_b32_e32 v4, v4
	v_ashrrev_i32_e32 v4, 31, v4
	v_and_b32_e32 v1, v1, v22
	v_xor_b32_e32 v22, s31, v4
	v_xor_b32_e32 v4, s30, v4
	v_and_b32_e32 v2, v2, v4
	v_lshlrev_b32_e32 v4, 27, v17
	v_cmp_gt_i64_e64 s[30:31], 0, v[3:4]
	v_not_b32_e32 v4, v4
	;; [unrolled: 8-line block ×4, first 2 shown]
	v_ashrrev_i32_e32 v4, 31, v4
	v_and_b32_e32 v1, v1, v22
	v_xor_b32_e32 v22, s31, v4
	v_xor_b32_e32 v4, s30, v4
	v_and_b32_e32 v1, v1, v22
	v_and_b32_e32 v22, v2, v4
	v_lshlrev_b32_e32 v4, 24, v17
	v_cmp_gt_i64_e64 s[30:31], 0, v[3:4]
	v_not_b32_e32 v2, v4
	v_ashrrev_i32_e32 v2, 31, v2
	v_xor_b32_e32 v4, s31, v2
	v_xor_b32_e32 v23, s30, v2
	ds_bpermute_b32 v18, v10, v5
	ds_bpermute_b32 v19, v10, v20
	v_and_b32_e32 v2, v1, v4
	v_and_b32_e32 v1, v22, v23
	ds_bpermute_b32 v32, v12, v5
	ds_bpermute_b32 v31, v13, v5
	;; [unrolled: 1-line block ×14, first 2 shown]
	v_mbcnt_lo_u32_b32 v4, v1, 0
	v_mbcnt_hi_u32_b32 v20, v2, v4
	v_cmp_ne_u64_e64 s[30:31], 0, v[1:2]
	v_cmp_eq_u32_e64 s[34:35], 0, v20
	v_mul_u32_u24_sdwa v4, v17, v16 dst_sel:DWORD dst_unused:UNUSED_PAD src0_sel:BYTE_0 src1_sel:DWORD
	s_and_b64 s[34:35], s[30:31], s[34:35]
	v_add_u32_e32 v21, v15, v4
	s_waitcnt lgkmcnt(0)
	s_barrier
	ds_write2_b32 v6, v3, v3 offset0:3 offset1:4
	ds_write2_b32 v6, v3, v3 offset0:5 offset1:6
	s_waitcnt lgkmcnt(0)
	s_barrier
	; wave barrier
	s_and_saveexec_b64 s[30:31], s[34:35]
; %bb.3:                                ;   in Loop: Header=BB261_2 Depth=1
	v_bcnt_u32_b32 v1, v1, 0
	v_bcnt_u32_b32 v1, v2, v1
	ds_write_b32 v21, v1 offset:12
; %bb.4:                                ;   in Loop: Header=BB261_2 Depth=1
	s_or_b64 exec, exec, s[30:31]
	v_bfe_u32 v1, v17, 8, 8
	v_mul_u32_u24_e32 v5, 12, v1
	v_mad_u32_u24 v1, v1, 12, v15
	; wave barrier
	ds_read_b32 v27, v1 offset:12
	v_bfe_u32 v1, v17, 8, 1
	v_add_co_u32_e64 v2, s[30:31], -1, v1
	v_addc_co_u32_e64 v4, s[30:31], 0, -1, s[30:31]
	v_lshrrev_b32_e32 v26, 8, v17
	v_cmp_ne_u32_e64 s[30:31], 0, v1
	v_xor_b32_e32 v1, s31, v4
	v_lshlrev_b32_e32 v4, 30, v26
	v_xor_b32_e32 v2, s30, v2
	v_cmp_gt_i64_e64 s[30:31], 0, v[3:4]
	v_not_b32_e32 v4, v4
	v_ashrrev_i32_e32 v4, 31, v4
	v_and_b32_e32 v2, exec_lo, v2
	v_xor_b32_e32 v38, s31, v4
	v_xor_b32_e32 v4, s30, v4
	v_and_b32_e32 v2, v2, v4
	v_lshlrev_b32_e32 v4, 29, v26
	v_cmp_gt_i64_e64 s[30:31], 0, v[3:4]
	v_not_b32_e32 v4, v4
	v_and_b32_e32 v1, exec_hi, v1
	v_ashrrev_i32_e32 v4, 31, v4
	v_and_b32_e32 v1, v1, v38
	v_xor_b32_e32 v38, s31, v4
	v_xor_b32_e32 v4, s30, v4
	v_and_b32_e32 v2, v2, v4
	v_lshlrev_b32_e32 v4, 28, v26
	v_cmp_gt_i64_e64 s[30:31], 0, v[3:4]
	v_not_b32_e32 v4, v4
	v_ashrrev_i32_e32 v4, 31, v4
	v_and_b32_e32 v1, v1, v38
	v_xor_b32_e32 v38, s31, v4
	v_xor_b32_e32 v4, s30, v4
	v_and_b32_e32 v2, v2, v4
	v_lshlrev_b32_e32 v4, 27, v26
	v_cmp_gt_i64_e64 s[30:31], 0, v[3:4]
	v_not_b32_e32 v4, v4
	;; [unrolled: 8-line block ×4, first 2 shown]
	v_ashrrev_i32_e32 v4, 31, v4
	v_and_b32_e32 v1, v1, v38
	v_xor_b32_e32 v38, s31, v4
	v_xor_b32_e32 v4, s30, v4
	v_and_b32_e32 v1, v1, v38
	v_and_b32_e32 v38, v2, v4
	v_lshlrev_b32_e32 v4, 24, v26
	v_cmp_gt_i64_e64 s[30:31], 0, v[3:4]
	v_not_b32_e32 v2, v4
	v_ashrrev_i32_e32 v2, 31, v2
	v_xor_b32_e32 v4, s31, v2
	v_xor_b32_e32 v39, s30, v2
	v_and_b32_e32 v2, v1, v4
	v_and_b32_e32 v1, v38, v39
	v_mbcnt_lo_u32_b32 v4, v1, 0
	v_mbcnt_hi_u32_b32 v38, v2, v4
	v_cmp_ne_u64_e64 s[30:31], 0, v[1:2]
	v_cmp_eq_u32_e64 s[34:35], 0, v38
	s_and_b64 s[34:35], s[30:31], s[34:35]
	v_add_u32_e32 v39, v15, v5
	; wave barrier
	s_and_saveexec_b64 s[30:31], s[34:35]
	s_cbranch_execz .LBB261_6
; %bb.5:                                ;   in Loop: Header=BB261_2 Depth=1
	v_bcnt_u32_b32 v1, v1, 0
	v_bcnt_u32_b32 v1, v2, v1
	s_waitcnt lgkmcnt(0)
	v_add_u32_e32 v1, v27, v1
	ds_write_b32 v39, v1 offset:12
.LBB261_6:                              ;   in Loop: Header=BB261_2 Depth=1
	s_or_b64 exec, exec, s[30:31]
	v_bfe_u32 v1, v17, 16, 8
	v_mul_u32_u24_e32 v5, 12, v1
	v_mad_u32_u24 v1, v1, 12, v15
	; wave barrier
	ds_read_b32 v41, v1 offset:12
	v_bfe_u32 v1, v17, 16, 1
	v_add_co_u32_e64 v2, s[30:31], -1, v1
	v_addc_co_u32_e64 v4, s[30:31], 0, -1, s[30:31]
	v_lshrrev_b32_e32 v40, 16, v17
	v_cmp_ne_u32_e64 s[30:31], 0, v1
	v_xor_b32_e32 v1, s31, v4
	v_lshlrev_b32_e32 v4, 30, v40
	v_xor_b32_e32 v2, s30, v2
	v_cmp_gt_i64_e64 s[30:31], 0, v[3:4]
	v_not_b32_e32 v4, v4
	v_ashrrev_i32_e32 v4, 31, v4
	v_and_b32_e32 v2, exec_lo, v2
	v_xor_b32_e32 v42, s31, v4
	v_xor_b32_e32 v4, s30, v4
	v_and_b32_e32 v2, v2, v4
	v_lshlrev_b32_e32 v4, 29, v40
	v_cmp_gt_i64_e64 s[30:31], 0, v[3:4]
	v_not_b32_e32 v4, v4
	v_and_b32_e32 v1, exec_hi, v1
	v_ashrrev_i32_e32 v4, 31, v4
	v_and_b32_e32 v1, v1, v42
	v_xor_b32_e32 v42, s31, v4
	v_xor_b32_e32 v4, s30, v4
	v_and_b32_e32 v2, v2, v4
	v_lshlrev_b32_e32 v4, 28, v40
	v_cmp_gt_i64_e64 s[30:31], 0, v[3:4]
	v_not_b32_e32 v4, v4
	v_ashrrev_i32_e32 v4, 31, v4
	v_and_b32_e32 v1, v1, v42
	v_xor_b32_e32 v42, s31, v4
	v_xor_b32_e32 v4, s30, v4
	v_and_b32_e32 v2, v2, v4
	v_lshlrev_b32_e32 v4, 27, v40
	v_cmp_gt_i64_e64 s[30:31], 0, v[3:4]
	v_not_b32_e32 v4, v4
	;; [unrolled: 8-line block ×4, first 2 shown]
	v_ashrrev_i32_e32 v4, 31, v4
	v_and_b32_e32 v1, v1, v42
	v_xor_b32_e32 v42, s31, v4
	v_xor_b32_e32 v4, s30, v4
	v_and_b32_e32 v1, v1, v42
	v_and_b32_e32 v42, v2, v4
	v_lshlrev_b32_e32 v4, 24, v40
	v_cmp_gt_i64_e64 s[30:31], 0, v[3:4]
	v_not_b32_e32 v2, v4
	v_ashrrev_i32_e32 v2, 31, v2
	v_xor_b32_e32 v4, s31, v2
	v_xor_b32_e32 v43, s30, v2
	v_and_b32_e32 v2, v1, v4
	v_and_b32_e32 v1, v42, v43
	v_mbcnt_lo_u32_b32 v4, v1, 0
	v_mbcnt_hi_u32_b32 v42, v2, v4
	v_cmp_ne_u64_e64 s[30:31], 0, v[1:2]
	v_cmp_eq_u32_e64 s[34:35], 0, v42
	s_and_b64 s[34:35], s[30:31], s[34:35]
	v_add_u32_e32 v43, v15, v5
	; wave barrier
	s_and_saveexec_b64 s[30:31], s[34:35]
	s_cbranch_execz .LBB261_8
; %bb.7:                                ;   in Loop: Header=BB261_2 Depth=1
	v_bcnt_u32_b32 v1, v1, 0
	v_bcnt_u32_b32 v1, v2, v1
	s_waitcnt lgkmcnt(0)
	v_add_u32_e32 v1, v41, v1
	ds_write_b32 v43, v1 offset:12
.LBB261_8:                              ;   in Loop: Header=BB261_2 Depth=1
	s_or_b64 exec, exec, s[30:31]
	v_lshrrev_b32_e32 v44, 24, v17
	v_mad_u32_u24 v1, v44, 12, v15
	; wave barrier
	ds_read_b32 v45, v1 offset:12
	v_bfe_u32 v1, v17, 24, 1
	v_add_co_u32_e64 v2, s[30:31], -1, v1
	v_addc_co_u32_e64 v4, s[30:31], 0, -1, s[30:31]
	v_cmp_ne_u32_e64 s[30:31], 0, v1
	v_xor_b32_e32 v1, s31, v4
	v_lshlrev_b32_e32 v4, 30, v44
	v_xor_b32_e32 v2, s30, v2
	v_cmp_gt_i64_e64 s[30:31], 0, v[3:4]
	v_not_b32_e32 v4, v4
	v_ashrrev_i32_e32 v4, 31, v4
	v_and_b32_e32 v2, exec_lo, v2
	v_xor_b32_e32 v46, s31, v4
	v_xor_b32_e32 v4, s30, v4
	v_and_b32_e32 v2, v2, v4
	v_lshlrev_b32_e32 v4, 29, v44
	v_cmp_gt_i64_e64 s[30:31], 0, v[3:4]
	v_not_b32_e32 v4, v4
	v_and_b32_e32 v1, exec_hi, v1
	v_ashrrev_i32_e32 v4, 31, v4
	v_and_b32_e32 v1, v1, v46
	v_xor_b32_e32 v46, s31, v4
	v_xor_b32_e32 v4, s30, v4
	v_and_b32_e32 v2, v2, v4
	v_lshlrev_b32_e32 v4, 28, v44
	v_cmp_gt_i64_e64 s[30:31], 0, v[3:4]
	v_not_b32_e32 v4, v4
	v_ashrrev_i32_e32 v4, 31, v4
	v_and_b32_e32 v1, v1, v46
	v_xor_b32_e32 v46, s31, v4
	v_xor_b32_e32 v4, s30, v4
	v_and_b32_e32 v2, v2, v4
	v_lshlrev_b32_e32 v4, 27, v44
	v_cmp_gt_i64_e64 s[30:31], 0, v[3:4]
	v_not_b32_e32 v4, v4
	;; [unrolled: 8-line block ×4, first 2 shown]
	v_ashrrev_i32_e32 v4, 31, v4
	v_and_b32_e32 v1, v1, v46
	v_xor_b32_e32 v46, s31, v4
	v_xor_b32_e32 v4, s30, v4
	v_and_b32_e32 v1, v1, v46
	v_and_b32_e32 v46, v2, v4
	;; [unrolled: 1-line block ×3, first 2 shown]
	v_cmp_gt_i64_e64 s[30:31], 0, v[3:4]
	v_not_b32_e32 v2, v4
	v_ashrrev_i32_e32 v2, 31, v2
	v_xor_b32_e32 v4, s31, v2
	v_xor_b32_e32 v47, s30, v2
	v_and_b32_e32 v2, v1, v4
	v_and_b32_e32 v1, v46, v47
	v_mbcnt_lo_u32_b32 v4, v1, 0
	v_mbcnt_hi_u32_b32 v46, v2, v4
	v_cmp_ne_u64_e64 s[30:31], 0, v[1:2]
	v_mul_u32_u24_e32 v5, 12, v44
	v_cmp_eq_u32_e64 s[34:35], 0, v46
	s_and_b64 s[34:35], s[30:31], s[34:35]
	v_add_u32_e32 v47, v15, v5
	; wave barrier
	s_and_saveexec_b64 s[30:31], s[34:35]
	s_cbranch_execz .LBB261_10
; %bb.9:                                ;   in Loop: Header=BB261_2 Depth=1
	v_bcnt_u32_b32 v1, v1, 0
	v_bcnt_u32_b32 v1, v2, v1
	s_waitcnt lgkmcnt(0)
	v_add_u32_e32 v1, v45, v1
	ds_write_b32 v47, v1 offset:12
.LBB261_10:                             ;   in Loop: Header=BB261_2 Depth=1
	s_or_b64 exec, exec, s[30:31]
	; wave barrier
	s_waitcnt lgkmcnt(0)
	s_barrier
	ds_read2_b32 v[1:2], v6 offset0:3 offset1:4
	ds_read2_b32 v[4:5], v6 offset0:5 offset1:6
	s_waitcnt lgkmcnt(1)
	v_add_u32_e32 v48, v2, v1
	s_waitcnt lgkmcnt(0)
	v_add3_u32 v5, v48, v4, v5
	s_nop 1
	v_mov_b32_dpp v48, v5 row_shr:1 row_mask:0xf bank_mask:0xf
	v_cndmask_b32_e64 v48, v48, 0, s[16:17]
	v_add_u32_e32 v5, v48, v5
	s_nop 1
	v_mov_b32_dpp v48, v5 row_shr:2 row_mask:0xf bank_mask:0xf
	v_cndmask_b32_e64 v48, 0, v48, s[18:19]
	v_add_u32_e32 v5, v5, v48
	;; [unrolled: 4-line block ×4, first 2 shown]
	s_nop 1
	v_mov_b32_dpp v48, v5 row_bcast:15 row_mask:0xf bank_mask:0xf
	v_cndmask_b32_e64 v48, v48, 0, s[24:25]
	v_add_u32_e32 v5, v5, v48
	s_nop 1
	v_mov_b32_dpp v48, v5 row_bcast:31 row_mask:0xf bank_mask:0xf
	v_cndmask_b32_e64 v48, 0, v48, s[6:7]
	v_add_u32_e32 v5, v5, v48
	s_and_saveexec_b64 s[30:31], s[28:29]
; %bb.11:                               ;   in Loop: Header=BB261_2 Depth=1
	ds_write_b32 v7, v5
; %bb.12:                               ;   in Loop: Header=BB261_2 Depth=1
	s_or_b64 exec, exec, s[30:31]
	s_waitcnt lgkmcnt(0)
	s_barrier
	s_and_saveexec_b64 s[30:31], s[0:1]
	s_cbranch_execz .LBB261_14
; %bb.13:                               ;   in Loop: Header=BB261_2 Depth=1
	ds_read_b32 v48, v8
	s_waitcnt lgkmcnt(0)
	s_nop 0
	v_mov_b32_dpp v49, v48 row_shr:1 row_mask:0xf bank_mask:0xf
	v_cndmask_b32_e64 v49, v49, 0, vcc
	v_add_u32_e32 v48, v49, v48
	s_nop 1
	v_mov_b32_dpp v49, v48 row_shr:2 row_mask:0xf bank_mask:0xf
	v_cndmask_b32_e64 v49, 0, v49, s[26:27]
	v_add_u32_e32 v48, v48, v49
	ds_write_b32 v8, v48
.LBB261_14:                             ;   in Loop: Header=BB261_2 Depth=1
	s_or_b64 exec, exec, s[30:31]
	v_mov_b32_e32 v48, 0
	s_waitcnt lgkmcnt(0)
	s_barrier
	s_and_saveexec_b64 s[30:31], s[2:3]
	s_cbranch_execz .LBB261_1
; %bb.15:                               ;   in Loop: Header=BB261_2 Depth=1
	ds_read_b32 v48, v9
	s_branch .LBB261_1
.LBB261_16:
	s_add_u32 s0, s38, s33
	v_add_u16_e32 v1, v4, v18
	s_addc_u32 s1, s39, 0
	v_add_u16_e32 v3, v17, v19
	v_add_u16_e32 v2, v2, v20
	;; [unrolled: 1-line block ×3, first 2 shown]
	global_store_byte v0, v1, s[0:1]
	global_store_byte v0, v3, s[0:1] offset:192
	global_store_byte v0, v2, s[0:1] offset:384
	;; [unrolled: 1-line block ×3, first 2 shown]
	s_endpgm
	.section	.rodata,"a",@progbits
	.p2align	6, 0x0
	.amdhsa_kernel _Z17sort_pairs_kernelI22helper_blocked_stripedaLj192ELj4ELj10EEvPKT0_PS1_
		.amdhsa_group_segment_fixed_size 3088
		.amdhsa_private_segment_fixed_size 0
		.amdhsa_kernarg_size 272
		.amdhsa_user_sgpr_count 6
		.amdhsa_user_sgpr_private_segment_buffer 1
		.amdhsa_user_sgpr_dispatch_ptr 0
		.amdhsa_user_sgpr_queue_ptr 0
		.amdhsa_user_sgpr_kernarg_segment_ptr 1
		.amdhsa_user_sgpr_dispatch_id 0
		.amdhsa_user_sgpr_flat_scratch_init 0
		.amdhsa_user_sgpr_private_segment_size 0
		.amdhsa_uses_dynamic_stack 0
		.amdhsa_system_sgpr_private_segment_wavefront_offset 0
		.amdhsa_system_sgpr_workgroup_id_x 1
		.amdhsa_system_sgpr_workgroup_id_y 0
		.amdhsa_system_sgpr_workgroup_id_z 0
		.amdhsa_system_sgpr_workgroup_info 0
		.amdhsa_system_vgpr_workitem_id 2
		.amdhsa_next_free_vgpr 50
		.amdhsa_next_free_sgpr 47
		.amdhsa_reserve_vcc 1
		.amdhsa_reserve_flat_scratch 0
		.amdhsa_float_round_mode_32 0
		.amdhsa_float_round_mode_16_64 0
		.amdhsa_float_denorm_mode_32 3
		.amdhsa_float_denorm_mode_16_64 3
		.amdhsa_dx10_clamp 1
		.amdhsa_ieee_mode 1
		.amdhsa_fp16_overflow 0
		.amdhsa_exception_fp_ieee_invalid_op 0
		.amdhsa_exception_fp_denorm_src 0
		.amdhsa_exception_fp_ieee_div_zero 0
		.amdhsa_exception_fp_ieee_overflow 0
		.amdhsa_exception_fp_ieee_underflow 0
		.amdhsa_exception_fp_ieee_inexact 0
		.amdhsa_exception_int_div_zero 0
	.end_amdhsa_kernel
	.section	.text._Z17sort_pairs_kernelI22helper_blocked_stripedaLj192ELj4ELj10EEvPKT0_PS1_,"axG",@progbits,_Z17sort_pairs_kernelI22helper_blocked_stripedaLj192ELj4ELj10EEvPKT0_PS1_,comdat
.Lfunc_end261:
	.size	_Z17sort_pairs_kernelI22helper_blocked_stripedaLj192ELj4ELj10EEvPKT0_PS1_, .Lfunc_end261-_Z17sort_pairs_kernelI22helper_blocked_stripedaLj192ELj4ELj10EEvPKT0_PS1_
                                        ; -- End function
	.set _Z17sort_pairs_kernelI22helper_blocked_stripedaLj192ELj4ELj10EEvPKT0_PS1_.num_vgpr, 50
	.set _Z17sort_pairs_kernelI22helper_blocked_stripedaLj192ELj4ELj10EEvPKT0_PS1_.num_agpr, 0
	.set _Z17sort_pairs_kernelI22helper_blocked_stripedaLj192ELj4ELj10EEvPKT0_PS1_.numbered_sgpr, 47
	.set _Z17sort_pairs_kernelI22helper_blocked_stripedaLj192ELj4ELj10EEvPKT0_PS1_.num_named_barrier, 0
	.set _Z17sort_pairs_kernelI22helper_blocked_stripedaLj192ELj4ELj10EEvPKT0_PS1_.private_seg_size, 0
	.set _Z17sort_pairs_kernelI22helper_blocked_stripedaLj192ELj4ELj10EEvPKT0_PS1_.uses_vcc, 1
	.set _Z17sort_pairs_kernelI22helper_blocked_stripedaLj192ELj4ELj10EEvPKT0_PS1_.uses_flat_scratch, 0
	.set _Z17sort_pairs_kernelI22helper_blocked_stripedaLj192ELj4ELj10EEvPKT0_PS1_.has_dyn_sized_stack, 0
	.set _Z17sort_pairs_kernelI22helper_blocked_stripedaLj192ELj4ELj10EEvPKT0_PS1_.has_recursion, 0
	.set _Z17sort_pairs_kernelI22helper_blocked_stripedaLj192ELj4ELj10EEvPKT0_PS1_.has_indirect_call, 0
	.section	.AMDGPU.csdata,"",@progbits
; Kernel info:
; codeLenInByte = 4116
; TotalNumSgprs: 51
; NumVgprs: 50
; ScratchSize: 0
; MemoryBound: 0
; FloatMode: 240
; IeeeMode: 1
; LDSByteSize: 3088 bytes/workgroup (compile time only)
; SGPRBlocks: 6
; VGPRBlocks: 12
; NumSGPRsForWavesPerEU: 51
; NumVGPRsForWavesPerEU: 50
; Occupancy: 4
; WaveLimiterHint : 1
; COMPUTE_PGM_RSRC2:SCRATCH_EN: 0
; COMPUTE_PGM_RSRC2:USER_SGPR: 6
; COMPUTE_PGM_RSRC2:TRAP_HANDLER: 0
; COMPUTE_PGM_RSRC2:TGID_X_EN: 1
; COMPUTE_PGM_RSRC2:TGID_Y_EN: 0
; COMPUTE_PGM_RSRC2:TGID_Z_EN: 0
; COMPUTE_PGM_RSRC2:TIDIG_COMP_CNT: 2
	.section	.text._Z16sort_keys_kernelI22helper_blocked_stripedaLj192ELj8ELj10EEvPKT0_PS1_,"axG",@progbits,_Z16sort_keys_kernelI22helper_blocked_stripedaLj192ELj8ELj10EEvPKT0_PS1_,comdat
	.protected	_Z16sort_keys_kernelI22helper_blocked_stripedaLj192ELj8ELj10EEvPKT0_PS1_ ; -- Begin function _Z16sort_keys_kernelI22helper_blocked_stripedaLj192ELj8ELj10EEvPKT0_PS1_
	.globl	_Z16sort_keys_kernelI22helper_blocked_stripedaLj192ELj8ELj10EEvPKT0_PS1_
	.p2align	8
	.type	_Z16sort_keys_kernelI22helper_blocked_stripedaLj192ELj8ELj10EEvPKT0_PS1_,@function
_Z16sort_keys_kernelI22helper_blocked_stripedaLj192ELj8ELj10EEvPKT0_PS1_: ; @_Z16sort_keys_kernelI22helper_blocked_stripedaLj192ELj8ELj10EEvPKT0_PS1_
; %bb.0:
	s_load_dwordx4 s[28:31], s[4:5], 0x0
	s_load_dword s2, s[4:5], 0x1c
	s_mul_i32 s33, s6, 0x600
	v_lshlrev_b32_e32 v5, 3, v0
	v_mbcnt_lo_u32_b32 v6, -1, 0
	s_waitcnt lgkmcnt(0)
	s_add_u32 s0, s28, s33
	s_addc_u32 s1, s29, 0
	global_load_dwordx2 v[3:4], v5, s[0:1]
	s_lshr_b32 s0, s2, 16
	s_and_b32 s1, s2, 0xffff
	v_mad_u32_u24 v1, v2, s0, v1
	v_mad_u64_u32 v[1:2], s[0:1], v1, s1, v[0:1]
	v_mbcnt_hi_u32_b32 v11, -1, v6
	v_and_b32_e32 v9, 0xc0, v0
	v_lshrrev_b32_e32 v1, 4, v1
	v_and_b32_e32 v8, 0xffffffc, v1
	v_and_b32_e32 v1, 15, v11
	v_cmp_eq_u32_e32 vcc, 0, v1
	v_cmp_lt_u32_e64 s[0:1], 1, v1
	v_cmp_lt_u32_e64 s[2:3], 3, v1
	;; [unrolled: 1-line block ×3, first 2 shown]
	v_and_b32_e32 v1, 16, v11
	v_cmp_eq_u32_e64 s[6:7], 0, v1
	v_min_u32_e32 v1, 0x80, v9
	v_or_b32_e32 v1, 63, v1
	v_and_b32_e32 v2, 0x600, v5
	v_cmp_eq_u32_e64 s[10:11], v0, v1
	v_subrev_co_u32_e64 v1, s[16:17], 1, v11
	v_and_b32_e32 v5, 64, v11
	v_cmp_lt_i32_e64 s[18:19], v1, v5
	v_cndmask_b32_e64 v1, v1, v11, s[18:19]
	v_add_lshl_u32 v6, v11, v9, 3
	v_lshlrev_b32_e32 v9, 2, v1
	v_lshrrev_b32_e32 v1, 4, v0
	v_and_b32_e32 v10, 12, v1
	v_mul_u32_u24_e32 v5, 3, v0
	v_and_b32_e32 v1, 3, v11
	v_lshlrev_b32_e32 v7, 4, v0
	v_cmp_lt_u32_e64 s[8:9], 31, v11
	s_movk_i32 s28, 0x80
	v_cmp_gt_u32_e64 s[12:13], 3, v0
	v_cmp_lt_u32_e64 s[14:15], 63, v0
	v_cmp_eq_u32_e64 s[18:19], 0, v0
	v_cmp_eq_u32_e64 s[20:21], 0, v1
	v_cmp_lt_u32_e64 s[22:23], 1, v1
	s_mov_b32 s29, 10
	s_movk_i32 s34, 0xff00
	s_movk_i32 s35, 0x8000
	v_add_u32_e32 v11, v11, v2
	v_mov_b32_e32 v1, 0
	v_add_u32_e32 v12, v0, v5
	v_mov_b32_e32 v13, 12
	s_branch .LBB262_2
.LBB262_1:                              ;   in Loop: Header=BB262_2 Depth=1
	s_or_b64 exec, exec, s[24:25]
	s_waitcnt lgkmcnt(0)
	v_add_u32_e32 v3, v45, v3
	ds_bpermute_b32 v3, v9, v3
	s_add_i32 s29, s29, -1
	s_cmp_eq_u32 s29, 0
	s_waitcnt lgkmcnt(0)
	v_cndmask_b32_e64 v3, v3, v45, s[16:17]
	v_cndmask_b32_e64 v3, v3, 0, s[18:19]
	v_add_u32_e32 v4, v3, v4
	v_add_u32_e32 v5, v4, v5
	;; [unrolled: 1-line block ×3, first 2 shown]
	ds_write2_b32 v7, v3, v4 offset0:3 offset1:4
	ds_write2_b32 v7, v5, v2 offset0:5 offset1:6
	s_waitcnt lgkmcnt(0)
	s_barrier
	ds_read_b32 v2, v23 offset:12
	ds_read_b32 v3, v26 offset:12
	;; [unrolled: 1-line block ×8, first 2 shown]
	s_waitcnt lgkmcnt(7)
	v_add_u32_e32 v2, v2, v22
	s_waitcnt lgkmcnt(0)
	s_barrier
	ds_write_b8 v2, v21
	v_add3_u32 v2, v25, v24, v3
	ds_write_b8 v2, v20
	v_add3_u32 v2, v28, v27, v4
	;; [unrolled: 2-line block ×7, first 2 shown]
	ds_write_b8 v2, v14
	s_waitcnt lgkmcnt(0)
	s_barrier
	ds_read_u8 v2, v0
	ds_read_u8 v3, v0 offset:192
	ds_read_u8 v4, v0 offset:384
	;; [unrolled: 1-line block ×7, first 2 shown]
	s_waitcnt lgkmcnt(6)
	v_xor_b32_e32 v5, 0xffffff80, v3
	s_waitcnt lgkmcnt(4)
	v_xor_b32_e32 v15, 0xffffff80, v15
	v_xor_b32_e32 v2, 0xffffff80, v2
	;; [unrolled: 1-line block ×3, first 2 shown]
	v_lshlrev_b16_e32 v3, 8, v5
	v_lshlrev_b16_e32 v4, 8, v15
	s_waitcnt lgkmcnt(2)
	v_xor_b32_e32 v17, 0xffffff80, v17
	s_waitcnt lgkmcnt(0)
	v_xor_b32_e32 v19, 0xffffff80, v19
	v_or_b32_sdwa v3, v2, v3 dst_sel:DWORD dst_unused:UNUSED_PAD src0_sel:BYTE_0 src1_sel:DWORD
	v_or_b32_sdwa v4, v14, v4 dst_sel:WORD_1 dst_unused:UNUSED_PAD src0_sel:BYTE_0 src1_sel:DWORD
	v_xor_b32_e32 v16, 0xffffff80, v16
	v_xor_b32_e32 v18, 0xffffff80, v18
	v_or_b32_sdwa v3, v3, v4 dst_sel:DWORD dst_unused:UNUSED_PAD src0_sel:WORD_0 src1_sel:DWORD
	v_lshlrev_b16_e32 v4, 8, v17
	v_lshlrev_b16_e32 v20, 8, v19
	v_or_b32_sdwa v4, v16, v4 dst_sel:DWORD dst_unused:UNUSED_PAD src0_sel:BYTE_0 src1_sel:DWORD
	v_or_b32_sdwa v20, v18, v20 dst_sel:WORD_1 dst_unused:UNUSED_PAD src0_sel:BYTE_0 src1_sel:DWORD
	v_or_b32_sdwa v4, v4, v20 dst_sel:DWORD dst_unused:UNUSED_PAD src0_sel:WORD_0 src1_sel:DWORD
	s_cbranch_scc1 .LBB262_24
.LBB262_2:                              ; =>This Inner Loop Header: Depth=1
	s_waitcnt vmcnt(0)
	v_and_b32_e32 v2, 0xffffff00, v3
	v_xor_b32_e32 v5, 0x80, v3
	v_or_b32_sdwa v2, v5, v2 dst_sel:DWORD dst_unused:UNUSED_PAD src0_sel:BYTE_0 src1_sel:DWORD
	v_and_b32_sdwa v5, v3, s34 dst_sel:DWORD dst_unused:UNUSED_PAD src0_sel:WORD_1 src1_sel:DWORD
	v_xor_b32_sdwa v3, v3, s28 dst_sel:DWORD dst_unused:UNUSED_PAD src0_sel:WORD_1 src1_sel:DWORD
	v_or_b32_sdwa v3, v3, v5 dst_sel:DWORD dst_unused:UNUSED_PAD src0_sel:BYTE_0 src1_sel:DWORD
	v_add_u16_e32 v2, 0x8000, v2
	v_add_u16_sdwa v3, v3, s35 dst_sel:WORD_1 dst_unused:UNUSED_PAD src0_sel:DWORD src1_sel:DWORD
	v_or_b32_e32 v2, v2, v3
	v_and_b32_e32 v3, 0xffffff00, v4
	v_xor_b32_e32 v5, 0x80, v4
	v_or_b32_sdwa v3, v5, v3 dst_sel:DWORD dst_unused:UNUSED_PAD src0_sel:BYTE_0 src1_sel:DWORD
	v_and_b32_sdwa v5, v4, s34 dst_sel:DWORD dst_unused:UNUSED_PAD src0_sel:WORD_1 src1_sel:DWORD
	v_xor_b32_sdwa v4, v4, s28 dst_sel:DWORD dst_unused:UNUSED_PAD src0_sel:WORD_1 src1_sel:DWORD
	v_or_b32_sdwa v4, v4, v5 dst_sel:DWORD dst_unused:UNUSED_PAD src0_sel:BYTE_0 src1_sel:DWORD
	v_add_u16_e32 v3, 0x8000, v3
	v_add_u16_sdwa v4, v4, s35 dst_sel:WORD_1 dst_unused:UNUSED_PAD src0_sel:DWORD src1_sel:DWORD
	v_or_b32_e32 v3, v3, v4
	ds_write_b64 v6, v[2:3]
	; wave barrier
	ds_read_u8 v21, v11
	ds_read_u8 v20, v11 offset:64
	ds_read_u8 v19, v11 offset:128
	ds_read_u8 v18, v11 offset:192
	ds_read_u8 v17, v11 offset:256
	ds_read_u8 v16, v11 offset:320
	ds_read_u8 v15, v11 offset:384
	ds_read_u8 v14, v11 offset:448
	s_waitcnt lgkmcnt(7)
	v_and_b32_e32 v2, 1, v21
	v_add_co_u32_e64 v3, s[24:25], -1, v2
	v_addc_co_u32_e64 v5, s[24:25], 0, -1, s[24:25]
	v_cmp_ne_u32_e64 s[24:25], 0, v2
	v_xor_b32_e32 v2, s25, v5
	v_and_b32_e32 v5, exec_hi, v2
	v_lshlrev_b32_e32 v2, 30, v21
	v_xor_b32_e32 v3, s24, v3
	v_cmp_gt_i64_e64 s[24:25], 0, v[1:2]
	v_not_b32_e32 v2, v2
	v_ashrrev_i32_e32 v2, 31, v2
	v_and_b32_e32 v3, exec_lo, v3
	v_xor_b32_e32 v22, s25, v2
	v_xor_b32_e32 v2, s24, v2
	v_and_b32_e32 v3, v3, v2
	v_lshlrev_b32_e32 v2, 29, v21
	v_cmp_gt_i64_e64 s[24:25], 0, v[1:2]
	v_not_b32_e32 v2, v2
	v_ashrrev_i32_e32 v2, 31, v2
	v_and_b32_e32 v5, v5, v22
	v_xor_b32_e32 v22, s25, v2
	v_xor_b32_e32 v2, s24, v2
	v_and_b32_e32 v3, v3, v2
	v_lshlrev_b32_e32 v2, 28, v21
	v_cmp_gt_i64_e64 s[24:25], 0, v[1:2]
	v_not_b32_e32 v2, v2
	v_ashrrev_i32_e32 v2, 31, v2
	v_and_b32_e32 v5, v5, v22
	;; [unrolled: 8-line block ×5, first 2 shown]
	v_xor_b32_e32 v22, s25, v2
	v_xor_b32_e32 v2, s24, v2
	v_and_b32_e32 v5, v5, v22
	v_and_b32_e32 v22, v3, v2
	v_lshlrev_b32_e32 v2, 24, v21
	v_cmp_gt_i64_e64 s[24:25], 0, v[1:2]
	v_not_b32_e32 v2, v2
	v_ashrrev_i32_e32 v2, 31, v2
	v_xor_b32_e32 v3, s25, v2
	v_xor_b32_e32 v2, s24, v2
	v_and_b32_e32 v2, v22, v2
	v_and_b32_e32 v3, v5, v3
	v_mbcnt_lo_u32_b32 v5, v2, 0
	v_mbcnt_hi_u32_b32 v22, v3, v5
	v_cmp_ne_u64_e64 s[24:25], 0, v[2:3]
	v_mul_u32_u24_sdwa v4, v21, v13 dst_sel:DWORD dst_unused:UNUSED_PAD src0_sel:BYTE_0 src1_sel:DWORD
	v_cmp_eq_u32_e64 s[26:27], 0, v22
	s_and_b64 s[26:27], s[24:25], s[26:27]
	v_add_u32_e32 v23, v8, v4
	; wave barrier
	; wave barrier
	s_waitcnt lgkmcnt(0)
	s_barrier
	ds_write2_b32 v7, v1, v1 offset0:3 offset1:4
	ds_write2_b32 v7, v1, v1 offset0:5 offset1:6
	s_waitcnt lgkmcnt(0)
	s_barrier
	; wave barrier
	s_and_saveexec_b64 s[24:25], s[26:27]
; %bb.3:                                ;   in Loop: Header=BB262_2 Depth=1
	v_bcnt_u32_b32 v2, v2, 0
	v_bcnt_u32_b32 v2, v3, v2
	ds_write_b32 v23, v2 offset:12
; %bb.4:                                ;   in Loop: Header=BB262_2 Depth=1
	s_or_b64 exec, exec, s[24:25]
	v_and_b32_e32 v2, 0xff, v20
	v_mul_u32_u24_e32 v4, 12, v2
	v_mad_u32_u24 v2, v2, 12, v8
	; wave barrier
	ds_read_b32 v24, v2 offset:12
	v_and_b32_e32 v2, 1, v20
	v_add_co_u32_e64 v3, s[24:25], -1, v2
	v_addc_co_u32_e64 v5, s[24:25], 0, -1, s[24:25]
	v_cmp_ne_u32_e64 s[24:25], 0, v2
	v_xor_b32_e32 v2, s25, v5
	v_and_b32_e32 v5, exec_hi, v2
	v_lshlrev_b32_e32 v2, 30, v20
	v_xor_b32_e32 v3, s24, v3
	v_cmp_gt_i64_e64 s[24:25], 0, v[1:2]
	v_not_b32_e32 v2, v2
	v_ashrrev_i32_e32 v2, 31, v2
	v_and_b32_e32 v3, exec_lo, v3
	v_xor_b32_e32 v25, s25, v2
	v_xor_b32_e32 v2, s24, v2
	v_and_b32_e32 v3, v3, v2
	v_lshlrev_b32_e32 v2, 29, v20
	v_cmp_gt_i64_e64 s[24:25], 0, v[1:2]
	v_not_b32_e32 v2, v2
	v_ashrrev_i32_e32 v2, 31, v2
	v_and_b32_e32 v5, v5, v25
	v_xor_b32_e32 v25, s25, v2
	v_xor_b32_e32 v2, s24, v2
	v_and_b32_e32 v3, v3, v2
	v_lshlrev_b32_e32 v2, 28, v20
	v_cmp_gt_i64_e64 s[24:25], 0, v[1:2]
	v_not_b32_e32 v2, v2
	v_ashrrev_i32_e32 v2, 31, v2
	v_and_b32_e32 v5, v5, v25
	;; [unrolled: 8-line block ×5, first 2 shown]
	v_xor_b32_e32 v25, s25, v2
	v_xor_b32_e32 v2, s24, v2
	v_and_b32_e32 v5, v5, v25
	v_and_b32_e32 v25, v3, v2
	v_lshlrev_b32_e32 v2, 24, v20
	v_cmp_gt_i64_e64 s[24:25], 0, v[1:2]
	v_not_b32_e32 v2, v2
	v_ashrrev_i32_e32 v2, 31, v2
	v_xor_b32_e32 v3, s25, v2
	v_xor_b32_e32 v2, s24, v2
	v_and_b32_e32 v2, v25, v2
	v_and_b32_e32 v3, v5, v3
	v_mbcnt_lo_u32_b32 v5, v2, 0
	v_mbcnt_hi_u32_b32 v25, v3, v5
	v_cmp_ne_u64_e64 s[24:25], 0, v[2:3]
	v_cmp_eq_u32_e64 s[26:27], 0, v25
	s_and_b64 s[26:27], s[24:25], s[26:27]
	v_add_u32_e32 v26, v8, v4
	; wave barrier
	s_and_saveexec_b64 s[24:25], s[26:27]
	s_cbranch_execz .LBB262_6
; %bb.5:                                ;   in Loop: Header=BB262_2 Depth=1
	v_bcnt_u32_b32 v2, v2, 0
	v_bcnt_u32_b32 v2, v3, v2
	s_waitcnt lgkmcnt(0)
	v_add_u32_e32 v2, v24, v2
	ds_write_b32 v26, v2 offset:12
.LBB262_6:                              ;   in Loop: Header=BB262_2 Depth=1
	s_or_b64 exec, exec, s[24:25]
	v_and_b32_e32 v2, 0xff, v19
	v_mul_u32_u24_e32 v4, 12, v2
	v_mad_u32_u24 v2, v2, 12, v8
	; wave barrier
	ds_read_b32 v27, v2 offset:12
	v_and_b32_e32 v2, 1, v19
	v_add_co_u32_e64 v3, s[24:25], -1, v2
	v_addc_co_u32_e64 v5, s[24:25], 0, -1, s[24:25]
	v_cmp_ne_u32_e64 s[24:25], 0, v2
	v_xor_b32_e32 v2, s25, v5
	v_and_b32_e32 v5, exec_hi, v2
	v_lshlrev_b32_e32 v2, 30, v19
	v_xor_b32_e32 v3, s24, v3
	v_cmp_gt_i64_e64 s[24:25], 0, v[1:2]
	v_not_b32_e32 v2, v2
	v_ashrrev_i32_e32 v2, 31, v2
	v_and_b32_e32 v3, exec_lo, v3
	v_xor_b32_e32 v28, s25, v2
	v_xor_b32_e32 v2, s24, v2
	v_and_b32_e32 v3, v3, v2
	v_lshlrev_b32_e32 v2, 29, v19
	v_cmp_gt_i64_e64 s[24:25], 0, v[1:2]
	v_not_b32_e32 v2, v2
	v_ashrrev_i32_e32 v2, 31, v2
	v_and_b32_e32 v5, v5, v28
	v_xor_b32_e32 v28, s25, v2
	v_xor_b32_e32 v2, s24, v2
	v_and_b32_e32 v3, v3, v2
	v_lshlrev_b32_e32 v2, 28, v19
	v_cmp_gt_i64_e64 s[24:25], 0, v[1:2]
	v_not_b32_e32 v2, v2
	v_ashrrev_i32_e32 v2, 31, v2
	v_and_b32_e32 v5, v5, v28
	;; [unrolled: 8-line block ×5, first 2 shown]
	v_xor_b32_e32 v28, s25, v2
	v_xor_b32_e32 v2, s24, v2
	v_and_b32_e32 v5, v5, v28
	v_and_b32_e32 v28, v3, v2
	v_lshlrev_b32_e32 v2, 24, v19
	v_cmp_gt_i64_e64 s[24:25], 0, v[1:2]
	v_not_b32_e32 v2, v2
	v_ashrrev_i32_e32 v2, 31, v2
	v_xor_b32_e32 v3, s25, v2
	v_xor_b32_e32 v2, s24, v2
	v_and_b32_e32 v2, v28, v2
	v_and_b32_e32 v3, v5, v3
	v_mbcnt_lo_u32_b32 v5, v2, 0
	v_mbcnt_hi_u32_b32 v28, v3, v5
	v_cmp_ne_u64_e64 s[24:25], 0, v[2:3]
	v_cmp_eq_u32_e64 s[26:27], 0, v28
	s_and_b64 s[26:27], s[24:25], s[26:27]
	v_add_u32_e32 v29, v8, v4
	; wave barrier
	s_and_saveexec_b64 s[24:25], s[26:27]
	s_cbranch_execz .LBB262_8
; %bb.7:                                ;   in Loop: Header=BB262_2 Depth=1
	v_bcnt_u32_b32 v2, v2, 0
	v_bcnt_u32_b32 v2, v3, v2
	s_waitcnt lgkmcnt(0)
	v_add_u32_e32 v2, v27, v2
	ds_write_b32 v29, v2 offset:12
.LBB262_8:                              ;   in Loop: Header=BB262_2 Depth=1
	s_or_b64 exec, exec, s[24:25]
	v_and_b32_e32 v2, 0xff, v18
	v_mul_u32_u24_e32 v4, 12, v2
	v_mad_u32_u24 v2, v2, 12, v8
	; wave barrier
	ds_read_b32 v30, v2 offset:12
	v_and_b32_e32 v2, 1, v18
	v_add_co_u32_e64 v3, s[24:25], -1, v2
	v_addc_co_u32_e64 v5, s[24:25], 0, -1, s[24:25]
	v_cmp_ne_u32_e64 s[24:25], 0, v2
	v_xor_b32_e32 v2, s25, v5
	v_and_b32_e32 v5, exec_hi, v2
	v_lshlrev_b32_e32 v2, 30, v18
	v_xor_b32_e32 v3, s24, v3
	v_cmp_gt_i64_e64 s[24:25], 0, v[1:2]
	v_not_b32_e32 v2, v2
	v_ashrrev_i32_e32 v2, 31, v2
	v_and_b32_e32 v3, exec_lo, v3
	v_xor_b32_e32 v31, s25, v2
	v_xor_b32_e32 v2, s24, v2
	v_and_b32_e32 v3, v3, v2
	v_lshlrev_b32_e32 v2, 29, v18
	v_cmp_gt_i64_e64 s[24:25], 0, v[1:2]
	v_not_b32_e32 v2, v2
	v_ashrrev_i32_e32 v2, 31, v2
	v_and_b32_e32 v5, v5, v31
	v_xor_b32_e32 v31, s25, v2
	v_xor_b32_e32 v2, s24, v2
	v_and_b32_e32 v3, v3, v2
	v_lshlrev_b32_e32 v2, 28, v18
	v_cmp_gt_i64_e64 s[24:25], 0, v[1:2]
	v_not_b32_e32 v2, v2
	v_ashrrev_i32_e32 v2, 31, v2
	v_and_b32_e32 v5, v5, v31
	;; [unrolled: 8-line block ×5, first 2 shown]
	v_xor_b32_e32 v31, s25, v2
	v_xor_b32_e32 v2, s24, v2
	v_and_b32_e32 v5, v5, v31
	v_and_b32_e32 v31, v3, v2
	v_lshlrev_b32_e32 v2, 24, v18
	v_cmp_gt_i64_e64 s[24:25], 0, v[1:2]
	v_not_b32_e32 v2, v2
	v_ashrrev_i32_e32 v2, 31, v2
	v_xor_b32_e32 v3, s25, v2
	v_xor_b32_e32 v2, s24, v2
	v_and_b32_e32 v2, v31, v2
	v_and_b32_e32 v3, v5, v3
	v_mbcnt_lo_u32_b32 v5, v2, 0
	v_mbcnt_hi_u32_b32 v31, v3, v5
	v_cmp_ne_u64_e64 s[24:25], 0, v[2:3]
	v_cmp_eq_u32_e64 s[26:27], 0, v31
	s_and_b64 s[26:27], s[24:25], s[26:27]
	v_add_u32_e32 v32, v8, v4
	; wave barrier
	s_and_saveexec_b64 s[24:25], s[26:27]
	s_cbranch_execz .LBB262_10
; %bb.9:                                ;   in Loop: Header=BB262_2 Depth=1
	v_bcnt_u32_b32 v2, v2, 0
	v_bcnt_u32_b32 v2, v3, v2
	s_waitcnt lgkmcnt(0)
	v_add_u32_e32 v2, v30, v2
	ds_write_b32 v32, v2 offset:12
.LBB262_10:                             ;   in Loop: Header=BB262_2 Depth=1
	s_or_b64 exec, exec, s[24:25]
	v_and_b32_e32 v2, 0xff, v17
	v_mul_u32_u24_e32 v4, 12, v2
	v_mad_u32_u24 v2, v2, 12, v8
	; wave barrier
	ds_read_b32 v33, v2 offset:12
	v_and_b32_e32 v2, 1, v17
	v_add_co_u32_e64 v3, s[24:25], -1, v2
	v_addc_co_u32_e64 v5, s[24:25], 0, -1, s[24:25]
	v_cmp_ne_u32_e64 s[24:25], 0, v2
	v_xor_b32_e32 v2, s25, v5
	v_and_b32_e32 v5, exec_hi, v2
	v_lshlrev_b32_e32 v2, 30, v17
	v_xor_b32_e32 v3, s24, v3
	v_cmp_gt_i64_e64 s[24:25], 0, v[1:2]
	v_not_b32_e32 v2, v2
	v_ashrrev_i32_e32 v2, 31, v2
	v_and_b32_e32 v3, exec_lo, v3
	v_xor_b32_e32 v34, s25, v2
	v_xor_b32_e32 v2, s24, v2
	v_and_b32_e32 v3, v3, v2
	v_lshlrev_b32_e32 v2, 29, v17
	v_cmp_gt_i64_e64 s[24:25], 0, v[1:2]
	v_not_b32_e32 v2, v2
	v_ashrrev_i32_e32 v2, 31, v2
	v_and_b32_e32 v5, v5, v34
	v_xor_b32_e32 v34, s25, v2
	v_xor_b32_e32 v2, s24, v2
	v_and_b32_e32 v3, v3, v2
	v_lshlrev_b32_e32 v2, 28, v17
	v_cmp_gt_i64_e64 s[24:25], 0, v[1:2]
	v_not_b32_e32 v2, v2
	v_ashrrev_i32_e32 v2, 31, v2
	v_and_b32_e32 v5, v5, v34
	;; [unrolled: 8-line block ×5, first 2 shown]
	v_xor_b32_e32 v34, s25, v2
	v_xor_b32_e32 v2, s24, v2
	v_and_b32_e32 v5, v5, v34
	v_and_b32_e32 v34, v3, v2
	v_lshlrev_b32_e32 v2, 24, v17
	v_cmp_gt_i64_e64 s[24:25], 0, v[1:2]
	v_not_b32_e32 v2, v2
	v_ashrrev_i32_e32 v2, 31, v2
	v_xor_b32_e32 v3, s25, v2
	v_xor_b32_e32 v2, s24, v2
	v_and_b32_e32 v2, v34, v2
	v_and_b32_e32 v3, v5, v3
	v_mbcnt_lo_u32_b32 v5, v2, 0
	v_mbcnt_hi_u32_b32 v34, v3, v5
	v_cmp_ne_u64_e64 s[24:25], 0, v[2:3]
	v_cmp_eq_u32_e64 s[26:27], 0, v34
	s_and_b64 s[26:27], s[24:25], s[26:27]
	v_add_u32_e32 v35, v8, v4
	; wave barrier
	s_and_saveexec_b64 s[24:25], s[26:27]
	s_cbranch_execz .LBB262_12
; %bb.11:                               ;   in Loop: Header=BB262_2 Depth=1
	v_bcnt_u32_b32 v2, v2, 0
	v_bcnt_u32_b32 v2, v3, v2
	s_waitcnt lgkmcnt(0)
	v_add_u32_e32 v2, v33, v2
	ds_write_b32 v35, v2 offset:12
.LBB262_12:                             ;   in Loop: Header=BB262_2 Depth=1
	s_or_b64 exec, exec, s[24:25]
	v_and_b32_e32 v2, 0xff, v16
	v_mul_u32_u24_e32 v4, 12, v2
	v_mad_u32_u24 v2, v2, 12, v8
	; wave barrier
	ds_read_b32 v36, v2 offset:12
	v_and_b32_e32 v2, 1, v16
	v_add_co_u32_e64 v3, s[24:25], -1, v2
	v_addc_co_u32_e64 v5, s[24:25], 0, -1, s[24:25]
	v_cmp_ne_u32_e64 s[24:25], 0, v2
	v_xor_b32_e32 v2, s25, v5
	v_and_b32_e32 v5, exec_hi, v2
	v_lshlrev_b32_e32 v2, 30, v16
	v_xor_b32_e32 v3, s24, v3
	v_cmp_gt_i64_e64 s[24:25], 0, v[1:2]
	v_not_b32_e32 v2, v2
	v_ashrrev_i32_e32 v2, 31, v2
	v_and_b32_e32 v3, exec_lo, v3
	v_xor_b32_e32 v37, s25, v2
	v_xor_b32_e32 v2, s24, v2
	v_and_b32_e32 v3, v3, v2
	v_lshlrev_b32_e32 v2, 29, v16
	v_cmp_gt_i64_e64 s[24:25], 0, v[1:2]
	v_not_b32_e32 v2, v2
	v_ashrrev_i32_e32 v2, 31, v2
	v_and_b32_e32 v5, v5, v37
	v_xor_b32_e32 v37, s25, v2
	v_xor_b32_e32 v2, s24, v2
	v_and_b32_e32 v3, v3, v2
	v_lshlrev_b32_e32 v2, 28, v16
	v_cmp_gt_i64_e64 s[24:25], 0, v[1:2]
	v_not_b32_e32 v2, v2
	v_ashrrev_i32_e32 v2, 31, v2
	v_and_b32_e32 v5, v5, v37
	;; [unrolled: 8-line block ×5, first 2 shown]
	v_xor_b32_e32 v37, s25, v2
	v_xor_b32_e32 v2, s24, v2
	v_and_b32_e32 v5, v5, v37
	v_and_b32_e32 v37, v3, v2
	v_lshlrev_b32_e32 v2, 24, v16
	v_cmp_gt_i64_e64 s[24:25], 0, v[1:2]
	v_not_b32_e32 v2, v2
	v_ashrrev_i32_e32 v2, 31, v2
	v_xor_b32_e32 v3, s25, v2
	v_xor_b32_e32 v2, s24, v2
	v_and_b32_e32 v2, v37, v2
	v_and_b32_e32 v3, v5, v3
	v_mbcnt_lo_u32_b32 v5, v2, 0
	v_mbcnt_hi_u32_b32 v37, v3, v5
	v_cmp_ne_u64_e64 s[24:25], 0, v[2:3]
	v_cmp_eq_u32_e64 s[26:27], 0, v37
	s_and_b64 s[26:27], s[24:25], s[26:27]
	v_add_u32_e32 v38, v8, v4
	; wave barrier
	s_and_saveexec_b64 s[24:25], s[26:27]
	s_cbranch_execz .LBB262_14
; %bb.13:                               ;   in Loop: Header=BB262_2 Depth=1
	v_bcnt_u32_b32 v2, v2, 0
	v_bcnt_u32_b32 v2, v3, v2
	s_waitcnt lgkmcnt(0)
	v_add_u32_e32 v2, v36, v2
	ds_write_b32 v38, v2 offset:12
.LBB262_14:                             ;   in Loop: Header=BB262_2 Depth=1
	s_or_b64 exec, exec, s[24:25]
	v_and_b32_e32 v2, 0xff, v15
	v_mul_u32_u24_e32 v4, 12, v2
	v_mad_u32_u24 v2, v2, 12, v8
	; wave barrier
	ds_read_b32 v39, v2 offset:12
	v_and_b32_e32 v2, 1, v15
	v_add_co_u32_e64 v3, s[24:25], -1, v2
	v_addc_co_u32_e64 v5, s[24:25], 0, -1, s[24:25]
	v_cmp_ne_u32_e64 s[24:25], 0, v2
	v_xor_b32_e32 v2, s25, v5
	v_and_b32_e32 v5, exec_hi, v2
	v_lshlrev_b32_e32 v2, 30, v15
	v_xor_b32_e32 v3, s24, v3
	v_cmp_gt_i64_e64 s[24:25], 0, v[1:2]
	v_not_b32_e32 v2, v2
	v_ashrrev_i32_e32 v2, 31, v2
	v_and_b32_e32 v3, exec_lo, v3
	v_xor_b32_e32 v40, s25, v2
	v_xor_b32_e32 v2, s24, v2
	v_and_b32_e32 v3, v3, v2
	v_lshlrev_b32_e32 v2, 29, v15
	v_cmp_gt_i64_e64 s[24:25], 0, v[1:2]
	v_not_b32_e32 v2, v2
	v_ashrrev_i32_e32 v2, 31, v2
	v_and_b32_e32 v5, v5, v40
	v_xor_b32_e32 v40, s25, v2
	v_xor_b32_e32 v2, s24, v2
	v_and_b32_e32 v3, v3, v2
	v_lshlrev_b32_e32 v2, 28, v15
	v_cmp_gt_i64_e64 s[24:25], 0, v[1:2]
	v_not_b32_e32 v2, v2
	v_ashrrev_i32_e32 v2, 31, v2
	v_and_b32_e32 v5, v5, v40
	;; [unrolled: 8-line block ×5, first 2 shown]
	v_xor_b32_e32 v40, s25, v2
	v_xor_b32_e32 v2, s24, v2
	v_and_b32_e32 v5, v5, v40
	v_and_b32_e32 v40, v3, v2
	v_lshlrev_b32_e32 v2, 24, v15
	v_cmp_gt_i64_e64 s[24:25], 0, v[1:2]
	v_not_b32_e32 v2, v2
	v_ashrrev_i32_e32 v2, 31, v2
	v_xor_b32_e32 v3, s25, v2
	v_xor_b32_e32 v2, s24, v2
	v_and_b32_e32 v2, v40, v2
	v_and_b32_e32 v3, v5, v3
	v_mbcnt_lo_u32_b32 v5, v2, 0
	v_mbcnt_hi_u32_b32 v40, v3, v5
	v_cmp_ne_u64_e64 s[24:25], 0, v[2:3]
	v_cmp_eq_u32_e64 s[26:27], 0, v40
	s_and_b64 s[26:27], s[24:25], s[26:27]
	v_add_u32_e32 v42, v8, v4
	; wave barrier
	s_and_saveexec_b64 s[24:25], s[26:27]
	s_cbranch_execz .LBB262_16
; %bb.15:                               ;   in Loop: Header=BB262_2 Depth=1
	v_bcnt_u32_b32 v2, v2, 0
	v_bcnt_u32_b32 v2, v3, v2
	s_waitcnt lgkmcnt(0)
	v_add_u32_e32 v2, v39, v2
	ds_write_b32 v42, v2 offset:12
.LBB262_16:                             ;   in Loop: Header=BB262_2 Depth=1
	s_or_b64 exec, exec, s[24:25]
	v_and_b32_e32 v2, 0xff, v14
	v_mul_u32_u24_e32 v4, 12, v2
	v_mad_u32_u24 v2, v2, 12, v8
	; wave barrier
	ds_read_b32 v41, v2 offset:12
	v_and_b32_e32 v2, 1, v14
	v_add_co_u32_e64 v3, s[24:25], -1, v2
	v_addc_co_u32_e64 v5, s[24:25], 0, -1, s[24:25]
	v_cmp_ne_u32_e64 s[24:25], 0, v2
	v_xor_b32_e32 v2, s25, v5
	v_and_b32_e32 v5, exec_hi, v2
	v_lshlrev_b32_e32 v2, 30, v14
	v_xor_b32_e32 v3, s24, v3
	v_cmp_gt_i64_e64 s[24:25], 0, v[1:2]
	v_not_b32_e32 v2, v2
	v_ashrrev_i32_e32 v2, 31, v2
	v_and_b32_e32 v3, exec_lo, v3
	v_xor_b32_e32 v43, s25, v2
	v_xor_b32_e32 v2, s24, v2
	v_and_b32_e32 v3, v3, v2
	v_lshlrev_b32_e32 v2, 29, v14
	v_cmp_gt_i64_e64 s[24:25], 0, v[1:2]
	v_not_b32_e32 v2, v2
	v_ashrrev_i32_e32 v2, 31, v2
	v_and_b32_e32 v5, v5, v43
	v_xor_b32_e32 v43, s25, v2
	v_xor_b32_e32 v2, s24, v2
	v_and_b32_e32 v3, v3, v2
	v_lshlrev_b32_e32 v2, 28, v14
	v_cmp_gt_i64_e64 s[24:25], 0, v[1:2]
	v_not_b32_e32 v2, v2
	v_ashrrev_i32_e32 v2, 31, v2
	v_and_b32_e32 v5, v5, v43
	;; [unrolled: 8-line block ×5, first 2 shown]
	v_xor_b32_e32 v43, s25, v2
	v_xor_b32_e32 v2, s24, v2
	v_and_b32_e32 v5, v5, v43
	v_and_b32_e32 v43, v3, v2
	v_lshlrev_b32_e32 v2, 24, v14
	v_cmp_gt_i64_e64 s[24:25], 0, v[1:2]
	v_not_b32_e32 v2, v2
	v_ashrrev_i32_e32 v2, 31, v2
	v_xor_b32_e32 v3, s25, v2
	v_xor_b32_e32 v2, s24, v2
	v_and_b32_e32 v2, v43, v2
	v_and_b32_e32 v3, v5, v3
	v_mbcnt_lo_u32_b32 v5, v2, 0
	v_mbcnt_hi_u32_b32 v43, v3, v5
	v_cmp_ne_u64_e64 s[24:25], 0, v[2:3]
	v_cmp_eq_u32_e64 s[26:27], 0, v43
	s_and_b64 s[26:27], s[24:25], s[26:27]
	v_add_u32_e32 v44, v8, v4
	; wave barrier
	s_and_saveexec_b64 s[24:25], s[26:27]
	s_cbranch_execz .LBB262_18
; %bb.17:                               ;   in Loop: Header=BB262_2 Depth=1
	v_bcnt_u32_b32 v2, v2, 0
	v_bcnt_u32_b32 v2, v3, v2
	s_waitcnt lgkmcnt(0)
	v_add_u32_e32 v2, v41, v2
	ds_write_b32 v44, v2 offset:12
.LBB262_18:                             ;   in Loop: Header=BB262_2 Depth=1
	s_or_b64 exec, exec, s[24:25]
	; wave barrier
	s_waitcnt lgkmcnt(0)
	s_barrier
	ds_read2_b32 v[4:5], v7 offset0:3 offset1:4
	ds_read2_b32 v[2:3], v7 offset0:5 offset1:6
	s_waitcnt lgkmcnt(1)
	v_add_u32_e32 v45, v5, v4
	s_waitcnt lgkmcnt(0)
	v_add3_u32 v3, v45, v2, v3
	s_nop 1
	v_mov_b32_dpp v45, v3 row_shr:1 row_mask:0xf bank_mask:0xf
	v_cndmask_b32_e64 v45, v45, 0, vcc
	v_add_u32_e32 v3, v45, v3
	s_nop 1
	v_mov_b32_dpp v45, v3 row_shr:2 row_mask:0xf bank_mask:0xf
	v_cndmask_b32_e64 v45, 0, v45, s[0:1]
	v_add_u32_e32 v3, v3, v45
	s_nop 1
	v_mov_b32_dpp v45, v3 row_shr:4 row_mask:0xf bank_mask:0xf
	v_cndmask_b32_e64 v45, 0, v45, s[2:3]
	;; [unrolled: 4-line block ×3, first 2 shown]
	v_add_u32_e32 v3, v3, v45
	s_nop 1
	v_mov_b32_dpp v45, v3 row_bcast:15 row_mask:0xf bank_mask:0xf
	v_cndmask_b32_e64 v45, v45, 0, s[6:7]
	v_add_u32_e32 v3, v3, v45
	s_nop 1
	v_mov_b32_dpp v45, v3 row_bcast:31 row_mask:0xf bank_mask:0xf
	v_cndmask_b32_e64 v45, 0, v45, s[8:9]
	v_add_u32_e32 v3, v3, v45
	s_and_saveexec_b64 s[24:25], s[10:11]
; %bb.19:                               ;   in Loop: Header=BB262_2 Depth=1
	ds_write_b32 v10, v3
; %bb.20:                               ;   in Loop: Header=BB262_2 Depth=1
	s_or_b64 exec, exec, s[24:25]
	s_waitcnt lgkmcnt(0)
	s_barrier
	s_and_saveexec_b64 s[24:25], s[12:13]
	s_cbranch_execz .LBB262_22
; %bb.21:                               ;   in Loop: Header=BB262_2 Depth=1
	ds_read_b32 v45, v12
	s_waitcnt lgkmcnt(0)
	s_nop 0
	v_mov_b32_dpp v46, v45 row_shr:1 row_mask:0xf bank_mask:0xf
	v_cndmask_b32_e64 v46, v46, 0, s[20:21]
	v_add_u32_e32 v45, v46, v45
	s_nop 1
	v_mov_b32_dpp v46, v45 row_shr:2 row_mask:0xf bank_mask:0xf
	v_cndmask_b32_e64 v46, 0, v46, s[22:23]
	v_add_u32_e32 v45, v45, v46
	ds_write_b32 v12, v45
.LBB262_22:                             ;   in Loop: Header=BB262_2 Depth=1
	s_or_b64 exec, exec, s[24:25]
	v_mov_b32_e32 v45, 0
	s_waitcnt lgkmcnt(0)
	s_barrier
	s_and_saveexec_b64 s[24:25], s[14:15]
	s_cbranch_execz .LBB262_1
; %bb.23:                               ;   in Loop: Header=BB262_2 Depth=1
	v_add_u32_e32 v45, -4, v10
	ds_read_b32 v45, v45
	s_branch .LBB262_1
.LBB262_24:
	s_add_u32 s0, s30, s33
	s_addc_u32 s1, s31, 0
	global_store_byte v0, v2, s[0:1]
	global_store_byte v0, v5, s[0:1] offset:192
	global_store_byte v0, v14, s[0:1] offset:384
	;; [unrolled: 1-line block ×7, first 2 shown]
	s_endpgm
	.section	.rodata,"a",@progbits
	.p2align	6, 0x0
	.amdhsa_kernel _Z16sort_keys_kernelI22helper_blocked_stripedaLj192ELj8ELj10EEvPKT0_PS1_
		.amdhsa_group_segment_fixed_size 3088
		.amdhsa_private_segment_fixed_size 0
		.amdhsa_kernarg_size 272
		.amdhsa_user_sgpr_count 6
		.amdhsa_user_sgpr_private_segment_buffer 1
		.amdhsa_user_sgpr_dispatch_ptr 0
		.amdhsa_user_sgpr_queue_ptr 0
		.amdhsa_user_sgpr_kernarg_segment_ptr 1
		.amdhsa_user_sgpr_dispatch_id 0
		.amdhsa_user_sgpr_flat_scratch_init 0
		.amdhsa_user_sgpr_private_segment_size 0
		.amdhsa_uses_dynamic_stack 0
		.amdhsa_system_sgpr_private_segment_wavefront_offset 0
		.amdhsa_system_sgpr_workgroup_id_x 1
		.amdhsa_system_sgpr_workgroup_id_y 0
		.amdhsa_system_sgpr_workgroup_id_z 0
		.amdhsa_system_sgpr_workgroup_info 0
		.amdhsa_system_vgpr_workitem_id 2
		.amdhsa_next_free_vgpr 47
		.amdhsa_next_free_sgpr 36
		.amdhsa_reserve_vcc 1
		.amdhsa_reserve_flat_scratch 0
		.amdhsa_float_round_mode_32 0
		.amdhsa_float_round_mode_16_64 0
		.amdhsa_float_denorm_mode_32 3
		.amdhsa_float_denorm_mode_16_64 3
		.amdhsa_dx10_clamp 1
		.amdhsa_ieee_mode 1
		.amdhsa_fp16_overflow 0
		.amdhsa_exception_fp_ieee_invalid_op 0
		.amdhsa_exception_fp_denorm_src 0
		.amdhsa_exception_fp_ieee_div_zero 0
		.amdhsa_exception_fp_ieee_overflow 0
		.amdhsa_exception_fp_ieee_underflow 0
		.amdhsa_exception_fp_ieee_inexact 0
		.amdhsa_exception_int_div_zero 0
	.end_amdhsa_kernel
	.section	.text._Z16sort_keys_kernelI22helper_blocked_stripedaLj192ELj8ELj10EEvPKT0_PS1_,"axG",@progbits,_Z16sort_keys_kernelI22helper_blocked_stripedaLj192ELj8ELj10EEvPKT0_PS1_,comdat
.Lfunc_end262:
	.size	_Z16sort_keys_kernelI22helper_blocked_stripedaLj192ELj8ELj10EEvPKT0_PS1_, .Lfunc_end262-_Z16sort_keys_kernelI22helper_blocked_stripedaLj192ELj8ELj10EEvPKT0_PS1_
                                        ; -- End function
	.set _Z16sort_keys_kernelI22helper_blocked_stripedaLj192ELj8ELj10EEvPKT0_PS1_.num_vgpr, 47
	.set _Z16sort_keys_kernelI22helper_blocked_stripedaLj192ELj8ELj10EEvPKT0_PS1_.num_agpr, 0
	.set _Z16sort_keys_kernelI22helper_blocked_stripedaLj192ELj8ELj10EEvPKT0_PS1_.numbered_sgpr, 36
	.set _Z16sort_keys_kernelI22helper_blocked_stripedaLj192ELj8ELj10EEvPKT0_PS1_.num_named_barrier, 0
	.set _Z16sort_keys_kernelI22helper_blocked_stripedaLj192ELj8ELj10EEvPKT0_PS1_.private_seg_size, 0
	.set _Z16sort_keys_kernelI22helper_blocked_stripedaLj192ELj8ELj10EEvPKT0_PS1_.uses_vcc, 1
	.set _Z16sort_keys_kernelI22helper_blocked_stripedaLj192ELj8ELj10EEvPKT0_PS1_.uses_flat_scratch, 0
	.set _Z16sort_keys_kernelI22helper_blocked_stripedaLj192ELj8ELj10EEvPKT0_PS1_.has_dyn_sized_stack, 0
	.set _Z16sort_keys_kernelI22helper_blocked_stripedaLj192ELj8ELj10EEvPKT0_PS1_.has_recursion, 0
	.set _Z16sort_keys_kernelI22helper_blocked_stripedaLj192ELj8ELj10EEvPKT0_PS1_.has_indirect_call, 0
	.section	.AMDGPU.csdata,"",@progbits
; Kernel info:
; codeLenInByte = 4716
; TotalNumSgprs: 40
; NumVgprs: 47
; ScratchSize: 0
; MemoryBound: 0
; FloatMode: 240
; IeeeMode: 1
; LDSByteSize: 3088 bytes/workgroup (compile time only)
; SGPRBlocks: 4
; VGPRBlocks: 11
; NumSGPRsForWavesPerEU: 40
; NumVGPRsForWavesPerEU: 47
; Occupancy: 5
; WaveLimiterHint : 1
; COMPUTE_PGM_RSRC2:SCRATCH_EN: 0
; COMPUTE_PGM_RSRC2:USER_SGPR: 6
; COMPUTE_PGM_RSRC2:TRAP_HANDLER: 0
; COMPUTE_PGM_RSRC2:TGID_X_EN: 1
; COMPUTE_PGM_RSRC2:TGID_Y_EN: 0
; COMPUTE_PGM_RSRC2:TGID_Z_EN: 0
; COMPUTE_PGM_RSRC2:TIDIG_COMP_CNT: 2
	.section	.text._Z17sort_pairs_kernelI22helper_blocked_stripedaLj192ELj8ELj10EEvPKT0_PS1_,"axG",@progbits,_Z17sort_pairs_kernelI22helper_blocked_stripedaLj192ELj8ELj10EEvPKT0_PS1_,comdat
	.protected	_Z17sort_pairs_kernelI22helper_blocked_stripedaLj192ELj8ELj10EEvPKT0_PS1_ ; -- Begin function _Z17sort_pairs_kernelI22helper_blocked_stripedaLj192ELj8ELj10EEvPKT0_PS1_
	.globl	_Z17sort_pairs_kernelI22helper_blocked_stripedaLj192ELj8ELj10EEvPKT0_PS1_
	.p2align	8
	.type	_Z17sort_pairs_kernelI22helper_blocked_stripedaLj192ELj8ELj10EEvPKT0_PS1_,@function
_Z17sort_pairs_kernelI22helper_blocked_stripedaLj192ELj8ELj10EEvPKT0_PS1_: ; @_Z17sort_pairs_kernelI22helper_blocked_stripedaLj192ELj8ELj10EEvPKT0_PS1_
; %bb.0:
	s_load_dwordx4 s[28:31], s[4:5], 0x0
	s_load_dword s22, s[4:5], 0x1c
	s_mul_i32 s33, s6, 0x600
	v_lshlrev_b32_e32 v8, 3, v0
	v_mbcnt_lo_u32_b32 v6, -1, 0
	s_waitcnt lgkmcnt(0)
	s_add_u32 s0, s28, s33
	s_addc_u32 s1, s29, 0
	global_load_dwordx2 v[4:5], v8, s[0:1]
	s_lshr_b32 s23, s22, 16
	s_and_b32 s22, s22, 0xffff
	v_mad_u32_u24 v1, v2, s23, v1
	v_mad_u64_u32 v[1:2], s[22:23], v1, s22, v[0:1]
	v_mbcnt_hi_u32_b32 v11, -1, v6
	v_and_b32_e32 v9, 0xc0, v0
	v_subrev_co_u32_e64 v18, s[6:7], 1, v11
	v_and_b32_e32 v19, 64, v11
	v_mul_u32_u24_e32 v12, 3, v0
	v_and_b32_e32 v15, 15, v11
	v_min_u32_e32 v17, 0x80, v9
	v_cmp_lt_i32_e64 s[18:19], v18, v19
	s_movk_i32 s28, 0xff00
	v_mov_b32_e32 v14, 1
	v_lshrrev_b32_e32 v10, 4, v0
	v_add_lshl_u32 v7, v11, v9, 3
	v_and_b32_e32 v13, 0x600, v8
	v_and_b32_e32 v16, 16, v11
	v_add_u32_e32 v9, v0, v12
	v_cmp_eq_u32_e64 s[8:9], 0, v15
	v_cmp_lt_u32_e64 s[10:11], 1, v15
	v_cmp_lt_u32_e64 s[12:13], 3, v15
	;; [unrolled: 1-line block ×3, first 2 shown]
	v_or_b32_e32 v12, 63, v17
	v_cndmask_b32_e64 v15, v18, v11, s[18:19]
	v_lshrrev_b32_e32 v1, 4, v1
	v_cmp_lt_u32_e64 s[4:5], 31, v11
	v_and_b32_e32 v8, 12, v10
	v_and_b32_e32 v10, 3, v11
	v_cmp_eq_u32_e64 s[16:17], 0, v16
	v_add_u32_e32 v11, v11, v13
	v_cmp_eq_u32_e64 s[22:23], v0, v12
	v_lshlrev_b32_e32 v12, 2, v15
	v_and_b32_e32 v13, 0xffffffc, v1
	s_movk_i32 s24, 0x100
	s_movk_i32 s29, 0x80
	s_mov_b32 s34, 10
	s_movk_i32 s35, 0x8000
	v_mov_b32_e32 v3, 0
	s_mov_b32 s36, 0xc0c0004
	v_lshlrev_b32_e32 v6, 4, v0
	v_cmp_gt_u32_e32 vcc, 3, v0
	v_cmp_lt_u32_e64 s[0:1], 63, v0
	v_cmp_eq_u32_e64 s[2:3], 0, v0
	v_cmp_eq_u32_e64 s[18:19], 0, v10
	v_cmp_lt_u32_e64 s[20:21], 1, v10
	v_add_u32_e32 v10, -4, v8
	s_waitcnt vmcnt(0)
	v_and_b32_e32 v1, 0xffffff00, v4
	v_add_u16_e32 v2, 1, v4
	v_and_b32_sdwa v15, v4, s28 dst_sel:DWORD dst_unused:UNUSED_PAD src0_sel:WORD_1 src1_sel:DWORD
	v_add_u16_sdwa v16, v4, v14 dst_sel:DWORD dst_unused:UNUSED_PAD src0_sel:WORD_1 src1_sel:DWORD
	v_and_b32_e32 v17, 0xffffff00, v5
	v_add_u16_e32 v18, 1, v5
	v_and_b32_sdwa v19, v5, s28 dst_sel:DWORD dst_unused:UNUSED_PAD src0_sel:WORD_1 src1_sel:DWORD
	v_add_u16_sdwa v14, v5, v14 dst_sel:DWORD dst_unused:UNUSED_PAD src0_sel:WORD_1 src1_sel:DWORD
	v_or_b32_sdwa v1, v1, v2 dst_sel:DWORD dst_unused:UNUSED_PAD src0_sel:DWORD src1_sel:BYTE_0
	v_or_b32_sdwa v2, v15, v16 dst_sel:DWORD dst_unused:UNUSED_PAD src0_sel:DWORD src1_sel:BYTE_0
	;; [unrolled: 1-line block ×4, first 2 shown]
	v_add_u16_e32 v1, 0x100, v1
	v_add_u16_sdwa v2, v2, s24 dst_sel:WORD_1 dst_unused:UNUSED_PAD src0_sel:DWORD src1_sel:DWORD
	v_add_u16_e32 v15, 0x100, v15
	v_add_u16_sdwa v14, v14, s24 dst_sel:WORD_1 dst_unused:UNUSED_PAD src0_sel:DWORD src1_sel:DWORD
	v_or_b32_e32 v1, v1, v2
	v_or_b32_e32 v2, v15, v14
	v_mov_b32_e32 v14, 12
	s_branch .LBB263_2
.LBB263_1:                              ;   in Loop: Header=BB263_2 Depth=1
	s_or_b64 exec, exec, s[24:25]
	s_waitcnt lgkmcnt(0)
	v_add_u32_e32 v2, v54, v2
	ds_bpermute_b32 v2, v12, v2
	s_add_i32 s34, s34, -1
	s_cmp_eq_u32 s34, 0
	s_waitcnt lgkmcnt(0)
	v_cndmask_b32_e64 v2, v2, v54, s[6:7]
	v_cndmask_b32_e64 v2, v2, 0, s[2:3]
	v_add_u32_e32 v4, v2, v4
	v_add_u32_e32 v5, v4, v5
	;; [unrolled: 1-line block ×3, first 2 shown]
	ds_write2_b32 v6, v2, v4 offset0:3 offset1:4
	ds_write2_b32 v6, v5, v1 offset0:5 offset1:6
	s_waitcnt lgkmcnt(0)
	s_barrier
	ds_read_b32 v1, v32 offset:12
	ds_read_b32 v2, v35 offset:12
	;; [unrolled: 1-line block ×8, first 2 shown]
	s_waitcnt lgkmcnt(7)
	v_add_u32_e32 v1, v1, v31
	s_waitcnt lgkmcnt(6)
	v_add3_u32 v2, v34, v33, v2
	s_waitcnt lgkmcnt(5)
	v_add3_u32 v4, v37, v36, v4
	;; [unrolled: 2-line block ×3, first 2 shown]
	s_waitcnt lgkmcnt(0)
	s_barrier
	ds_write_b8 v1, v22
	ds_write_b8 v2, v21
	;; [unrolled: 1-line block ×4, first 2 shown]
	v_add3_u32 v19, v43, v42, v32
	ds_write_b8 v19, v18
	v_add3_u32 v18, v46, v45, v35
	ds_write_b8 v18, v17
	;; [unrolled: 2-line block ×4, first 2 shown]
	s_waitcnt lgkmcnt(0)
	s_barrier
	ds_read_u8 v31, v0
	ds_read_u8 v32, v0 offset:192
	ds_read_u8 v33, v0 offset:384
	;; [unrolled: 1-line block ×7, first 2 shown]
	s_waitcnt lgkmcnt(0)
	s_barrier
	ds_write_b8 v1, v23
	ds_write_b8 v2, v24
	;; [unrolled: 1-line block ×8, first 2 shown]
	v_xor_b32_e32 v24, 0xffffff80, v32
	v_xor_b32_e32 v26, 0xffffff80, v34
	s_waitcnt lgkmcnt(0)
	s_barrier
	ds_read_u8 v15, v0
	ds_read_u8 v16, v0 offset:192
	ds_read_u8 v17, v0 offset:384
	;; [unrolled: 1-line block ×7, first 2 shown]
	v_xor_b32_e32 v23, 0xffffff80, v31
	v_xor_b32_e32 v25, 0xffffff80, v33
	v_lshlrev_b16_e32 v1, 8, v24
	v_lshlrev_b16_e32 v2, 8, v26
	v_xor_b32_e32 v28, 0xffffff80, v36
	v_xor_b32_e32 v30, 0xffffff80, v38
	v_or_b32_sdwa v1, v23, v1 dst_sel:DWORD dst_unused:UNUSED_PAD src0_sel:BYTE_0 src1_sel:DWORD
	v_or_b32_sdwa v2, v25, v2 dst_sel:WORD_1 dst_unused:UNUSED_PAD src0_sel:BYTE_0 src1_sel:DWORD
	v_xor_b32_e32 v27, 0xffffff80, v35
	v_xor_b32_e32 v29, 0xffffff80, v37
	v_or_b32_sdwa v4, v1, v2 dst_sel:DWORD dst_unused:UNUSED_PAD src0_sel:WORD_0 src1_sel:DWORD
	v_lshlrev_b16_e32 v1, 8, v28
	v_lshlrev_b16_e32 v2, 8, v30
	v_or_b32_sdwa v1, v27, v1 dst_sel:DWORD dst_unused:UNUSED_PAD src0_sel:BYTE_0 src1_sel:DWORD
	v_or_b32_sdwa v2, v29, v2 dst_sel:WORD_1 dst_unused:UNUSED_PAD src0_sel:BYTE_0 src1_sel:DWORD
	v_or_b32_sdwa v5, v1, v2 dst_sel:DWORD dst_unused:UNUSED_PAD src0_sel:WORD_0 src1_sel:DWORD
	s_waitcnt lgkmcnt(6)
	v_perm_b32 v1, v15, v16, s36
	s_waitcnt lgkmcnt(4)
	v_perm_b32 v2, v17, v18, s36
	v_lshl_or_b32 v1, v2, 16, v1
	s_waitcnt lgkmcnt(2)
	v_perm_b32 v2, v19, v20, s36
	s_waitcnt lgkmcnt(0)
	v_perm_b32 v31, v21, v22, s36
	v_lshl_or_b32 v2, v31, 16, v2
	s_cbranch_scc1 .LBB263_24
.LBB263_2:                              ; =>This Inner Loop Header: Depth=1
	v_and_b32_e32 v15, 0xffffff00, v4
	v_xor_b32_e32 v16, 0x80, v4
	v_or_b32_sdwa v15, v16, v15 dst_sel:DWORD dst_unused:UNUSED_PAD src0_sel:BYTE_0 src1_sel:DWORD
	v_and_b32_sdwa v16, v4, s28 dst_sel:DWORD dst_unused:UNUSED_PAD src0_sel:WORD_1 src1_sel:DWORD
	v_xor_b32_sdwa v4, v4, s29 dst_sel:DWORD dst_unused:UNUSED_PAD src0_sel:WORD_1 src1_sel:DWORD
	v_or_b32_sdwa v4, v4, v16 dst_sel:DWORD dst_unused:UNUSED_PAD src0_sel:BYTE_0 src1_sel:DWORD
	v_add_u16_e32 v15, 0x8000, v15
	v_add_u16_sdwa v4, v4, s35 dst_sel:WORD_1 dst_unused:UNUSED_PAD src0_sel:DWORD src1_sel:DWORD
	v_or_b32_e32 v4, v15, v4
	v_and_b32_e32 v15, 0xffffff00, v5
	v_xor_b32_e32 v16, 0x80, v5
	v_or_b32_sdwa v15, v16, v15 dst_sel:DWORD dst_unused:UNUSED_PAD src0_sel:BYTE_0 src1_sel:DWORD
	v_and_b32_sdwa v16, v5, s28 dst_sel:DWORD dst_unused:UNUSED_PAD src0_sel:WORD_1 src1_sel:DWORD
	v_xor_b32_sdwa v5, v5, s29 dst_sel:DWORD dst_unused:UNUSED_PAD src0_sel:WORD_1 src1_sel:DWORD
	v_or_b32_sdwa v5, v5, v16 dst_sel:DWORD dst_unused:UNUSED_PAD src0_sel:BYTE_0 src1_sel:DWORD
	v_add_u16_e32 v15, 0x8000, v15
	v_add_u16_sdwa v5, v5, s35 dst_sel:WORD_1 dst_unused:UNUSED_PAD src0_sel:DWORD src1_sel:DWORD
	v_or_b32_e32 v5, v15, v5
	ds_write_b64 v7, v[4:5]
	; wave barrier
	ds_read_u8 v22, v11
	ds_read_u8 v21, v11 offset:64
	ds_read_u8 v20, v11 offset:128
	;; [unrolled: 1-line block ×7, first 2 shown]
	; wave barrier
	ds_write_b64 v7, v[1:2]
	s_waitcnt lgkmcnt(8)
	v_and_b32_e32 v1, 1, v22
	v_add_co_u32_e64 v2, s[24:25], -1, v1
	v_addc_co_u32_e64 v4, s[24:25], 0, -1, s[24:25]
	v_cmp_ne_u32_e64 s[24:25], 0, v1
	v_xor_b32_e32 v1, s25, v4
	v_lshlrev_b32_e32 v4, 30, v22
	v_xor_b32_e32 v2, s24, v2
	v_cmp_gt_i64_e64 s[24:25], 0, v[3:4]
	v_not_b32_e32 v4, v4
	v_ashrrev_i32_e32 v4, 31, v4
	v_and_b32_e32 v2, exec_lo, v2
	v_xor_b32_e32 v5, s25, v4
	v_xor_b32_e32 v4, s24, v4
	v_and_b32_e32 v2, v2, v4
	v_lshlrev_b32_e32 v4, 29, v22
	v_cmp_gt_i64_e64 s[24:25], 0, v[3:4]
	v_not_b32_e32 v4, v4
	v_and_b32_e32 v1, exec_hi, v1
	v_ashrrev_i32_e32 v4, 31, v4
	v_and_b32_e32 v1, v1, v5
	v_xor_b32_e32 v5, s25, v4
	v_xor_b32_e32 v4, s24, v4
	v_and_b32_e32 v2, v2, v4
	v_lshlrev_b32_e32 v4, 28, v22
	v_cmp_gt_i64_e64 s[24:25], 0, v[3:4]
	v_not_b32_e32 v4, v4
	v_ashrrev_i32_e32 v4, 31, v4
	v_and_b32_e32 v1, v1, v5
	v_xor_b32_e32 v5, s25, v4
	v_xor_b32_e32 v4, s24, v4
	v_and_b32_e32 v2, v2, v4
	v_lshlrev_b32_e32 v4, 27, v22
	v_cmp_gt_i64_e64 s[24:25], 0, v[3:4]
	v_not_b32_e32 v4, v4
	;; [unrolled: 8-line block ×4, first 2 shown]
	v_ashrrev_i32_e32 v4, 31, v4
	v_and_b32_e32 v1, v1, v5
	v_xor_b32_e32 v5, s25, v4
	v_xor_b32_e32 v4, s24, v4
	v_and_b32_e32 v1, v1, v5
	v_and_b32_e32 v5, v2, v4
	v_lshlrev_b32_e32 v4, 24, v22
	v_cmp_gt_i64_e64 s[24:25], 0, v[3:4]
	v_not_b32_e32 v2, v4
	v_ashrrev_i32_e32 v2, 31, v2
	v_xor_b32_e32 v4, s25, v2
	v_xor_b32_e32 v23, s24, v2
	; wave barrier
	v_and_b32_e32 v2, v1, v4
	v_and_b32_e32 v1, v5, v23
	ds_read_u8 v23, v11
	ds_read_u8 v24, v11 offset:64
	ds_read_u8 v25, v11 offset:128
	;; [unrolled: 1-line block ×7, first 2 shown]
	v_mbcnt_lo_u32_b32 v4, v1, 0
	v_mbcnt_hi_u32_b32 v31, v2, v4
	v_cmp_ne_u64_e64 s[24:25], 0, v[1:2]
	v_cmp_eq_u32_e64 s[26:27], 0, v31
	v_mul_u32_u24_sdwa v4, v22, v14 dst_sel:DWORD dst_unused:UNUSED_PAD src0_sel:BYTE_0 src1_sel:DWORD
	s_and_b64 s[26:27], s[24:25], s[26:27]
	v_add_u32_e32 v32, v13, v4
	s_waitcnt lgkmcnt(0)
	s_barrier
	ds_write2_b32 v6, v3, v3 offset0:3 offset1:4
	ds_write2_b32 v6, v3, v3 offset0:5 offset1:6
	s_waitcnt lgkmcnt(0)
	s_barrier
	; wave barrier
	s_and_saveexec_b64 s[24:25], s[26:27]
; %bb.3:                                ;   in Loop: Header=BB263_2 Depth=1
	v_bcnt_u32_b32 v1, v1, 0
	v_bcnt_u32_b32 v1, v2, v1
	ds_write_b32 v32, v1 offset:12
; %bb.4:                                ;   in Loop: Header=BB263_2 Depth=1
	s_or_b64 exec, exec, s[24:25]
	v_and_b32_e32 v1, 0xff, v21
	v_mul_u32_u24_e32 v5, 12, v1
	v_mad_u32_u24 v1, v1, 12, v13
	; wave barrier
	ds_read_b32 v33, v1 offset:12
	v_and_b32_e32 v1, 1, v21
	v_add_co_u32_e64 v2, s[24:25], -1, v1
	v_addc_co_u32_e64 v4, s[24:25], 0, -1, s[24:25]
	v_cmp_ne_u32_e64 s[24:25], 0, v1
	v_xor_b32_e32 v1, s25, v4
	v_lshlrev_b32_e32 v4, 30, v21
	v_xor_b32_e32 v2, s24, v2
	v_cmp_gt_i64_e64 s[24:25], 0, v[3:4]
	v_not_b32_e32 v4, v4
	v_ashrrev_i32_e32 v4, 31, v4
	v_and_b32_e32 v2, exec_lo, v2
	v_xor_b32_e32 v34, s25, v4
	v_xor_b32_e32 v4, s24, v4
	v_and_b32_e32 v2, v2, v4
	v_lshlrev_b32_e32 v4, 29, v21
	v_cmp_gt_i64_e64 s[24:25], 0, v[3:4]
	v_not_b32_e32 v4, v4
	v_and_b32_e32 v1, exec_hi, v1
	v_ashrrev_i32_e32 v4, 31, v4
	v_and_b32_e32 v1, v1, v34
	v_xor_b32_e32 v34, s25, v4
	v_xor_b32_e32 v4, s24, v4
	v_and_b32_e32 v2, v2, v4
	v_lshlrev_b32_e32 v4, 28, v21
	v_cmp_gt_i64_e64 s[24:25], 0, v[3:4]
	v_not_b32_e32 v4, v4
	v_ashrrev_i32_e32 v4, 31, v4
	v_and_b32_e32 v1, v1, v34
	v_xor_b32_e32 v34, s25, v4
	v_xor_b32_e32 v4, s24, v4
	v_and_b32_e32 v2, v2, v4
	v_lshlrev_b32_e32 v4, 27, v21
	v_cmp_gt_i64_e64 s[24:25], 0, v[3:4]
	v_not_b32_e32 v4, v4
	;; [unrolled: 8-line block ×4, first 2 shown]
	v_ashrrev_i32_e32 v4, 31, v4
	v_and_b32_e32 v1, v1, v34
	v_xor_b32_e32 v34, s25, v4
	v_xor_b32_e32 v4, s24, v4
	v_and_b32_e32 v1, v1, v34
	v_and_b32_e32 v34, v2, v4
	v_lshlrev_b32_e32 v4, 24, v21
	v_cmp_gt_i64_e64 s[24:25], 0, v[3:4]
	v_not_b32_e32 v2, v4
	v_ashrrev_i32_e32 v2, 31, v2
	v_xor_b32_e32 v4, s25, v2
	v_xor_b32_e32 v35, s24, v2
	v_and_b32_e32 v2, v1, v4
	v_and_b32_e32 v1, v34, v35
	v_mbcnt_lo_u32_b32 v4, v1, 0
	v_mbcnt_hi_u32_b32 v34, v2, v4
	v_cmp_ne_u64_e64 s[24:25], 0, v[1:2]
	v_cmp_eq_u32_e64 s[26:27], 0, v34
	s_and_b64 s[26:27], s[24:25], s[26:27]
	v_add_u32_e32 v35, v13, v5
	; wave barrier
	s_and_saveexec_b64 s[24:25], s[26:27]
	s_cbranch_execz .LBB263_6
; %bb.5:                                ;   in Loop: Header=BB263_2 Depth=1
	v_bcnt_u32_b32 v1, v1, 0
	v_bcnt_u32_b32 v1, v2, v1
	s_waitcnt lgkmcnt(0)
	v_add_u32_e32 v1, v33, v1
	ds_write_b32 v35, v1 offset:12
.LBB263_6:                              ;   in Loop: Header=BB263_2 Depth=1
	s_or_b64 exec, exec, s[24:25]
	v_and_b32_e32 v1, 0xff, v20
	v_mul_u32_u24_e32 v5, 12, v1
	v_mad_u32_u24 v1, v1, 12, v13
	; wave barrier
	ds_read_b32 v36, v1 offset:12
	v_and_b32_e32 v1, 1, v20
	v_add_co_u32_e64 v2, s[24:25], -1, v1
	v_addc_co_u32_e64 v4, s[24:25], 0, -1, s[24:25]
	v_cmp_ne_u32_e64 s[24:25], 0, v1
	v_xor_b32_e32 v1, s25, v4
	v_lshlrev_b32_e32 v4, 30, v20
	v_xor_b32_e32 v2, s24, v2
	v_cmp_gt_i64_e64 s[24:25], 0, v[3:4]
	v_not_b32_e32 v4, v4
	v_ashrrev_i32_e32 v4, 31, v4
	v_and_b32_e32 v2, exec_lo, v2
	v_xor_b32_e32 v37, s25, v4
	v_xor_b32_e32 v4, s24, v4
	v_and_b32_e32 v2, v2, v4
	v_lshlrev_b32_e32 v4, 29, v20
	v_cmp_gt_i64_e64 s[24:25], 0, v[3:4]
	v_not_b32_e32 v4, v4
	v_and_b32_e32 v1, exec_hi, v1
	v_ashrrev_i32_e32 v4, 31, v4
	v_and_b32_e32 v1, v1, v37
	v_xor_b32_e32 v37, s25, v4
	v_xor_b32_e32 v4, s24, v4
	v_and_b32_e32 v2, v2, v4
	v_lshlrev_b32_e32 v4, 28, v20
	v_cmp_gt_i64_e64 s[24:25], 0, v[3:4]
	v_not_b32_e32 v4, v4
	v_ashrrev_i32_e32 v4, 31, v4
	v_and_b32_e32 v1, v1, v37
	v_xor_b32_e32 v37, s25, v4
	v_xor_b32_e32 v4, s24, v4
	v_and_b32_e32 v2, v2, v4
	v_lshlrev_b32_e32 v4, 27, v20
	v_cmp_gt_i64_e64 s[24:25], 0, v[3:4]
	v_not_b32_e32 v4, v4
	;; [unrolled: 8-line block ×4, first 2 shown]
	v_ashrrev_i32_e32 v4, 31, v4
	v_and_b32_e32 v1, v1, v37
	v_xor_b32_e32 v37, s25, v4
	v_xor_b32_e32 v4, s24, v4
	v_and_b32_e32 v1, v1, v37
	v_and_b32_e32 v37, v2, v4
	v_lshlrev_b32_e32 v4, 24, v20
	v_cmp_gt_i64_e64 s[24:25], 0, v[3:4]
	v_not_b32_e32 v2, v4
	v_ashrrev_i32_e32 v2, 31, v2
	v_xor_b32_e32 v4, s25, v2
	v_xor_b32_e32 v38, s24, v2
	v_and_b32_e32 v2, v1, v4
	v_and_b32_e32 v1, v37, v38
	v_mbcnt_lo_u32_b32 v4, v1, 0
	v_mbcnt_hi_u32_b32 v37, v2, v4
	v_cmp_ne_u64_e64 s[24:25], 0, v[1:2]
	v_cmp_eq_u32_e64 s[26:27], 0, v37
	s_and_b64 s[26:27], s[24:25], s[26:27]
	v_add_u32_e32 v38, v13, v5
	; wave barrier
	s_and_saveexec_b64 s[24:25], s[26:27]
	s_cbranch_execz .LBB263_8
; %bb.7:                                ;   in Loop: Header=BB263_2 Depth=1
	v_bcnt_u32_b32 v1, v1, 0
	v_bcnt_u32_b32 v1, v2, v1
	s_waitcnt lgkmcnt(0)
	v_add_u32_e32 v1, v36, v1
	ds_write_b32 v38, v1 offset:12
.LBB263_8:                              ;   in Loop: Header=BB263_2 Depth=1
	s_or_b64 exec, exec, s[24:25]
	v_and_b32_e32 v1, 0xff, v19
	v_mul_u32_u24_e32 v5, 12, v1
	v_mad_u32_u24 v1, v1, 12, v13
	; wave barrier
	ds_read_b32 v39, v1 offset:12
	v_and_b32_e32 v1, 1, v19
	v_add_co_u32_e64 v2, s[24:25], -1, v1
	v_addc_co_u32_e64 v4, s[24:25], 0, -1, s[24:25]
	v_cmp_ne_u32_e64 s[24:25], 0, v1
	v_xor_b32_e32 v1, s25, v4
	v_lshlrev_b32_e32 v4, 30, v19
	v_xor_b32_e32 v2, s24, v2
	v_cmp_gt_i64_e64 s[24:25], 0, v[3:4]
	v_not_b32_e32 v4, v4
	v_ashrrev_i32_e32 v4, 31, v4
	v_and_b32_e32 v2, exec_lo, v2
	v_xor_b32_e32 v40, s25, v4
	v_xor_b32_e32 v4, s24, v4
	v_and_b32_e32 v2, v2, v4
	v_lshlrev_b32_e32 v4, 29, v19
	v_cmp_gt_i64_e64 s[24:25], 0, v[3:4]
	v_not_b32_e32 v4, v4
	v_and_b32_e32 v1, exec_hi, v1
	v_ashrrev_i32_e32 v4, 31, v4
	v_and_b32_e32 v1, v1, v40
	v_xor_b32_e32 v40, s25, v4
	v_xor_b32_e32 v4, s24, v4
	v_and_b32_e32 v2, v2, v4
	v_lshlrev_b32_e32 v4, 28, v19
	v_cmp_gt_i64_e64 s[24:25], 0, v[3:4]
	v_not_b32_e32 v4, v4
	v_ashrrev_i32_e32 v4, 31, v4
	v_and_b32_e32 v1, v1, v40
	v_xor_b32_e32 v40, s25, v4
	v_xor_b32_e32 v4, s24, v4
	v_and_b32_e32 v2, v2, v4
	v_lshlrev_b32_e32 v4, 27, v19
	v_cmp_gt_i64_e64 s[24:25], 0, v[3:4]
	v_not_b32_e32 v4, v4
	;; [unrolled: 8-line block ×4, first 2 shown]
	v_ashrrev_i32_e32 v4, 31, v4
	v_and_b32_e32 v1, v1, v40
	v_xor_b32_e32 v40, s25, v4
	v_xor_b32_e32 v4, s24, v4
	v_and_b32_e32 v1, v1, v40
	v_and_b32_e32 v40, v2, v4
	v_lshlrev_b32_e32 v4, 24, v19
	v_cmp_gt_i64_e64 s[24:25], 0, v[3:4]
	v_not_b32_e32 v2, v4
	v_ashrrev_i32_e32 v2, 31, v2
	v_xor_b32_e32 v4, s25, v2
	v_xor_b32_e32 v41, s24, v2
	v_and_b32_e32 v2, v1, v4
	v_and_b32_e32 v1, v40, v41
	v_mbcnt_lo_u32_b32 v4, v1, 0
	v_mbcnt_hi_u32_b32 v40, v2, v4
	v_cmp_ne_u64_e64 s[24:25], 0, v[1:2]
	v_cmp_eq_u32_e64 s[26:27], 0, v40
	s_and_b64 s[26:27], s[24:25], s[26:27]
	v_add_u32_e32 v41, v13, v5
	; wave barrier
	s_and_saveexec_b64 s[24:25], s[26:27]
	s_cbranch_execz .LBB263_10
; %bb.9:                                ;   in Loop: Header=BB263_2 Depth=1
	v_bcnt_u32_b32 v1, v1, 0
	v_bcnt_u32_b32 v1, v2, v1
	s_waitcnt lgkmcnt(0)
	v_add_u32_e32 v1, v39, v1
	ds_write_b32 v41, v1 offset:12
.LBB263_10:                             ;   in Loop: Header=BB263_2 Depth=1
	s_or_b64 exec, exec, s[24:25]
	v_and_b32_e32 v1, 0xff, v18
	v_mul_u32_u24_e32 v5, 12, v1
	v_mad_u32_u24 v1, v1, 12, v13
	; wave barrier
	ds_read_b32 v42, v1 offset:12
	v_and_b32_e32 v1, 1, v18
	v_add_co_u32_e64 v2, s[24:25], -1, v1
	v_addc_co_u32_e64 v4, s[24:25], 0, -1, s[24:25]
	v_cmp_ne_u32_e64 s[24:25], 0, v1
	v_xor_b32_e32 v1, s25, v4
	v_lshlrev_b32_e32 v4, 30, v18
	v_xor_b32_e32 v2, s24, v2
	v_cmp_gt_i64_e64 s[24:25], 0, v[3:4]
	v_not_b32_e32 v4, v4
	v_ashrrev_i32_e32 v4, 31, v4
	v_and_b32_e32 v2, exec_lo, v2
	v_xor_b32_e32 v43, s25, v4
	v_xor_b32_e32 v4, s24, v4
	v_and_b32_e32 v2, v2, v4
	v_lshlrev_b32_e32 v4, 29, v18
	v_cmp_gt_i64_e64 s[24:25], 0, v[3:4]
	v_not_b32_e32 v4, v4
	v_and_b32_e32 v1, exec_hi, v1
	v_ashrrev_i32_e32 v4, 31, v4
	v_and_b32_e32 v1, v1, v43
	v_xor_b32_e32 v43, s25, v4
	v_xor_b32_e32 v4, s24, v4
	v_and_b32_e32 v2, v2, v4
	v_lshlrev_b32_e32 v4, 28, v18
	v_cmp_gt_i64_e64 s[24:25], 0, v[3:4]
	v_not_b32_e32 v4, v4
	v_ashrrev_i32_e32 v4, 31, v4
	v_and_b32_e32 v1, v1, v43
	v_xor_b32_e32 v43, s25, v4
	v_xor_b32_e32 v4, s24, v4
	v_and_b32_e32 v2, v2, v4
	v_lshlrev_b32_e32 v4, 27, v18
	v_cmp_gt_i64_e64 s[24:25], 0, v[3:4]
	v_not_b32_e32 v4, v4
	;; [unrolled: 8-line block ×4, first 2 shown]
	v_ashrrev_i32_e32 v4, 31, v4
	v_and_b32_e32 v1, v1, v43
	v_xor_b32_e32 v43, s25, v4
	v_xor_b32_e32 v4, s24, v4
	v_and_b32_e32 v1, v1, v43
	v_and_b32_e32 v43, v2, v4
	v_lshlrev_b32_e32 v4, 24, v18
	v_cmp_gt_i64_e64 s[24:25], 0, v[3:4]
	v_not_b32_e32 v2, v4
	v_ashrrev_i32_e32 v2, 31, v2
	v_xor_b32_e32 v4, s25, v2
	v_xor_b32_e32 v44, s24, v2
	v_and_b32_e32 v2, v1, v4
	v_and_b32_e32 v1, v43, v44
	v_mbcnt_lo_u32_b32 v4, v1, 0
	v_mbcnt_hi_u32_b32 v43, v2, v4
	v_cmp_ne_u64_e64 s[24:25], 0, v[1:2]
	v_cmp_eq_u32_e64 s[26:27], 0, v43
	s_and_b64 s[26:27], s[24:25], s[26:27]
	v_add_u32_e32 v44, v13, v5
	; wave barrier
	s_and_saveexec_b64 s[24:25], s[26:27]
	s_cbranch_execz .LBB263_12
; %bb.11:                               ;   in Loop: Header=BB263_2 Depth=1
	v_bcnt_u32_b32 v1, v1, 0
	v_bcnt_u32_b32 v1, v2, v1
	s_waitcnt lgkmcnt(0)
	v_add_u32_e32 v1, v42, v1
	ds_write_b32 v44, v1 offset:12
.LBB263_12:                             ;   in Loop: Header=BB263_2 Depth=1
	s_or_b64 exec, exec, s[24:25]
	v_and_b32_e32 v1, 0xff, v17
	v_mul_u32_u24_e32 v5, 12, v1
	v_mad_u32_u24 v1, v1, 12, v13
	; wave barrier
	ds_read_b32 v45, v1 offset:12
	v_and_b32_e32 v1, 1, v17
	v_add_co_u32_e64 v2, s[24:25], -1, v1
	v_addc_co_u32_e64 v4, s[24:25], 0, -1, s[24:25]
	v_cmp_ne_u32_e64 s[24:25], 0, v1
	v_xor_b32_e32 v1, s25, v4
	v_lshlrev_b32_e32 v4, 30, v17
	v_xor_b32_e32 v2, s24, v2
	v_cmp_gt_i64_e64 s[24:25], 0, v[3:4]
	v_not_b32_e32 v4, v4
	v_ashrrev_i32_e32 v4, 31, v4
	v_and_b32_e32 v2, exec_lo, v2
	v_xor_b32_e32 v46, s25, v4
	v_xor_b32_e32 v4, s24, v4
	v_and_b32_e32 v2, v2, v4
	v_lshlrev_b32_e32 v4, 29, v17
	v_cmp_gt_i64_e64 s[24:25], 0, v[3:4]
	v_not_b32_e32 v4, v4
	v_and_b32_e32 v1, exec_hi, v1
	v_ashrrev_i32_e32 v4, 31, v4
	v_and_b32_e32 v1, v1, v46
	v_xor_b32_e32 v46, s25, v4
	v_xor_b32_e32 v4, s24, v4
	v_and_b32_e32 v2, v2, v4
	v_lshlrev_b32_e32 v4, 28, v17
	v_cmp_gt_i64_e64 s[24:25], 0, v[3:4]
	v_not_b32_e32 v4, v4
	v_ashrrev_i32_e32 v4, 31, v4
	v_and_b32_e32 v1, v1, v46
	v_xor_b32_e32 v46, s25, v4
	v_xor_b32_e32 v4, s24, v4
	v_and_b32_e32 v2, v2, v4
	v_lshlrev_b32_e32 v4, 27, v17
	v_cmp_gt_i64_e64 s[24:25], 0, v[3:4]
	v_not_b32_e32 v4, v4
	;; [unrolled: 8-line block ×4, first 2 shown]
	v_ashrrev_i32_e32 v4, 31, v4
	v_and_b32_e32 v1, v1, v46
	v_xor_b32_e32 v46, s25, v4
	v_xor_b32_e32 v4, s24, v4
	v_and_b32_e32 v1, v1, v46
	v_and_b32_e32 v46, v2, v4
	v_lshlrev_b32_e32 v4, 24, v17
	v_cmp_gt_i64_e64 s[24:25], 0, v[3:4]
	v_not_b32_e32 v2, v4
	v_ashrrev_i32_e32 v2, 31, v2
	v_xor_b32_e32 v4, s25, v2
	v_xor_b32_e32 v47, s24, v2
	v_and_b32_e32 v2, v1, v4
	v_and_b32_e32 v1, v46, v47
	v_mbcnt_lo_u32_b32 v4, v1, 0
	v_mbcnt_hi_u32_b32 v46, v2, v4
	v_cmp_ne_u64_e64 s[24:25], 0, v[1:2]
	v_cmp_eq_u32_e64 s[26:27], 0, v46
	s_and_b64 s[26:27], s[24:25], s[26:27]
	v_add_u32_e32 v47, v13, v5
	; wave barrier
	s_and_saveexec_b64 s[24:25], s[26:27]
	s_cbranch_execz .LBB263_14
; %bb.13:                               ;   in Loop: Header=BB263_2 Depth=1
	v_bcnt_u32_b32 v1, v1, 0
	v_bcnt_u32_b32 v1, v2, v1
	s_waitcnt lgkmcnt(0)
	v_add_u32_e32 v1, v45, v1
	ds_write_b32 v47, v1 offset:12
.LBB263_14:                             ;   in Loop: Header=BB263_2 Depth=1
	s_or_b64 exec, exec, s[24:25]
	v_and_b32_e32 v1, 0xff, v16
	v_mul_u32_u24_e32 v5, 12, v1
	v_mad_u32_u24 v1, v1, 12, v13
	; wave barrier
	ds_read_b32 v48, v1 offset:12
	v_and_b32_e32 v1, 1, v16
	v_add_co_u32_e64 v2, s[24:25], -1, v1
	v_addc_co_u32_e64 v4, s[24:25], 0, -1, s[24:25]
	v_cmp_ne_u32_e64 s[24:25], 0, v1
	v_xor_b32_e32 v1, s25, v4
	v_lshlrev_b32_e32 v4, 30, v16
	v_xor_b32_e32 v2, s24, v2
	v_cmp_gt_i64_e64 s[24:25], 0, v[3:4]
	v_not_b32_e32 v4, v4
	v_ashrrev_i32_e32 v4, 31, v4
	v_and_b32_e32 v2, exec_lo, v2
	v_xor_b32_e32 v49, s25, v4
	v_xor_b32_e32 v4, s24, v4
	v_and_b32_e32 v2, v2, v4
	v_lshlrev_b32_e32 v4, 29, v16
	v_cmp_gt_i64_e64 s[24:25], 0, v[3:4]
	v_not_b32_e32 v4, v4
	v_and_b32_e32 v1, exec_hi, v1
	v_ashrrev_i32_e32 v4, 31, v4
	v_and_b32_e32 v1, v1, v49
	v_xor_b32_e32 v49, s25, v4
	v_xor_b32_e32 v4, s24, v4
	v_and_b32_e32 v2, v2, v4
	v_lshlrev_b32_e32 v4, 28, v16
	v_cmp_gt_i64_e64 s[24:25], 0, v[3:4]
	v_not_b32_e32 v4, v4
	v_ashrrev_i32_e32 v4, 31, v4
	v_and_b32_e32 v1, v1, v49
	v_xor_b32_e32 v49, s25, v4
	v_xor_b32_e32 v4, s24, v4
	v_and_b32_e32 v2, v2, v4
	v_lshlrev_b32_e32 v4, 27, v16
	v_cmp_gt_i64_e64 s[24:25], 0, v[3:4]
	v_not_b32_e32 v4, v4
	;; [unrolled: 8-line block ×4, first 2 shown]
	v_ashrrev_i32_e32 v4, 31, v4
	v_and_b32_e32 v1, v1, v49
	v_xor_b32_e32 v49, s25, v4
	v_xor_b32_e32 v4, s24, v4
	v_and_b32_e32 v1, v1, v49
	v_and_b32_e32 v49, v2, v4
	v_lshlrev_b32_e32 v4, 24, v16
	v_cmp_gt_i64_e64 s[24:25], 0, v[3:4]
	v_not_b32_e32 v2, v4
	v_ashrrev_i32_e32 v2, 31, v2
	v_xor_b32_e32 v4, s25, v2
	v_xor_b32_e32 v50, s24, v2
	v_and_b32_e32 v2, v1, v4
	v_and_b32_e32 v1, v49, v50
	v_mbcnt_lo_u32_b32 v4, v1, 0
	v_mbcnt_hi_u32_b32 v49, v2, v4
	v_cmp_ne_u64_e64 s[24:25], 0, v[1:2]
	v_cmp_eq_u32_e64 s[26:27], 0, v49
	s_and_b64 s[26:27], s[24:25], s[26:27]
	v_add_u32_e32 v51, v13, v5
	; wave barrier
	s_and_saveexec_b64 s[24:25], s[26:27]
	s_cbranch_execz .LBB263_16
; %bb.15:                               ;   in Loop: Header=BB263_2 Depth=1
	v_bcnt_u32_b32 v1, v1, 0
	v_bcnt_u32_b32 v1, v2, v1
	s_waitcnt lgkmcnt(0)
	v_add_u32_e32 v1, v48, v1
	ds_write_b32 v51, v1 offset:12
.LBB263_16:                             ;   in Loop: Header=BB263_2 Depth=1
	s_or_b64 exec, exec, s[24:25]
	v_and_b32_e32 v1, 0xff, v15
	v_mul_u32_u24_e32 v5, 12, v1
	v_mad_u32_u24 v1, v1, 12, v13
	; wave barrier
	ds_read_b32 v50, v1 offset:12
	v_and_b32_e32 v1, 1, v15
	v_add_co_u32_e64 v2, s[24:25], -1, v1
	v_addc_co_u32_e64 v4, s[24:25], 0, -1, s[24:25]
	v_cmp_ne_u32_e64 s[24:25], 0, v1
	v_xor_b32_e32 v1, s25, v4
	v_lshlrev_b32_e32 v4, 30, v15
	v_xor_b32_e32 v2, s24, v2
	v_cmp_gt_i64_e64 s[24:25], 0, v[3:4]
	v_not_b32_e32 v4, v4
	v_ashrrev_i32_e32 v4, 31, v4
	v_and_b32_e32 v2, exec_lo, v2
	v_xor_b32_e32 v52, s25, v4
	v_xor_b32_e32 v4, s24, v4
	v_and_b32_e32 v2, v2, v4
	v_lshlrev_b32_e32 v4, 29, v15
	v_cmp_gt_i64_e64 s[24:25], 0, v[3:4]
	v_not_b32_e32 v4, v4
	v_and_b32_e32 v1, exec_hi, v1
	v_ashrrev_i32_e32 v4, 31, v4
	v_and_b32_e32 v1, v1, v52
	v_xor_b32_e32 v52, s25, v4
	v_xor_b32_e32 v4, s24, v4
	v_and_b32_e32 v2, v2, v4
	v_lshlrev_b32_e32 v4, 28, v15
	v_cmp_gt_i64_e64 s[24:25], 0, v[3:4]
	v_not_b32_e32 v4, v4
	v_ashrrev_i32_e32 v4, 31, v4
	v_and_b32_e32 v1, v1, v52
	v_xor_b32_e32 v52, s25, v4
	v_xor_b32_e32 v4, s24, v4
	v_and_b32_e32 v2, v2, v4
	v_lshlrev_b32_e32 v4, 27, v15
	v_cmp_gt_i64_e64 s[24:25], 0, v[3:4]
	v_not_b32_e32 v4, v4
	;; [unrolled: 8-line block ×4, first 2 shown]
	v_ashrrev_i32_e32 v4, 31, v4
	v_and_b32_e32 v1, v1, v52
	v_xor_b32_e32 v52, s25, v4
	v_xor_b32_e32 v4, s24, v4
	v_and_b32_e32 v1, v1, v52
	v_and_b32_e32 v52, v2, v4
	v_lshlrev_b32_e32 v4, 24, v15
	v_cmp_gt_i64_e64 s[24:25], 0, v[3:4]
	v_not_b32_e32 v2, v4
	v_ashrrev_i32_e32 v2, 31, v2
	v_xor_b32_e32 v4, s25, v2
	v_xor_b32_e32 v53, s24, v2
	v_and_b32_e32 v2, v1, v4
	v_and_b32_e32 v1, v52, v53
	v_mbcnt_lo_u32_b32 v4, v1, 0
	v_mbcnt_hi_u32_b32 v52, v2, v4
	v_cmp_ne_u64_e64 s[24:25], 0, v[1:2]
	v_cmp_eq_u32_e64 s[26:27], 0, v52
	s_and_b64 s[26:27], s[24:25], s[26:27]
	v_add_u32_e32 v53, v13, v5
	; wave barrier
	s_and_saveexec_b64 s[24:25], s[26:27]
	s_cbranch_execz .LBB263_18
; %bb.17:                               ;   in Loop: Header=BB263_2 Depth=1
	v_bcnt_u32_b32 v1, v1, 0
	v_bcnt_u32_b32 v1, v2, v1
	s_waitcnt lgkmcnt(0)
	v_add_u32_e32 v1, v50, v1
	ds_write_b32 v53, v1 offset:12
.LBB263_18:                             ;   in Loop: Header=BB263_2 Depth=1
	s_or_b64 exec, exec, s[24:25]
	; wave barrier
	s_waitcnt lgkmcnt(0)
	s_barrier
	ds_read2_b32 v[4:5], v6 offset0:3 offset1:4
	ds_read2_b32 v[1:2], v6 offset0:5 offset1:6
	s_waitcnt lgkmcnt(1)
	v_add_u32_e32 v54, v5, v4
	s_waitcnt lgkmcnt(0)
	v_add3_u32 v2, v54, v1, v2
	s_nop 1
	v_mov_b32_dpp v54, v2 row_shr:1 row_mask:0xf bank_mask:0xf
	v_cndmask_b32_e64 v54, v54, 0, s[8:9]
	v_add_u32_e32 v2, v54, v2
	s_nop 1
	v_mov_b32_dpp v54, v2 row_shr:2 row_mask:0xf bank_mask:0xf
	v_cndmask_b32_e64 v54, 0, v54, s[10:11]
	v_add_u32_e32 v2, v2, v54
	;; [unrolled: 4-line block ×4, first 2 shown]
	s_nop 1
	v_mov_b32_dpp v54, v2 row_bcast:15 row_mask:0xf bank_mask:0xf
	v_cndmask_b32_e64 v54, v54, 0, s[16:17]
	v_add_u32_e32 v2, v2, v54
	s_nop 1
	v_mov_b32_dpp v54, v2 row_bcast:31 row_mask:0xf bank_mask:0xf
	v_cndmask_b32_e64 v54, 0, v54, s[4:5]
	v_add_u32_e32 v2, v2, v54
	s_and_saveexec_b64 s[24:25], s[22:23]
; %bb.19:                               ;   in Loop: Header=BB263_2 Depth=1
	ds_write_b32 v8, v2
; %bb.20:                               ;   in Loop: Header=BB263_2 Depth=1
	s_or_b64 exec, exec, s[24:25]
	s_waitcnt lgkmcnt(0)
	s_barrier
	s_and_saveexec_b64 s[24:25], vcc
	s_cbranch_execz .LBB263_22
; %bb.21:                               ;   in Loop: Header=BB263_2 Depth=1
	ds_read_b32 v54, v9
	s_waitcnt lgkmcnt(0)
	s_nop 0
	v_mov_b32_dpp v55, v54 row_shr:1 row_mask:0xf bank_mask:0xf
	v_cndmask_b32_e64 v55, v55, 0, s[18:19]
	v_add_u32_e32 v54, v55, v54
	s_nop 1
	v_mov_b32_dpp v55, v54 row_shr:2 row_mask:0xf bank_mask:0xf
	v_cndmask_b32_e64 v55, 0, v55, s[20:21]
	v_add_u32_e32 v54, v54, v55
	ds_write_b32 v9, v54
.LBB263_22:                             ;   in Loop: Header=BB263_2 Depth=1
	s_or_b64 exec, exec, s[24:25]
	v_mov_b32_e32 v54, 0
	s_waitcnt lgkmcnt(0)
	s_barrier
	s_and_saveexec_b64 s[24:25], s[0:1]
	s_cbranch_execz .LBB263_1
; %bb.23:                               ;   in Loop: Header=BB263_2 Depth=1
	ds_read_b32 v54, v10
	s_branch .LBB263_1
.LBB263_24:
	s_add_u32 s0, s30, s33
	v_add_u16_e32 v1, v23, v15
	s_addc_u32 s1, s31, 0
	v_add_u16_e32 v2, v24, v16
	v_add_u16_e32 v3, v25, v17
	;; [unrolled: 1-line block ×7, first 2 shown]
	global_store_byte v0, v1, s[0:1]
	global_store_byte v0, v2, s[0:1] offset:192
	global_store_byte v0, v3, s[0:1] offset:384
	;; [unrolled: 1-line block ×7, first 2 shown]
	s_endpgm
	.section	.rodata,"a",@progbits
	.p2align	6, 0x0
	.amdhsa_kernel _Z17sort_pairs_kernelI22helper_blocked_stripedaLj192ELj8ELj10EEvPKT0_PS1_
		.amdhsa_group_segment_fixed_size 3088
		.amdhsa_private_segment_fixed_size 0
		.amdhsa_kernarg_size 272
		.amdhsa_user_sgpr_count 6
		.amdhsa_user_sgpr_private_segment_buffer 1
		.amdhsa_user_sgpr_dispatch_ptr 0
		.amdhsa_user_sgpr_queue_ptr 0
		.amdhsa_user_sgpr_kernarg_segment_ptr 1
		.amdhsa_user_sgpr_dispatch_id 0
		.amdhsa_user_sgpr_flat_scratch_init 0
		.amdhsa_user_sgpr_private_segment_size 0
		.amdhsa_uses_dynamic_stack 0
		.amdhsa_system_sgpr_private_segment_wavefront_offset 0
		.amdhsa_system_sgpr_workgroup_id_x 1
		.amdhsa_system_sgpr_workgroup_id_y 0
		.amdhsa_system_sgpr_workgroup_id_z 0
		.amdhsa_system_sgpr_workgroup_info 0
		.amdhsa_system_vgpr_workitem_id 2
		.amdhsa_next_free_vgpr 56
		.amdhsa_next_free_sgpr 37
		.amdhsa_reserve_vcc 1
		.amdhsa_reserve_flat_scratch 0
		.amdhsa_float_round_mode_32 0
		.amdhsa_float_round_mode_16_64 0
		.amdhsa_float_denorm_mode_32 3
		.amdhsa_float_denorm_mode_16_64 3
		.amdhsa_dx10_clamp 1
		.amdhsa_ieee_mode 1
		.amdhsa_fp16_overflow 0
		.amdhsa_exception_fp_ieee_invalid_op 0
		.amdhsa_exception_fp_denorm_src 0
		.amdhsa_exception_fp_ieee_div_zero 0
		.amdhsa_exception_fp_ieee_overflow 0
		.amdhsa_exception_fp_ieee_underflow 0
		.amdhsa_exception_fp_ieee_inexact 0
		.amdhsa_exception_int_div_zero 0
	.end_amdhsa_kernel
	.section	.text._Z17sort_pairs_kernelI22helper_blocked_stripedaLj192ELj8ELj10EEvPKT0_PS1_,"axG",@progbits,_Z17sort_pairs_kernelI22helper_blocked_stripedaLj192ELj8ELj10EEvPKT0_PS1_,comdat
.Lfunc_end263:
	.size	_Z17sort_pairs_kernelI22helper_blocked_stripedaLj192ELj8ELj10EEvPKT0_PS1_, .Lfunc_end263-_Z17sort_pairs_kernelI22helper_blocked_stripedaLj192ELj8ELj10EEvPKT0_PS1_
                                        ; -- End function
	.set _Z17sort_pairs_kernelI22helper_blocked_stripedaLj192ELj8ELj10EEvPKT0_PS1_.num_vgpr, 56
	.set _Z17sort_pairs_kernelI22helper_blocked_stripedaLj192ELj8ELj10EEvPKT0_PS1_.num_agpr, 0
	.set _Z17sort_pairs_kernelI22helper_blocked_stripedaLj192ELj8ELj10EEvPKT0_PS1_.numbered_sgpr, 37
	.set _Z17sort_pairs_kernelI22helper_blocked_stripedaLj192ELj8ELj10EEvPKT0_PS1_.num_named_barrier, 0
	.set _Z17sort_pairs_kernelI22helper_blocked_stripedaLj192ELj8ELj10EEvPKT0_PS1_.private_seg_size, 0
	.set _Z17sort_pairs_kernelI22helper_blocked_stripedaLj192ELj8ELj10EEvPKT0_PS1_.uses_vcc, 1
	.set _Z17sort_pairs_kernelI22helper_blocked_stripedaLj192ELj8ELj10EEvPKT0_PS1_.uses_flat_scratch, 0
	.set _Z17sort_pairs_kernelI22helper_blocked_stripedaLj192ELj8ELj10EEvPKT0_PS1_.has_dyn_sized_stack, 0
	.set _Z17sort_pairs_kernelI22helper_blocked_stripedaLj192ELj8ELj10EEvPKT0_PS1_.has_recursion, 0
	.set _Z17sort_pairs_kernelI22helper_blocked_stripedaLj192ELj8ELj10EEvPKT0_PS1_.has_indirect_call, 0
	.section	.AMDGPU.csdata,"",@progbits
; Kernel info:
; codeLenInByte = 5168
; TotalNumSgprs: 41
; NumVgprs: 56
; ScratchSize: 0
; MemoryBound: 0
; FloatMode: 240
; IeeeMode: 1
; LDSByteSize: 3088 bytes/workgroup (compile time only)
; SGPRBlocks: 5
; VGPRBlocks: 13
; NumSGPRsForWavesPerEU: 41
; NumVGPRsForWavesPerEU: 56
; Occupancy: 4
; WaveLimiterHint : 1
; COMPUTE_PGM_RSRC2:SCRATCH_EN: 0
; COMPUTE_PGM_RSRC2:USER_SGPR: 6
; COMPUTE_PGM_RSRC2:TRAP_HANDLER: 0
; COMPUTE_PGM_RSRC2:TGID_X_EN: 1
; COMPUTE_PGM_RSRC2:TGID_Y_EN: 0
; COMPUTE_PGM_RSRC2:TGID_Z_EN: 0
; COMPUTE_PGM_RSRC2:TIDIG_COMP_CNT: 2
	.section	.text._Z16sort_keys_kernelI22helper_blocked_stripedaLj256ELj1ELj10EEvPKT0_PS1_,"axG",@progbits,_Z16sort_keys_kernelI22helper_blocked_stripedaLj256ELj1ELj10EEvPKT0_PS1_,comdat
	.protected	_Z16sort_keys_kernelI22helper_blocked_stripedaLj256ELj1ELj10EEvPKT0_PS1_ ; -- Begin function _Z16sort_keys_kernelI22helper_blocked_stripedaLj256ELj1ELj10EEvPKT0_PS1_
	.globl	_Z16sort_keys_kernelI22helper_blocked_stripedaLj256ELj1ELj10EEvPKT0_PS1_
	.p2align	8
	.type	_Z16sort_keys_kernelI22helper_blocked_stripedaLj256ELj1ELj10EEvPKT0_PS1_,@function
_Z16sort_keys_kernelI22helper_blocked_stripedaLj256ELj1ELj10EEvPKT0_PS1_: ; @_Z16sort_keys_kernelI22helper_blocked_stripedaLj256ELj1ELj10EEvPKT0_PS1_
; %bb.0:
	s_load_dwordx4 s[28:31], s[4:5], 0x0
	s_load_dword s22, s[4:5], 0x1c
	s_lshl_b32 s33, s6, 8
	v_mbcnt_lo_u32_b32 v4, -1, 0
	v_mbcnt_hi_u32_b32 v4, -1, v4
	s_waitcnt lgkmcnt(0)
	s_add_u32 s0, s28, s33
	s_addc_u32 s1, s29, 0
	global_load_ubyte v3, v0, s[0:1]
	s_lshr_b32 s23, s22, 16
	s_and_b32 s22, s22, 0xffff
	v_mad_u32_u24 v1, v2, s23, v1
	v_mad_u64_u32 v[1:2], s[22:23], v1, s22, v[0:1]
	v_or_b32_e32 v6, 63, v0
	s_mov_b32 s10, 0
	v_cmp_eq_u32_e64 s[6:7], v0, v6
	v_subrev_co_u32_e64 v6, s[8:9], 1, v4
	v_and_b32_e32 v16, 64, v4
	v_lshrrev_b32_e32 v7, 4, v0
	s_mov_b32 s12, s10
	v_cmp_lt_i32_e64 s[20:21], v6, v16
	v_mul_u32_u24_e32 v13, 3, v0
	s_mov_b32 s11, s10
	s_mov_b32 s13, s10
	v_and_b32_e32 v14, 15, v4
	v_and_b32_e32 v15, 16, v4
	v_cmp_lt_u32_e64 s[4:5], 31, v4
	v_and_b32_e32 v12, 12, v7
	v_and_b32_e32 v17, 3, v4
	v_mov_b32_e32 v7, s10
	v_mov_b32_e32 v9, s12
	v_cndmask_b32_e64 v4, v6, v4, s[20:21]
	v_lshrrev_b32_e32 v1, 4, v1
	v_mov_b32_e32 v5, 0
	s_mov_b32 s28, 10
	v_lshlrev_b32_e32 v11, 4, v0
	v_cmp_gt_u32_e32 vcc, 4, v0
	v_cmp_lt_u32_e64 s[0:1], 63, v0
	v_cmp_eq_u32_e64 s[2:3], 0, v0
	v_mov_b32_e32 v8, s11
	v_mov_b32_e32 v10, s13
	v_add_u32_e32 v13, v0, v13
	v_cmp_eq_u32_e64 s[10:11], 0, v14
	v_cmp_lt_u32_e64 s[12:13], 1, v14
	v_cmp_lt_u32_e64 s[14:15], 3, v14
	;; [unrolled: 1-line block ×3, first 2 shown]
	v_cmp_eq_u32_e64 s[18:19], 0, v15
	v_cmp_eq_u32_e64 s[20:21], 0, v17
	v_cmp_lt_u32_e64 s[22:23], 1, v17
	v_add_u32_e32 v14, -4, v12
	v_lshlrev_b32_e32 v15, 2, v4
	v_and_b32_e32 v16, 0xffffffc, v1
	v_mov_b32_e32 v17, 4
	s_waitcnt vmcnt(0)
	v_xor_b32_e32 v18, 0xffffff80, v3
	s_branch .LBB264_2
.LBB264_1:                              ;   in Loop: Header=BB264_2 Depth=1
	s_or_b64 exec, exec, s[24:25]
	s_waitcnt lgkmcnt(0)
	v_add_u32_e32 v4, v20, v4
	ds_bpermute_b32 v4, v15, v4
	s_add_i32 s28, s28, -1
	s_cmp_eq_u32 s28, 0
	s_waitcnt lgkmcnt(0)
	v_cndmask_b32_e64 v4, v4, v20, s[8:9]
	v_cndmask_b32_e64 v20, v4, 0, s[2:3]
	v_add_u32_e32 v21, v20, v1
	v_add_u32_e32 v1, v21, v2
	;; [unrolled: 1-line block ×3, first 2 shown]
	ds_write2_b64 v11, v[20:21], v[1:2] offset0:2 offset1:3
	s_waitcnt lgkmcnt(0)
	s_barrier
	ds_read_b32 v1, v19 offset:16
	s_waitcnt lgkmcnt(0)
	s_barrier
	v_add_u32_e32 v1, v1, v6
	ds_write_b8 v1, v18
	s_waitcnt lgkmcnt(0)
	s_barrier
	ds_read_u8 v18, v0
	s_cbranch_scc1 .LBB264_10
.LBB264_2:                              ; =>This Inner Loop Header: Depth=1
	s_waitcnt lgkmcnt(0)
	v_and_b32_e32 v1, 1, v18
	v_add_co_u32_e64 v2, s[24:25], -1, v1
	v_addc_co_u32_e64 v4, s[24:25], 0, -1, s[24:25]
	v_cmp_ne_u32_e64 s[24:25], 0, v1
	v_lshlrev_b32_e32 v6, 30, v18
	v_xor_b32_e32 v1, s25, v4
	v_xor_b32_e32 v2, s24, v2
	v_cmp_gt_i64_e64 s[24:25], 0, v[5:6]
	v_not_b32_e32 v4, v6
	v_ashrrev_i32_e32 v4, 31, v4
	v_and_b32_e32 v1, exec_hi, v1
	v_xor_b32_e32 v6, s25, v4
	v_and_b32_e32 v2, exec_lo, v2
	v_xor_b32_e32 v4, s24, v4
	v_and_b32_e32 v1, v1, v6
	v_lshlrev_b32_e32 v6, 29, v18
	v_and_b32_e32 v2, v2, v4
	v_cmp_gt_i64_e64 s[24:25], 0, v[5:6]
	v_not_b32_e32 v4, v6
	v_ashrrev_i32_e32 v4, 31, v4
	v_xor_b32_e32 v6, s25, v4
	v_xor_b32_e32 v4, s24, v4
	v_and_b32_e32 v1, v1, v6
	v_lshlrev_b32_e32 v6, 28, v18
	v_and_b32_e32 v2, v2, v4
	v_cmp_gt_i64_e64 s[24:25], 0, v[5:6]
	v_not_b32_e32 v4, v6
	v_ashrrev_i32_e32 v4, 31, v4
	v_xor_b32_e32 v6, s25, v4
	;; [unrolled: 8-line block ×6, first 2 shown]
	v_xor_b32_e32 v19, s24, v2
	v_and_b32_e32 v2, v1, v6
	v_and_b32_e32 v1, v4, v19
	v_mbcnt_lo_u32_b32 v4, v1, 0
	v_mbcnt_hi_u32_b32 v6, v2, v4
	v_cmp_ne_u64_e64 s[24:25], 0, v[1:2]
	v_lshlrev_b32_sdwa v3, v17, v18 dst_sel:DWORD dst_unused:UNUSED_PAD src0_sel:DWORD src1_sel:BYTE_0
	v_cmp_eq_u32_e64 s[26:27], 0, v6
	s_and_b64 s[26:27], s[24:25], s[26:27]
	v_add_u32_e32 v19, v16, v3
	ds_write2_b64 v11, v[7:8], v[9:10] offset0:2 offset1:3
	s_waitcnt lgkmcnt(0)
	s_barrier
	; wave barrier
	s_and_saveexec_b64 s[24:25], s[26:27]
; %bb.3:                                ;   in Loop: Header=BB264_2 Depth=1
	v_bcnt_u32_b32 v1, v1, 0
	v_bcnt_u32_b32 v1, v2, v1
	ds_write_b32 v19, v1 offset:16
; %bb.4:                                ;   in Loop: Header=BB264_2 Depth=1
	s_or_b64 exec, exec, s[24:25]
	; wave barrier
	s_waitcnt lgkmcnt(0)
	s_barrier
	ds_read2_b64 v[1:4], v11 offset0:2 offset1:3
	s_waitcnt lgkmcnt(0)
	v_add_u32_e32 v20, v2, v1
	v_add3_u32 v4, v20, v3, v4
	s_nop 1
	v_mov_b32_dpp v20, v4 row_shr:1 row_mask:0xf bank_mask:0xf
	v_cndmask_b32_e64 v20, v20, 0, s[10:11]
	v_add_u32_e32 v4, v20, v4
	s_nop 1
	v_mov_b32_dpp v20, v4 row_shr:2 row_mask:0xf bank_mask:0xf
	v_cndmask_b32_e64 v20, 0, v20, s[12:13]
	v_add_u32_e32 v4, v4, v20
	s_nop 1
	v_mov_b32_dpp v20, v4 row_shr:4 row_mask:0xf bank_mask:0xf
	v_cndmask_b32_e64 v20, 0, v20, s[14:15]
	v_add_u32_e32 v4, v4, v20
	s_nop 1
	v_mov_b32_dpp v20, v4 row_shr:8 row_mask:0xf bank_mask:0xf
	v_cndmask_b32_e64 v20, 0, v20, s[16:17]
	v_add_u32_e32 v4, v4, v20
	s_nop 1
	v_mov_b32_dpp v20, v4 row_bcast:15 row_mask:0xf bank_mask:0xf
	v_cndmask_b32_e64 v20, v20, 0, s[18:19]
	v_add_u32_e32 v4, v4, v20
	s_nop 1
	v_mov_b32_dpp v20, v4 row_bcast:31 row_mask:0xf bank_mask:0xf
	v_cndmask_b32_e64 v20, 0, v20, s[4:5]
	v_add_u32_e32 v4, v4, v20
	s_and_saveexec_b64 s[24:25], s[6:7]
; %bb.5:                                ;   in Loop: Header=BB264_2 Depth=1
	ds_write_b32 v12, v4
; %bb.6:                                ;   in Loop: Header=BB264_2 Depth=1
	s_or_b64 exec, exec, s[24:25]
	s_waitcnt lgkmcnt(0)
	s_barrier
	s_and_saveexec_b64 s[24:25], vcc
	s_cbranch_execz .LBB264_8
; %bb.7:                                ;   in Loop: Header=BB264_2 Depth=1
	ds_read_b32 v20, v13
	s_waitcnt lgkmcnt(0)
	s_nop 0
	v_mov_b32_dpp v21, v20 row_shr:1 row_mask:0xf bank_mask:0xf
	v_cndmask_b32_e64 v21, v21, 0, s[20:21]
	v_add_u32_e32 v20, v21, v20
	s_nop 1
	v_mov_b32_dpp v21, v20 row_shr:2 row_mask:0xf bank_mask:0xf
	v_cndmask_b32_e64 v21, 0, v21, s[22:23]
	v_add_u32_e32 v20, v20, v21
	ds_write_b32 v13, v20
.LBB264_8:                              ;   in Loop: Header=BB264_2 Depth=1
	s_or_b64 exec, exec, s[24:25]
	v_mov_b32_e32 v20, 0
	s_waitcnt lgkmcnt(0)
	s_barrier
	s_and_saveexec_b64 s[24:25], s[0:1]
	s_cbranch_execz .LBB264_1
; %bb.9:                                ;   in Loop: Header=BB264_2 Depth=1
	ds_read_b32 v20, v14
	s_branch .LBB264_1
.LBB264_10:
	s_add_u32 s0, s30, s33
	s_addc_u32 s1, s31, 0
	v_mov_b32_e32 v1, s1
	v_add_co_u32_e32 v0, vcc, s0, v0
	s_waitcnt lgkmcnt(0)
	v_xor_b32_e32 v2, 0x80, v18
	v_addc_co_u32_e32 v1, vcc, 0, v1, vcc
	global_store_byte v[0:1], v2, off
	s_endpgm
	.section	.rodata,"a",@progbits
	.p2align	6, 0x0
	.amdhsa_kernel _Z16sort_keys_kernelI22helper_blocked_stripedaLj256ELj1ELj10EEvPKT0_PS1_
		.amdhsa_group_segment_fixed_size 4112
		.amdhsa_private_segment_fixed_size 0
		.amdhsa_kernarg_size 272
		.amdhsa_user_sgpr_count 6
		.amdhsa_user_sgpr_private_segment_buffer 1
		.amdhsa_user_sgpr_dispatch_ptr 0
		.amdhsa_user_sgpr_queue_ptr 0
		.amdhsa_user_sgpr_kernarg_segment_ptr 1
		.amdhsa_user_sgpr_dispatch_id 0
		.amdhsa_user_sgpr_flat_scratch_init 0
		.amdhsa_user_sgpr_private_segment_size 0
		.amdhsa_uses_dynamic_stack 0
		.amdhsa_system_sgpr_private_segment_wavefront_offset 0
		.amdhsa_system_sgpr_workgroup_id_x 1
		.amdhsa_system_sgpr_workgroup_id_y 0
		.amdhsa_system_sgpr_workgroup_id_z 0
		.amdhsa_system_sgpr_workgroup_info 0
		.amdhsa_system_vgpr_workitem_id 2
		.amdhsa_next_free_vgpr 22
		.amdhsa_next_free_sgpr 34
		.amdhsa_reserve_vcc 1
		.amdhsa_reserve_flat_scratch 0
		.amdhsa_float_round_mode_32 0
		.amdhsa_float_round_mode_16_64 0
		.amdhsa_float_denorm_mode_32 3
		.amdhsa_float_denorm_mode_16_64 3
		.amdhsa_dx10_clamp 1
		.amdhsa_ieee_mode 1
		.amdhsa_fp16_overflow 0
		.amdhsa_exception_fp_ieee_invalid_op 0
		.amdhsa_exception_fp_denorm_src 0
		.amdhsa_exception_fp_ieee_div_zero 0
		.amdhsa_exception_fp_ieee_overflow 0
		.amdhsa_exception_fp_ieee_underflow 0
		.amdhsa_exception_fp_ieee_inexact 0
		.amdhsa_exception_int_div_zero 0
	.end_amdhsa_kernel
	.section	.text._Z16sort_keys_kernelI22helper_blocked_stripedaLj256ELj1ELj10EEvPKT0_PS1_,"axG",@progbits,_Z16sort_keys_kernelI22helper_blocked_stripedaLj256ELj1ELj10EEvPKT0_PS1_,comdat
.Lfunc_end264:
	.size	_Z16sort_keys_kernelI22helper_blocked_stripedaLj256ELj1ELj10EEvPKT0_PS1_, .Lfunc_end264-_Z16sort_keys_kernelI22helper_blocked_stripedaLj256ELj1ELj10EEvPKT0_PS1_
                                        ; -- End function
	.set _Z16sort_keys_kernelI22helper_blocked_stripedaLj256ELj1ELj10EEvPKT0_PS1_.num_vgpr, 22
	.set _Z16sort_keys_kernelI22helper_blocked_stripedaLj256ELj1ELj10EEvPKT0_PS1_.num_agpr, 0
	.set _Z16sort_keys_kernelI22helper_blocked_stripedaLj256ELj1ELj10EEvPKT0_PS1_.numbered_sgpr, 34
	.set _Z16sort_keys_kernelI22helper_blocked_stripedaLj256ELj1ELj10EEvPKT0_PS1_.num_named_barrier, 0
	.set _Z16sort_keys_kernelI22helper_blocked_stripedaLj256ELj1ELj10EEvPKT0_PS1_.private_seg_size, 0
	.set _Z16sort_keys_kernelI22helper_blocked_stripedaLj256ELj1ELj10EEvPKT0_PS1_.uses_vcc, 1
	.set _Z16sort_keys_kernelI22helper_blocked_stripedaLj256ELj1ELj10EEvPKT0_PS1_.uses_flat_scratch, 0
	.set _Z16sort_keys_kernelI22helper_blocked_stripedaLj256ELj1ELj10EEvPKT0_PS1_.has_dyn_sized_stack, 0
	.set _Z16sort_keys_kernelI22helper_blocked_stripedaLj256ELj1ELj10EEvPKT0_PS1_.has_recursion, 0
	.set _Z16sort_keys_kernelI22helper_blocked_stripedaLj256ELj1ELj10EEvPKT0_PS1_.has_indirect_call, 0
	.section	.AMDGPU.csdata,"",@progbits
; Kernel info:
; codeLenInByte = 1196
; TotalNumSgprs: 38
; NumVgprs: 22
; ScratchSize: 0
; MemoryBound: 0
; FloatMode: 240
; IeeeMode: 1
; LDSByteSize: 4112 bytes/workgroup (compile time only)
; SGPRBlocks: 4
; VGPRBlocks: 5
; NumSGPRsForWavesPerEU: 38
; NumVGPRsForWavesPerEU: 22
; Occupancy: 10
; WaveLimiterHint : 0
; COMPUTE_PGM_RSRC2:SCRATCH_EN: 0
; COMPUTE_PGM_RSRC2:USER_SGPR: 6
; COMPUTE_PGM_RSRC2:TRAP_HANDLER: 0
; COMPUTE_PGM_RSRC2:TGID_X_EN: 1
; COMPUTE_PGM_RSRC2:TGID_Y_EN: 0
; COMPUTE_PGM_RSRC2:TGID_Z_EN: 0
; COMPUTE_PGM_RSRC2:TIDIG_COMP_CNT: 2
	.section	.text._Z17sort_pairs_kernelI22helper_blocked_stripedaLj256ELj1ELj10EEvPKT0_PS1_,"axG",@progbits,_Z17sort_pairs_kernelI22helper_blocked_stripedaLj256ELj1ELj10EEvPKT0_PS1_,comdat
	.protected	_Z17sort_pairs_kernelI22helper_blocked_stripedaLj256ELj1ELj10EEvPKT0_PS1_ ; -- Begin function _Z17sort_pairs_kernelI22helper_blocked_stripedaLj256ELj1ELj10EEvPKT0_PS1_
	.globl	_Z17sort_pairs_kernelI22helper_blocked_stripedaLj256ELj1ELj10EEvPKT0_PS1_
	.p2align	8
	.type	_Z17sort_pairs_kernelI22helper_blocked_stripedaLj256ELj1ELj10EEvPKT0_PS1_,@function
_Z17sort_pairs_kernelI22helper_blocked_stripedaLj256ELj1ELj10EEvPKT0_PS1_: ; @_Z17sort_pairs_kernelI22helper_blocked_stripedaLj256ELj1ELj10EEvPKT0_PS1_
; %bb.0:
	s_load_dwordx4 s[28:31], s[4:5], 0x0
	s_load_dword s22, s[4:5], 0x1c
	s_lshl_b32 s33, s6, 8
	v_mbcnt_lo_u32_b32 v4, -1, 0
	v_mbcnt_hi_u32_b32 v4, -1, v4
	s_waitcnt lgkmcnt(0)
	s_add_u32 s0, s28, s33
	s_addc_u32 s1, s29, 0
	global_load_ubyte v3, v0, s[0:1]
	s_lshr_b32 s23, s22, 16
	s_and_b32 s22, s22, 0xffff
	v_mad_u32_u24 v1, v2, s23, v1
	v_mad_u64_u32 v[1:2], s[22:23], v1, s22, v[0:1]
	v_or_b32_e32 v6, 63, v0
	s_mov_b32 s10, 0
	v_cmp_eq_u32_e64 s[6:7], v0, v6
	v_subrev_co_u32_e64 v6, s[8:9], 1, v4
	v_and_b32_e32 v16, 64, v4
	v_lshrrev_b32_e32 v7, 4, v0
	s_mov_b32 s12, s10
	v_cmp_lt_i32_e64 s[20:21], v6, v16
	v_mul_u32_u24_e32 v13, 3, v0
	s_mov_b32 s11, s10
	s_mov_b32 s13, s10
	v_and_b32_e32 v14, 15, v4
	v_and_b32_e32 v15, 16, v4
	v_cmp_lt_u32_e64 s[4:5], 31, v4
	v_and_b32_e32 v12, 12, v7
	v_and_b32_e32 v17, 3, v4
	v_mov_b32_e32 v7, s10
	v_mov_b32_e32 v9, s12
	v_cndmask_b32_e64 v4, v6, v4, s[20:21]
	v_lshrrev_b32_e32 v1, 4, v1
	v_mov_b32_e32 v5, 0
	s_mov_b32 s28, 10
	v_lshlrev_b32_e32 v11, 4, v0
	v_cmp_gt_u32_e32 vcc, 4, v0
	v_cmp_lt_u32_e64 s[0:1], 63, v0
	v_cmp_eq_u32_e64 s[2:3], 0, v0
	v_mov_b32_e32 v8, s11
	v_mov_b32_e32 v10, s13
	v_add_u32_e32 v13, v0, v13
	v_cmp_eq_u32_e64 s[10:11], 0, v14
	v_cmp_lt_u32_e64 s[12:13], 1, v14
	v_cmp_lt_u32_e64 s[14:15], 3, v14
	;; [unrolled: 1-line block ×3, first 2 shown]
	v_cmp_eq_u32_e64 s[18:19], 0, v15
	v_cmp_eq_u32_e64 s[20:21], 0, v17
	v_cmp_lt_u32_e64 s[22:23], 1, v17
	v_add_u32_e32 v14, -4, v12
	v_lshlrev_b32_e32 v15, 2, v4
	v_and_b32_e32 v16, 0xffffffc, v1
	v_mov_b32_e32 v17, 4
	s_waitcnt vmcnt(0)
	v_add_u16_e32 v18, 1, v3
	v_xor_b32_e32 v19, 0xffffff80, v3
	s_branch .LBB265_2
.LBB265_1:                              ;   in Loop: Header=BB265_2 Depth=1
	s_or_b64 exec, exec, s[24:25]
	s_waitcnt lgkmcnt(0)
	v_add_u32_e32 v4, v21, v4
	ds_bpermute_b32 v4, v15, v4
	s_add_i32 s28, s28, -1
	s_cmp_eq_u32 s28, 0
	s_waitcnt lgkmcnt(0)
	v_cndmask_b32_e64 v4, v4, v21, s[8:9]
	v_cndmask_b32_e64 v21, v4, 0, s[2:3]
	v_add_u32_e32 v22, v21, v1
	v_add_u32_e32 v1, v22, v2
	;; [unrolled: 1-line block ×3, first 2 shown]
	ds_write2_b64 v11, v[21:22], v[1:2] offset0:2 offset1:3
	s_waitcnt lgkmcnt(0)
	s_barrier
	ds_read_b32 v1, v20 offset:16
	s_waitcnt lgkmcnt(0)
	s_barrier
	v_add_u32_e32 v1, v1, v6
	ds_write_b8 v1, v19
	s_waitcnt lgkmcnt(0)
	s_barrier
	ds_read_u8 v19, v0
	s_waitcnt lgkmcnt(0)
	s_barrier
	ds_write_b8 v1, v18
	s_waitcnt lgkmcnt(0)
	s_barrier
	ds_read_u8 v18, v0
	s_cbranch_scc1 .LBB265_10
.LBB265_2:                              ; =>This Inner Loop Header: Depth=1
	v_and_b32_e32 v1, 1, v19
	v_add_co_u32_e64 v2, s[24:25], -1, v1
	v_addc_co_u32_e64 v4, s[24:25], 0, -1, s[24:25]
	v_cmp_ne_u32_e64 s[24:25], 0, v1
	v_lshlrev_b32_e32 v6, 30, v19
	v_xor_b32_e32 v1, s25, v4
	v_xor_b32_e32 v2, s24, v2
	v_cmp_gt_i64_e64 s[24:25], 0, v[5:6]
	v_not_b32_e32 v4, v6
	v_ashrrev_i32_e32 v4, 31, v4
	v_and_b32_e32 v1, exec_hi, v1
	v_xor_b32_e32 v6, s25, v4
	v_and_b32_e32 v2, exec_lo, v2
	v_xor_b32_e32 v4, s24, v4
	v_and_b32_e32 v1, v1, v6
	v_lshlrev_b32_e32 v6, 29, v19
	v_and_b32_e32 v2, v2, v4
	v_cmp_gt_i64_e64 s[24:25], 0, v[5:6]
	v_not_b32_e32 v4, v6
	v_ashrrev_i32_e32 v4, 31, v4
	v_xor_b32_e32 v6, s25, v4
	v_xor_b32_e32 v4, s24, v4
	v_and_b32_e32 v1, v1, v6
	v_lshlrev_b32_e32 v6, 28, v19
	v_and_b32_e32 v2, v2, v4
	v_cmp_gt_i64_e64 s[24:25], 0, v[5:6]
	v_not_b32_e32 v4, v6
	v_ashrrev_i32_e32 v4, 31, v4
	v_xor_b32_e32 v6, s25, v4
	;; [unrolled: 8-line block ×6, first 2 shown]
	v_xor_b32_e32 v20, s24, v2
	v_and_b32_e32 v2, v1, v6
	v_and_b32_e32 v1, v4, v20
	v_mbcnt_lo_u32_b32 v4, v1, 0
	v_mbcnt_hi_u32_b32 v6, v2, v4
	v_cmp_ne_u64_e64 s[24:25], 0, v[1:2]
	v_lshlrev_b32_sdwa v3, v17, v19 dst_sel:DWORD dst_unused:UNUSED_PAD src0_sel:DWORD src1_sel:BYTE_0
	v_cmp_eq_u32_e64 s[26:27], 0, v6
	s_and_b64 s[26:27], s[24:25], s[26:27]
	v_add_u32_e32 v20, v16, v3
	ds_write2_b64 v11, v[7:8], v[9:10] offset0:2 offset1:3
	s_waitcnt lgkmcnt(0)
	s_barrier
	; wave barrier
	s_and_saveexec_b64 s[24:25], s[26:27]
; %bb.3:                                ;   in Loop: Header=BB265_2 Depth=1
	v_bcnt_u32_b32 v1, v1, 0
	v_bcnt_u32_b32 v1, v2, v1
	ds_write_b32 v20, v1 offset:16
; %bb.4:                                ;   in Loop: Header=BB265_2 Depth=1
	s_or_b64 exec, exec, s[24:25]
	; wave barrier
	s_waitcnt lgkmcnt(0)
	s_barrier
	ds_read2_b64 v[1:4], v11 offset0:2 offset1:3
	s_waitcnt lgkmcnt(0)
	v_add_u32_e32 v21, v2, v1
	v_add3_u32 v4, v21, v3, v4
	s_nop 1
	v_mov_b32_dpp v21, v4 row_shr:1 row_mask:0xf bank_mask:0xf
	v_cndmask_b32_e64 v21, v21, 0, s[10:11]
	v_add_u32_e32 v4, v21, v4
	s_nop 1
	v_mov_b32_dpp v21, v4 row_shr:2 row_mask:0xf bank_mask:0xf
	v_cndmask_b32_e64 v21, 0, v21, s[12:13]
	v_add_u32_e32 v4, v4, v21
	;; [unrolled: 4-line block ×4, first 2 shown]
	s_nop 1
	v_mov_b32_dpp v21, v4 row_bcast:15 row_mask:0xf bank_mask:0xf
	v_cndmask_b32_e64 v21, v21, 0, s[18:19]
	v_add_u32_e32 v4, v4, v21
	s_nop 1
	v_mov_b32_dpp v21, v4 row_bcast:31 row_mask:0xf bank_mask:0xf
	v_cndmask_b32_e64 v21, 0, v21, s[4:5]
	v_add_u32_e32 v4, v4, v21
	s_and_saveexec_b64 s[24:25], s[6:7]
; %bb.5:                                ;   in Loop: Header=BB265_2 Depth=1
	ds_write_b32 v12, v4
; %bb.6:                                ;   in Loop: Header=BB265_2 Depth=1
	s_or_b64 exec, exec, s[24:25]
	s_waitcnt lgkmcnt(0)
	s_barrier
	s_and_saveexec_b64 s[24:25], vcc
	s_cbranch_execz .LBB265_8
; %bb.7:                                ;   in Loop: Header=BB265_2 Depth=1
	ds_read_b32 v21, v13
	s_waitcnt lgkmcnt(0)
	s_nop 0
	v_mov_b32_dpp v22, v21 row_shr:1 row_mask:0xf bank_mask:0xf
	v_cndmask_b32_e64 v22, v22, 0, s[20:21]
	v_add_u32_e32 v21, v22, v21
	s_nop 1
	v_mov_b32_dpp v22, v21 row_shr:2 row_mask:0xf bank_mask:0xf
	v_cndmask_b32_e64 v22, 0, v22, s[22:23]
	v_add_u32_e32 v21, v21, v22
	ds_write_b32 v13, v21
.LBB265_8:                              ;   in Loop: Header=BB265_2 Depth=1
	s_or_b64 exec, exec, s[24:25]
	v_mov_b32_e32 v21, 0
	s_waitcnt lgkmcnt(0)
	s_barrier
	s_and_saveexec_b64 s[24:25], s[0:1]
	s_cbranch_execz .LBB265_1
; %bb.9:                                ;   in Loop: Header=BB265_2 Depth=1
	ds_read_b32 v21, v14
	s_branch .LBB265_1
.LBB265_10:
	s_add_u32 s0, s30, s33
	s_waitcnt lgkmcnt(0)
	v_add_u16_e32 v1, v18, v19
	s_addc_u32 s1, s31, 0
	v_add_u16_e32 v2, 0xff80, v1
	v_mov_b32_e32 v1, s1
	v_add_co_u32_e32 v0, vcc, s0, v0
	v_addc_co_u32_e32 v1, vcc, 0, v1, vcc
	global_store_byte v[0:1], v2, off
	s_endpgm
	.section	.rodata,"a",@progbits
	.p2align	6, 0x0
	.amdhsa_kernel _Z17sort_pairs_kernelI22helper_blocked_stripedaLj256ELj1ELj10EEvPKT0_PS1_
		.amdhsa_group_segment_fixed_size 4112
		.amdhsa_private_segment_fixed_size 0
		.amdhsa_kernarg_size 272
		.amdhsa_user_sgpr_count 6
		.amdhsa_user_sgpr_private_segment_buffer 1
		.amdhsa_user_sgpr_dispatch_ptr 0
		.amdhsa_user_sgpr_queue_ptr 0
		.amdhsa_user_sgpr_kernarg_segment_ptr 1
		.amdhsa_user_sgpr_dispatch_id 0
		.amdhsa_user_sgpr_flat_scratch_init 0
		.amdhsa_user_sgpr_private_segment_size 0
		.amdhsa_uses_dynamic_stack 0
		.amdhsa_system_sgpr_private_segment_wavefront_offset 0
		.amdhsa_system_sgpr_workgroup_id_x 1
		.amdhsa_system_sgpr_workgroup_id_y 0
		.amdhsa_system_sgpr_workgroup_id_z 0
		.amdhsa_system_sgpr_workgroup_info 0
		.amdhsa_system_vgpr_workitem_id 2
		.amdhsa_next_free_vgpr 23
		.amdhsa_next_free_sgpr 34
		.amdhsa_reserve_vcc 1
		.amdhsa_reserve_flat_scratch 0
		.amdhsa_float_round_mode_32 0
		.amdhsa_float_round_mode_16_64 0
		.amdhsa_float_denorm_mode_32 3
		.amdhsa_float_denorm_mode_16_64 3
		.amdhsa_dx10_clamp 1
		.amdhsa_ieee_mode 1
		.amdhsa_fp16_overflow 0
		.amdhsa_exception_fp_ieee_invalid_op 0
		.amdhsa_exception_fp_denorm_src 0
		.amdhsa_exception_fp_ieee_div_zero 0
		.amdhsa_exception_fp_ieee_overflow 0
		.amdhsa_exception_fp_ieee_underflow 0
		.amdhsa_exception_fp_ieee_inexact 0
		.amdhsa_exception_int_div_zero 0
	.end_amdhsa_kernel
	.section	.text._Z17sort_pairs_kernelI22helper_blocked_stripedaLj256ELj1ELj10EEvPKT0_PS1_,"axG",@progbits,_Z17sort_pairs_kernelI22helper_blocked_stripedaLj256ELj1ELj10EEvPKT0_PS1_,comdat
.Lfunc_end265:
	.size	_Z17sort_pairs_kernelI22helper_blocked_stripedaLj256ELj1ELj10EEvPKT0_PS1_, .Lfunc_end265-_Z17sort_pairs_kernelI22helper_blocked_stripedaLj256ELj1ELj10EEvPKT0_PS1_
                                        ; -- End function
	.set _Z17sort_pairs_kernelI22helper_blocked_stripedaLj256ELj1ELj10EEvPKT0_PS1_.num_vgpr, 23
	.set _Z17sort_pairs_kernelI22helper_blocked_stripedaLj256ELj1ELj10EEvPKT0_PS1_.num_agpr, 0
	.set _Z17sort_pairs_kernelI22helper_blocked_stripedaLj256ELj1ELj10EEvPKT0_PS1_.numbered_sgpr, 34
	.set _Z17sort_pairs_kernelI22helper_blocked_stripedaLj256ELj1ELj10EEvPKT0_PS1_.num_named_barrier, 0
	.set _Z17sort_pairs_kernelI22helper_blocked_stripedaLj256ELj1ELj10EEvPKT0_PS1_.private_seg_size, 0
	.set _Z17sort_pairs_kernelI22helper_blocked_stripedaLj256ELj1ELj10EEvPKT0_PS1_.uses_vcc, 1
	.set _Z17sort_pairs_kernelI22helper_blocked_stripedaLj256ELj1ELj10EEvPKT0_PS1_.uses_flat_scratch, 0
	.set _Z17sort_pairs_kernelI22helper_blocked_stripedaLj256ELj1ELj10EEvPKT0_PS1_.has_dyn_sized_stack, 0
	.set _Z17sort_pairs_kernelI22helper_blocked_stripedaLj256ELj1ELj10EEvPKT0_PS1_.has_recursion, 0
	.set _Z17sort_pairs_kernelI22helper_blocked_stripedaLj256ELj1ELj10EEvPKT0_PS1_.has_indirect_call, 0
	.section	.AMDGPU.csdata,"",@progbits
; Kernel info:
; codeLenInByte = 1232
; TotalNumSgprs: 38
; NumVgprs: 23
; ScratchSize: 0
; MemoryBound: 0
; FloatMode: 240
; IeeeMode: 1
; LDSByteSize: 4112 bytes/workgroup (compile time only)
; SGPRBlocks: 4
; VGPRBlocks: 5
; NumSGPRsForWavesPerEU: 38
; NumVGPRsForWavesPerEU: 23
; Occupancy: 10
; WaveLimiterHint : 0
; COMPUTE_PGM_RSRC2:SCRATCH_EN: 0
; COMPUTE_PGM_RSRC2:USER_SGPR: 6
; COMPUTE_PGM_RSRC2:TRAP_HANDLER: 0
; COMPUTE_PGM_RSRC2:TGID_X_EN: 1
; COMPUTE_PGM_RSRC2:TGID_Y_EN: 0
; COMPUTE_PGM_RSRC2:TGID_Z_EN: 0
; COMPUTE_PGM_RSRC2:TIDIG_COMP_CNT: 2
	.section	.text._Z16sort_keys_kernelI22helper_blocked_stripedaLj256ELj3ELj10EEvPKT0_PS1_,"axG",@progbits,_Z16sort_keys_kernelI22helper_blocked_stripedaLj256ELj3ELj10EEvPKT0_PS1_,comdat
	.protected	_Z16sort_keys_kernelI22helper_blocked_stripedaLj256ELj3ELj10EEvPKT0_PS1_ ; -- Begin function _Z16sort_keys_kernelI22helper_blocked_stripedaLj256ELj3ELj10EEvPKT0_PS1_
	.globl	_Z16sort_keys_kernelI22helper_blocked_stripedaLj256ELj3ELj10EEvPKT0_PS1_
	.p2align	8
	.type	_Z16sort_keys_kernelI22helper_blocked_stripedaLj256ELj3ELj10EEvPKT0_PS1_,@function
_Z16sort_keys_kernelI22helper_blocked_stripedaLj256ELj3ELj10EEvPKT0_PS1_: ; @_Z16sort_keys_kernelI22helper_blocked_stripedaLj256ELj3ELj10EEvPKT0_PS1_
; %bb.0:
	s_load_dwordx4 s[28:31], s[4:5], 0x0
	s_load_dword s24, s[4:5], 0x1c
	s_mul_i32 s33, s6, 0x300
	v_mul_u32_u24_e32 v11, 3, v0
	v_mbcnt_lo_u32_b32 v6, -1, 0
	s_waitcnt lgkmcnt(0)
	s_add_u32 s0, s28, s33
	s_addc_u32 s1, s29, 0
	global_load_ushort v3, v11, s[0:1]
	global_load_sbyte v4, v11, s[0:1] offset:2
	s_lshr_b32 s25, s24, 16
	s_and_b32 s24, s24, 0xffff
	v_mad_u32_u24 v1, v2, s25, v1
	v_mad_u64_u32 v[1:2], s[24:25], v1, s24, v[0:1]
	v_mbcnt_hi_u32_b32 v6, -1, v6
	s_mov_b32 s10, 0
	v_subrev_co_u32_e64 v18, s[8:9], 1, v6
	v_and_b32_e32 v19, 64, v6
	v_lshrrev_b32_e32 v7, 6, v0
	v_or_b32_e32 v8, 63, v0
	s_mov_b32 s12, s10
	v_and_b32_e32 v17, 16, v6
	v_cmp_lt_i32_e64 s[20:21], v18, v19
	s_mov_b32 s11, s10
	s_mov_b32 s13, s10
	v_mul_u32_u24_e32 v16, 0xc0, v7
	v_mul_u32_u24_e32 v15, 3, v6
	v_and_b32_e32 v14, 15, v6
	v_cmp_eq_u32_e64 s[6:7], v0, v8
	v_lshlrev_b32_e32 v13, 2, v7
	v_and_b32_e32 v20, 3, v6
	v_mov_b32_e32 v7, s10
	v_mov_b32_e32 v9, s12
	v_cmp_eq_u32_e64 s[18:19], 0, v17
	v_cndmask_b32_e64 v17, v18, v6, s[20:21]
	v_lshrrev_b32_e32 v1, 4, v1
	s_mov_b32 s28, 10
	v_mov_b32_e32 v5, 0
	v_lshlrev_b32_e32 v12, 4, v0
	v_cmp_gt_u32_e32 vcc, 4, v0
	v_cmp_lt_u32_e64 s[0:1], 63, v0
	v_cmp_eq_u32_e64 s[2:3], 0, v0
	v_cmp_lt_u32_e64 s[4:5], 31, v6
	v_mov_b32_e32 v8, s11
	v_mov_b32_e32 v10, s13
	v_cmp_eq_u32_e64 s[10:11], 0, v14
	v_cmp_lt_u32_e64 s[12:13], 1, v14
	v_cmp_lt_u32_e64 s[14:15], 3, v14
	;; [unrolled: 1-line block ×3, first 2 shown]
	v_cmp_eq_u32_e64 s[20:21], 0, v20
	v_cmp_lt_u32_e64 s[22:23], 1, v20
	v_add_u32_e32 v14, -4, v13
	v_add_u32_e32 v15, v15, v16
	v_add_u32_e32 v16, v6, v16
	v_lshlrev_b32_e32 v17, 2, v17
	v_and_b32_e32 v18, 0xffffffc, v1
	v_mov_b32_e32 v19, 4
	s_waitcnt vmcnt(1)
	v_lshrrev_b32_e32 v1, 8, v3
	s_branch .LBB266_2
.LBB266_1:                              ;   in Loop: Header=BB266_2 Depth=1
	s_or_b64 exec, exec, s[24:25]
	s_waitcnt lgkmcnt(0)
	v_add_u32_e32 v4, v30, v4
	ds_bpermute_b32 v4, v17, v4
	s_add_i32 s28, s28, -1
	s_cmp_eq_u32 s28, 0
	s_waitcnt lgkmcnt(0)
	v_cndmask_b32_e64 v4, v4, v30, s[8:9]
	v_cndmask_b32_e64 v30, v4, 0, s[2:3]
	v_add_u32_e32 v31, v30, v1
	v_add_u32_e32 v1, v31, v2
	;; [unrolled: 1-line block ×3, first 2 shown]
	ds_write2_b64 v12, v[30:31], v[1:2] offset0:2 offset1:3
	s_waitcnt lgkmcnt(0)
	s_barrier
	ds_read_b32 v1, v24 offset:16
	ds_read_b32 v2, v26 offset:16
	;; [unrolled: 1-line block ×3, first 2 shown]
	s_waitcnt lgkmcnt(0)
	s_barrier
	v_add_u32_e32 v1, v1, v23
	ds_write_b8 v1, v22
	v_add3_u32 v1, v27, v25, v2
	ds_write_b8 v1, v21
	v_add3_u32 v1, v6, v28, v3
	ds_write_b8 v1, v20
	s_waitcnt lgkmcnt(0)
	s_barrier
	ds_read_u8 v1, v0
	ds_read_u8 v2, v0 offset:256
	ds_read_u8 v4, v0 offset:512
	s_waitcnt lgkmcnt(2)
	v_xor_b32_e32 v3, 0xffffff80, v1
	s_waitcnt lgkmcnt(1)
	v_xor_b32_e32 v1, 0xffffff80, v2
	;; [unrolled: 2-line block ×3, first 2 shown]
	s_cbranch_scc1 .LBB266_14
.LBB266_2:                              ; =>This Inner Loop Header: Depth=1
	v_xor_b32_e32 v2, 0x80, v3
	v_xor_b32_e32 v1, 0x80, v1
	s_waitcnt vmcnt(0)
	v_xor_b32_e32 v3, 0x80, v4
	ds_write_b8 v15, v2
	ds_write_b8 v15, v1 offset:1
	ds_write_b8 v15, v3 offset:2
	; wave barrier
	ds_read_u8 v22, v16
	ds_read_u8 v21, v16 offset:64
	ds_read_u8 v20, v16 offset:128
	; wave barrier
	s_waitcnt lgkmcnt(2)
	v_and_b32_e32 v1, 1, v22
	v_add_co_u32_e64 v2, s[24:25], -1, v1
	v_addc_co_u32_e64 v4, s[24:25], 0, -1, s[24:25]
	v_cmp_ne_u32_e64 s[24:25], 0, v1
	v_lshlrev_b32_e32 v6, 30, v22
	v_xor_b32_e32 v1, s25, v4
	v_xor_b32_e32 v2, s24, v2
	v_cmp_gt_i64_e64 s[24:25], 0, v[5:6]
	v_not_b32_e32 v4, v6
	v_ashrrev_i32_e32 v4, 31, v4
	v_and_b32_e32 v1, exec_hi, v1
	v_xor_b32_e32 v6, s25, v4
	v_and_b32_e32 v2, exec_lo, v2
	v_xor_b32_e32 v4, s24, v4
	v_and_b32_e32 v1, v1, v6
	v_lshlrev_b32_e32 v6, 29, v22
	v_and_b32_e32 v2, v2, v4
	v_cmp_gt_i64_e64 s[24:25], 0, v[5:6]
	v_not_b32_e32 v4, v6
	v_ashrrev_i32_e32 v4, 31, v4
	v_xor_b32_e32 v6, s25, v4
	v_xor_b32_e32 v4, s24, v4
	v_and_b32_e32 v1, v1, v6
	v_lshlrev_b32_e32 v6, 28, v22
	v_and_b32_e32 v2, v2, v4
	v_cmp_gt_i64_e64 s[24:25], 0, v[5:6]
	v_not_b32_e32 v4, v6
	v_ashrrev_i32_e32 v4, 31, v4
	v_xor_b32_e32 v6, s25, v4
	;; [unrolled: 8-line block ×6, first 2 shown]
	v_xor_b32_e32 v23, s24, v2
	v_and_b32_e32 v2, v1, v6
	v_and_b32_e32 v1, v4, v23
	v_mbcnt_lo_u32_b32 v4, v1, 0
	v_mbcnt_hi_u32_b32 v23, v2, v4
	v_cmp_ne_u64_e64 s[24:25], 0, v[1:2]
	v_lshlrev_b32_sdwa v3, v19, v22 dst_sel:DWORD dst_unused:UNUSED_PAD src0_sel:DWORD src1_sel:BYTE_0
	v_cmp_eq_u32_e64 s[26:27], 0, v23
	s_and_b64 s[26:27], s[24:25], s[26:27]
	v_add_u32_e32 v24, v18, v3
	; wave barrier
	s_waitcnt lgkmcnt(0)
	s_barrier
	ds_write2_b64 v12, v[7:8], v[9:10] offset0:2 offset1:3
	s_waitcnt lgkmcnt(0)
	s_barrier
	; wave barrier
	s_and_saveexec_b64 s[24:25], s[26:27]
; %bb.3:                                ;   in Loop: Header=BB266_2 Depth=1
	v_bcnt_u32_b32 v1, v1, 0
	v_bcnt_u32_b32 v1, v2, v1
	ds_write_b32 v24, v1 offset:16
; %bb.4:                                ;   in Loop: Header=BB266_2 Depth=1
	s_or_b64 exec, exec, s[24:25]
	v_lshlrev_b32_sdwa v1, v19, v21 dst_sel:DWORD dst_unused:UNUSED_PAD src0_sel:DWORD src1_sel:BYTE_0
	v_add_u32_e32 v26, v18, v1
	v_and_b32_e32 v1, 1, v21
	v_add_co_u32_e64 v2, s[24:25], -1, v1
	v_addc_co_u32_e64 v3, s[24:25], 0, -1, s[24:25]
	v_cmp_ne_u32_e64 s[24:25], 0, v1
	v_lshlrev_b32_e32 v6, 30, v21
	v_xor_b32_e32 v1, s25, v3
	v_xor_b32_e32 v2, s24, v2
	v_cmp_gt_i64_e64 s[24:25], 0, v[5:6]
	v_not_b32_e32 v3, v6
	v_ashrrev_i32_e32 v3, 31, v3
	v_and_b32_e32 v2, exec_lo, v2
	v_xor_b32_e32 v4, s25, v3
	v_xor_b32_e32 v3, s24, v3
	v_lshlrev_b32_e32 v6, 29, v21
	v_and_b32_e32 v2, v2, v3
	v_cmp_gt_i64_e64 s[24:25], 0, v[5:6]
	v_not_b32_e32 v3, v6
	v_and_b32_e32 v1, exec_hi, v1
	v_ashrrev_i32_e32 v3, 31, v3
	v_and_b32_e32 v1, v1, v4
	v_xor_b32_e32 v4, s25, v3
	v_xor_b32_e32 v3, s24, v3
	v_lshlrev_b32_e32 v6, 28, v21
	v_and_b32_e32 v2, v2, v3
	v_cmp_gt_i64_e64 s[24:25], 0, v[5:6]
	v_not_b32_e32 v3, v6
	v_ashrrev_i32_e32 v3, 31, v3
	v_and_b32_e32 v1, v1, v4
	v_xor_b32_e32 v4, s25, v3
	v_xor_b32_e32 v3, s24, v3
	v_lshlrev_b32_e32 v6, 27, v21
	v_and_b32_e32 v2, v2, v3
	v_cmp_gt_i64_e64 s[24:25], 0, v[5:6]
	v_not_b32_e32 v3, v6
	;; [unrolled: 8-line block ×5, first 2 shown]
	v_ashrrev_i32_e32 v2, 31, v2
	v_and_b32_e32 v1, v1, v4
	v_xor_b32_e32 v4, s25, v2
	v_xor_b32_e32 v6, s24, v2
	; wave barrier
	ds_read_b32 v25, v26 offset:16
	v_and_b32_e32 v2, v1, v4
	v_and_b32_e32 v1, v3, v6
	v_mbcnt_lo_u32_b32 v3, v1, 0
	v_mbcnt_hi_u32_b32 v27, v2, v3
	v_cmp_ne_u64_e64 s[24:25], 0, v[1:2]
	v_cmp_eq_u32_e64 s[26:27], 0, v27
	s_and_b64 s[26:27], s[24:25], s[26:27]
	; wave barrier
	s_and_saveexec_b64 s[24:25], s[26:27]
	s_cbranch_execz .LBB266_6
; %bb.5:                                ;   in Loop: Header=BB266_2 Depth=1
	v_bcnt_u32_b32 v1, v1, 0
	v_bcnt_u32_b32 v1, v2, v1
	s_waitcnt lgkmcnt(0)
	v_add_u32_e32 v1, v25, v1
	ds_write_b32 v26, v1 offset:16
.LBB266_6:                              ;   in Loop: Header=BB266_2 Depth=1
	s_or_b64 exec, exec, s[24:25]
	v_lshlrev_b32_sdwa v1, v19, v20 dst_sel:DWORD dst_unused:UNUSED_PAD src0_sel:DWORD src1_sel:BYTE_0
	v_add_u32_e32 v29, v18, v1
	v_and_b32_e32 v1, 1, v20
	v_add_co_u32_e64 v2, s[24:25], -1, v1
	v_addc_co_u32_e64 v3, s[24:25], 0, -1, s[24:25]
	v_cmp_ne_u32_e64 s[24:25], 0, v1
	v_lshlrev_b32_e32 v6, 30, v20
	v_xor_b32_e32 v1, s25, v3
	v_xor_b32_e32 v2, s24, v2
	v_cmp_gt_i64_e64 s[24:25], 0, v[5:6]
	v_not_b32_e32 v3, v6
	v_ashrrev_i32_e32 v3, 31, v3
	v_and_b32_e32 v2, exec_lo, v2
	v_xor_b32_e32 v4, s25, v3
	v_xor_b32_e32 v3, s24, v3
	v_lshlrev_b32_e32 v6, 29, v20
	v_and_b32_e32 v2, v2, v3
	v_cmp_gt_i64_e64 s[24:25], 0, v[5:6]
	v_not_b32_e32 v3, v6
	v_and_b32_e32 v1, exec_hi, v1
	v_ashrrev_i32_e32 v3, 31, v3
	v_and_b32_e32 v1, v1, v4
	v_xor_b32_e32 v4, s25, v3
	v_xor_b32_e32 v3, s24, v3
	v_lshlrev_b32_e32 v6, 28, v20
	v_and_b32_e32 v2, v2, v3
	v_cmp_gt_i64_e64 s[24:25], 0, v[5:6]
	v_not_b32_e32 v3, v6
	v_ashrrev_i32_e32 v3, 31, v3
	v_and_b32_e32 v1, v1, v4
	v_xor_b32_e32 v4, s25, v3
	v_xor_b32_e32 v3, s24, v3
	v_lshlrev_b32_e32 v6, 27, v20
	v_and_b32_e32 v2, v2, v3
	v_cmp_gt_i64_e64 s[24:25], 0, v[5:6]
	v_not_b32_e32 v3, v6
	;; [unrolled: 8-line block ×5, first 2 shown]
	v_ashrrev_i32_e32 v2, 31, v2
	v_and_b32_e32 v1, v1, v4
	v_xor_b32_e32 v4, s25, v2
	v_xor_b32_e32 v6, s24, v2
	; wave barrier
	ds_read_b32 v28, v29 offset:16
	v_and_b32_e32 v2, v1, v4
	v_and_b32_e32 v1, v3, v6
	v_mbcnt_lo_u32_b32 v3, v1, 0
	v_mbcnt_hi_u32_b32 v6, v2, v3
	v_cmp_ne_u64_e64 s[24:25], 0, v[1:2]
	v_cmp_eq_u32_e64 s[26:27], 0, v6
	s_and_b64 s[26:27], s[24:25], s[26:27]
	; wave barrier
	s_and_saveexec_b64 s[24:25], s[26:27]
	s_cbranch_execz .LBB266_8
; %bb.7:                                ;   in Loop: Header=BB266_2 Depth=1
	v_bcnt_u32_b32 v1, v1, 0
	v_bcnt_u32_b32 v1, v2, v1
	s_waitcnt lgkmcnt(0)
	v_add_u32_e32 v1, v28, v1
	ds_write_b32 v29, v1 offset:16
.LBB266_8:                              ;   in Loop: Header=BB266_2 Depth=1
	s_or_b64 exec, exec, s[24:25]
	; wave barrier
	s_waitcnt lgkmcnt(0)
	s_barrier
	ds_read2_b64 v[1:4], v12 offset0:2 offset1:3
	s_waitcnt lgkmcnt(0)
	v_add_u32_e32 v30, v2, v1
	v_add3_u32 v4, v30, v3, v4
	s_nop 1
	v_mov_b32_dpp v30, v4 row_shr:1 row_mask:0xf bank_mask:0xf
	v_cndmask_b32_e64 v30, v30, 0, s[10:11]
	v_add_u32_e32 v4, v30, v4
	s_nop 1
	v_mov_b32_dpp v30, v4 row_shr:2 row_mask:0xf bank_mask:0xf
	v_cndmask_b32_e64 v30, 0, v30, s[12:13]
	v_add_u32_e32 v4, v4, v30
	;; [unrolled: 4-line block ×4, first 2 shown]
	s_nop 1
	v_mov_b32_dpp v30, v4 row_bcast:15 row_mask:0xf bank_mask:0xf
	v_cndmask_b32_e64 v30, v30, 0, s[18:19]
	v_add_u32_e32 v4, v4, v30
	s_nop 1
	v_mov_b32_dpp v30, v4 row_bcast:31 row_mask:0xf bank_mask:0xf
	v_cndmask_b32_e64 v30, 0, v30, s[4:5]
	v_add_u32_e32 v4, v4, v30
	s_and_saveexec_b64 s[24:25], s[6:7]
; %bb.9:                                ;   in Loop: Header=BB266_2 Depth=1
	ds_write_b32 v13, v4
; %bb.10:                               ;   in Loop: Header=BB266_2 Depth=1
	s_or_b64 exec, exec, s[24:25]
	s_waitcnt lgkmcnt(0)
	s_barrier
	s_and_saveexec_b64 s[24:25], vcc
	s_cbranch_execz .LBB266_12
; %bb.11:                               ;   in Loop: Header=BB266_2 Depth=1
	v_add_u32_e32 v30, v0, v11
	ds_read_b32 v31, v30
	s_waitcnt lgkmcnt(0)
	s_nop 0
	v_mov_b32_dpp v32, v31 row_shr:1 row_mask:0xf bank_mask:0xf
	v_cndmask_b32_e64 v32, v32, 0, s[20:21]
	v_add_u32_e32 v31, v32, v31
	s_nop 1
	v_mov_b32_dpp v32, v31 row_shr:2 row_mask:0xf bank_mask:0xf
	v_cndmask_b32_e64 v32, 0, v32, s[22:23]
	v_add_u32_e32 v31, v31, v32
	ds_write_b32 v30, v31
.LBB266_12:                             ;   in Loop: Header=BB266_2 Depth=1
	s_or_b64 exec, exec, s[24:25]
	v_mov_b32_e32 v30, 0
	s_waitcnt lgkmcnt(0)
	s_barrier
	s_and_saveexec_b64 s[24:25], s[0:1]
	s_cbranch_execz .LBB266_1
; %bb.13:                               ;   in Loop: Header=BB266_2 Depth=1
	ds_read_b32 v30, v14
	s_branch .LBB266_1
.LBB266_14:
	s_add_u32 s0, s30, s33
	s_addc_u32 s1, s31, 0
	global_store_byte v0, v3, s[0:1]
	global_store_byte v0, v1, s[0:1] offset:256
	global_store_byte v0, v4, s[0:1] offset:512
	s_endpgm
	.section	.rodata,"a",@progbits
	.p2align	6, 0x0
	.amdhsa_kernel _Z16sort_keys_kernelI22helper_blocked_stripedaLj256ELj3ELj10EEvPKT0_PS1_
		.amdhsa_group_segment_fixed_size 4112
		.amdhsa_private_segment_fixed_size 0
		.amdhsa_kernarg_size 272
		.amdhsa_user_sgpr_count 6
		.amdhsa_user_sgpr_private_segment_buffer 1
		.amdhsa_user_sgpr_dispatch_ptr 0
		.amdhsa_user_sgpr_queue_ptr 0
		.amdhsa_user_sgpr_kernarg_segment_ptr 1
		.amdhsa_user_sgpr_dispatch_id 0
		.amdhsa_user_sgpr_flat_scratch_init 0
		.amdhsa_user_sgpr_private_segment_size 0
		.amdhsa_uses_dynamic_stack 0
		.amdhsa_system_sgpr_private_segment_wavefront_offset 0
		.amdhsa_system_sgpr_workgroup_id_x 1
		.amdhsa_system_sgpr_workgroup_id_y 0
		.amdhsa_system_sgpr_workgroup_id_z 0
		.amdhsa_system_sgpr_workgroup_info 0
		.amdhsa_system_vgpr_workitem_id 2
		.amdhsa_next_free_vgpr 33
		.amdhsa_next_free_sgpr 34
		.amdhsa_reserve_vcc 1
		.amdhsa_reserve_flat_scratch 0
		.amdhsa_float_round_mode_32 0
		.amdhsa_float_round_mode_16_64 0
		.amdhsa_float_denorm_mode_32 3
		.amdhsa_float_denorm_mode_16_64 3
		.amdhsa_dx10_clamp 1
		.amdhsa_ieee_mode 1
		.amdhsa_fp16_overflow 0
		.amdhsa_exception_fp_ieee_invalid_op 0
		.amdhsa_exception_fp_denorm_src 0
		.amdhsa_exception_fp_ieee_div_zero 0
		.amdhsa_exception_fp_ieee_overflow 0
		.amdhsa_exception_fp_ieee_underflow 0
		.amdhsa_exception_fp_ieee_inexact 0
		.amdhsa_exception_int_div_zero 0
	.end_amdhsa_kernel
	.section	.text._Z16sort_keys_kernelI22helper_blocked_stripedaLj256ELj3ELj10EEvPKT0_PS1_,"axG",@progbits,_Z16sort_keys_kernelI22helper_blocked_stripedaLj256ELj3ELj10EEvPKT0_PS1_,comdat
.Lfunc_end266:
	.size	_Z16sort_keys_kernelI22helper_blocked_stripedaLj256ELj3ELj10EEvPKT0_PS1_, .Lfunc_end266-_Z16sort_keys_kernelI22helper_blocked_stripedaLj256ELj3ELj10EEvPKT0_PS1_
                                        ; -- End function
	.set _Z16sort_keys_kernelI22helper_blocked_stripedaLj256ELj3ELj10EEvPKT0_PS1_.num_vgpr, 33
	.set _Z16sort_keys_kernelI22helper_blocked_stripedaLj256ELj3ELj10EEvPKT0_PS1_.num_agpr, 0
	.set _Z16sort_keys_kernelI22helper_blocked_stripedaLj256ELj3ELj10EEvPKT0_PS1_.numbered_sgpr, 34
	.set _Z16sort_keys_kernelI22helper_blocked_stripedaLj256ELj3ELj10EEvPKT0_PS1_.num_named_barrier, 0
	.set _Z16sort_keys_kernelI22helper_blocked_stripedaLj256ELj3ELj10EEvPKT0_PS1_.private_seg_size, 0
	.set _Z16sort_keys_kernelI22helper_blocked_stripedaLj256ELj3ELj10EEvPKT0_PS1_.uses_vcc, 1
	.set _Z16sort_keys_kernelI22helper_blocked_stripedaLj256ELj3ELj10EEvPKT0_PS1_.uses_flat_scratch, 0
	.set _Z16sort_keys_kernelI22helper_blocked_stripedaLj256ELj3ELj10EEvPKT0_PS1_.has_dyn_sized_stack, 0
	.set _Z16sort_keys_kernelI22helper_blocked_stripedaLj256ELj3ELj10EEvPKT0_PS1_.has_recursion, 0
	.set _Z16sort_keys_kernelI22helper_blocked_stripedaLj256ELj3ELj10EEvPKT0_PS1_.has_indirect_call, 0
	.section	.AMDGPU.csdata,"",@progbits
; Kernel info:
; codeLenInByte = 2192
; TotalNumSgprs: 38
; NumVgprs: 33
; ScratchSize: 0
; MemoryBound: 0
; FloatMode: 240
; IeeeMode: 1
; LDSByteSize: 4112 bytes/workgroup (compile time only)
; SGPRBlocks: 4
; VGPRBlocks: 8
; NumSGPRsForWavesPerEU: 38
; NumVGPRsForWavesPerEU: 33
; Occupancy: 7
; WaveLimiterHint : 1
; COMPUTE_PGM_RSRC2:SCRATCH_EN: 0
; COMPUTE_PGM_RSRC2:USER_SGPR: 6
; COMPUTE_PGM_RSRC2:TRAP_HANDLER: 0
; COMPUTE_PGM_RSRC2:TGID_X_EN: 1
; COMPUTE_PGM_RSRC2:TGID_Y_EN: 0
; COMPUTE_PGM_RSRC2:TGID_Z_EN: 0
; COMPUTE_PGM_RSRC2:TIDIG_COMP_CNT: 2
	.section	.text._Z17sort_pairs_kernelI22helper_blocked_stripedaLj256ELj3ELj10EEvPKT0_PS1_,"axG",@progbits,_Z17sort_pairs_kernelI22helper_blocked_stripedaLj256ELj3ELj10EEvPKT0_PS1_,comdat
	.protected	_Z17sort_pairs_kernelI22helper_blocked_stripedaLj256ELj3ELj10EEvPKT0_PS1_ ; -- Begin function _Z17sort_pairs_kernelI22helper_blocked_stripedaLj256ELj3ELj10EEvPKT0_PS1_
	.globl	_Z17sort_pairs_kernelI22helper_blocked_stripedaLj256ELj3ELj10EEvPKT0_PS1_
	.p2align	8
	.type	_Z17sort_pairs_kernelI22helper_blocked_stripedaLj256ELj3ELj10EEvPKT0_PS1_,@function
_Z17sort_pairs_kernelI22helper_blocked_stripedaLj256ELj3ELj10EEvPKT0_PS1_: ; @_Z17sort_pairs_kernelI22helper_blocked_stripedaLj256ELj3ELj10EEvPKT0_PS1_
; %bb.0:
	s_load_dwordx4 s[28:31], s[4:5], 0x0
	s_load_dword s22, s[4:5], 0x1c
	s_mul_i32 s33, s6, 0x300
	v_mul_u32_u24_e32 v11, 3, v0
	v_mbcnt_lo_u32_b32 v7, -1, 0
	s_waitcnt lgkmcnt(0)
	s_add_u32 s0, s28, s33
	s_addc_u32 s1, s29, 0
	global_load_ushort v3, v11, s[0:1]
	global_load_sbyte v4, v11, s[0:1] offset:2
	s_lshr_b32 s23, s22, 16
	s_and_b32 s22, s22, 0xffff
	v_mad_u32_u24 v1, v2, s23, v1
	s_mov_b32 s20, 0
	v_mbcnt_hi_u32_b32 v9, -1, v7
	v_lshrrev_b32_e32 v7, 6, v0
	v_or_b32_e32 v8, 63, v0
	v_mad_u64_u32 v[1:2], s[22:23], v1, s22, v[0:1]
	s_mov_b32 s21, s20
	v_mul_u32_u24_e32 v10, 0xc0, v7
	v_cmp_eq_u32_e64 s[6:7], v0, v8
	v_subrev_co_u32_e64 v17, s[8:9], 1, v9
	v_and_b32_e32 v18, 64, v9
	v_lshlrev_b32_e32 v13, 2, v7
	v_mov_b32_e32 v7, s20
	s_mov_b32 s24, s20
	s_mov_b32 s25, s20
	v_mul_u32_u24_e32 v14, 3, v9
	v_and_b32_e32 v15, 15, v9
	v_and_b32_e32 v16, 16, v9
	v_mov_b32_e32 v8, s21
	v_cmp_lt_i32_e64 s[20:21], v17, v18
	v_cmp_lt_u32_e64 s[4:5], 31, v9
	v_and_b32_e32 v19, 3, v9
	v_cmp_eq_u32_e64 s[10:11], 0, v15
	v_cmp_lt_u32_e64 s[12:13], 1, v15
	v_cmp_lt_u32_e64 s[14:15], 3, v15
	v_cmp_lt_u32_e64 s[16:17], 7, v15
	v_cmp_eq_u32_e64 s[18:19], 0, v16
	v_cndmask_b32_e64 v16, v17, v9, s[20:21]
	v_add_u32_e32 v14, v14, v10
	v_add_u32_e32 v15, v9, v10
	v_lshrrev_b32_e32 v1, 4, v1
	v_mov_b32_e32 v6, 8
	v_and_b32_e32 v17, 0xffffffc, v1
	s_mov_b32 s28, 10
	v_mov_b32_e32 v5, 0
	s_mov_b32 s29, 0xc0c0004
	v_lshlrev_b32_e32 v12, 4, v0
	v_cmp_gt_u32_e32 vcc, 4, v0
	v_cmp_lt_u32_e64 s[0:1], 63, v0
	v_cmp_eq_u32_e64 s[2:3], 0, v0
	v_cmp_eq_u32_e64 s[20:21], 0, v19
	v_cmp_lt_u32_e64 s[22:23], 1, v19
	v_lshlrev_b32_e32 v16, 2, v16
	s_waitcnt vmcnt(1)
	v_lshrrev_b32_e32 v2, 8, v3
	v_add_u16_e32 v9, 1, v3
	v_lshlrev_b16_e32 v10, 8, v2
	v_or_b32_sdwa v18, v10, v9 dst_sel:DWORD dst_unused:UNUSED_PAD src0_sel:DWORD src1_sel:BYTE_0
	v_add_u16_e32 v1, 0x100, v18
	v_lshrrev_b32_sdwa v6, v6, v1 dst_sel:BYTE_1 dst_unused:UNUSED_PAD src0_sel:DWORD src1_sel:DWORD
	v_or_b32_sdwa v1, v1, v6 dst_sel:DWORD dst_unused:UNUSED_PAD src0_sel:BYTE_0 src1_sel:DWORD
	s_waitcnt vmcnt(0)
	v_add_u16_e32 v6, 1, v4
	v_and_b32_e32 v6, 0xff, v6
	v_mov_b32_e32 v9, s24
	v_lshlrev_b32_e32 v6, 16, v6
	v_mov_b32_e32 v10, s25
	v_or_b32_sdwa v1, v1, v6 dst_sel:DWORD dst_unused:UNUSED_PAD src0_sel:WORD_0 src1_sel:DWORD
	v_mov_b32_e32 v18, 4
	s_branch .LBB267_2
.LBB267_1:                              ;   in Loop: Header=BB267_2 Depth=1
	s_or_b64 exec, exec, s[24:25]
	s_waitcnt lgkmcnt(0)
	v_add_u32_e32 v4, v32, v4
	ds_bpermute_b32 v4, v16, v4
	s_add_i32 s28, s28, -1
	s_cmp_eq_u32 s28, 0
	s_waitcnt lgkmcnt(0)
	v_cndmask_b32_e64 v4, v4, v32, s[8:9]
	v_cndmask_b32_e64 v32, v4, 0, s[2:3]
	v_add_u32_e32 v33, v32, v1
	v_add_u32_e32 v1, v33, v2
	;; [unrolled: 1-line block ×3, first 2 shown]
	ds_write2_b64 v12, v[32:33], v[1:2] offset0:2 offset1:3
	s_waitcnt lgkmcnt(0)
	s_barrier
	ds_read_b32 v1, v26 offset:16
	ds_read_b32 v2, v28 offset:16
	ds_read_b32 v3, v31 offset:16
	s_waitcnt lgkmcnt(0)
	s_barrier
	v_add_u32_e32 v1, v1, v25
	v_add3_u32 v2, v29, v27, v2
	v_add3_u32 v3, v6, v30, v3
	ds_write_b8 v1, v21
	ds_write_b8 v2, v20
	;; [unrolled: 1-line block ×3, first 2 shown]
	s_waitcnt lgkmcnt(0)
	s_barrier
	ds_read_u8 v4, v0
	ds_read_u8 v21, v0 offset:256
	ds_read_u8 v25, v0 offset:512
	s_waitcnt lgkmcnt(0)
	s_barrier
	ds_write_b8 v1, v22
	ds_write_b8 v2, v23
	ds_write_b8 v3, v24
	s_waitcnt lgkmcnt(0)
	s_barrier
	ds_read_u8 v6, v0
	ds_read_u8 v19, v0 offset:256
	ds_read_u8 v20, v0 offset:512
	v_xor_b32_e32 v3, 0xffffff80, v4
	v_xor_b32_e32 v4, 0xffffff80, v25
	s_waitcnt lgkmcnt(1)
	v_perm_b32 v1, v6, v19, s29
	s_waitcnt lgkmcnt(0)
	v_lshlrev_b32_e32 v2, 16, v20
	v_or_b32_e32 v1, v1, v2
	v_xor_b32_e32 v2, 0xffffff80, v21
	s_cbranch_scc1 .LBB267_14
.LBB267_2:                              ; =>This Inner Loop Header: Depth=1
	v_xor_b32_e32 v3, 0x80, v3
	v_xor_b32_e32 v2, 0x80, v2
	;; [unrolled: 1-line block ×3, first 2 shown]
	ds_write_b8 v14, v3
	ds_write_b8 v14, v2 offset:1
	ds_write_b8 v14, v4 offset:2
	; wave barrier
	ds_read_u8 v21, v15
	ds_read_u8 v20, v15 offset:64
	ds_read_u8 v19, v15 offset:128
	v_lshrrev_b32_e32 v2, 8, v1
	; wave barrier
	ds_write_b8 v14, v1
	ds_write_b8 v14, v2 offset:1
	ds_write_b8_d16_hi v14, v1 offset:2
	s_waitcnt lgkmcnt(5)
	v_and_b32_e32 v1, 1, v21
	v_add_co_u32_e64 v2, s[24:25], -1, v1
	v_addc_co_u32_e64 v3, s[24:25], 0, -1, s[24:25]
	v_cmp_ne_u32_e64 s[24:25], 0, v1
	v_lshlrev_b32_e32 v6, 30, v21
	v_xor_b32_e32 v1, s25, v3
	v_xor_b32_e32 v2, s24, v2
	v_cmp_gt_i64_e64 s[24:25], 0, v[5:6]
	v_not_b32_e32 v3, v6
	v_ashrrev_i32_e32 v3, 31, v3
	v_and_b32_e32 v2, exec_lo, v2
	v_xor_b32_e32 v4, s25, v3
	v_xor_b32_e32 v3, s24, v3
	v_lshlrev_b32_e32 v6, 29, v21
	v_and_b32_e32 v2, v2, v3
	v_cmp_gt_i64_e64 s[24:25], 0, v[5:6]
	v_not_b32_e32 v3, v6
	v_and_b32_e32 v1, exec_hi, v1
	v_ashrrev_i32_e32 v3, 31, v3
	v_and_b32_e32 v1, v1, v4
	v_xor_b32_e32 v4, s25, v3
	v_xor_b32_e32 v3, s24, v3
	v_lshlrev_b32_e32 v6, 28, v21
	v_and_b32_e32 v2, v2, v3
	v_cmp_gt_i64_e64 s[24:25], 0, v[5:6]
	v_not_b32_e32 v3, v6
	v_ashrrev_i32_e32 v3, 31, v3
	v_and_b32_e32 v1, v1, v4
	v_xor_b32_e32 v4, s25, v3
	v_xor_b32_e32 v3, s24, v3
	v_lshlrev_b32_e32 v6, 27, v21
	v_and_b32_e32 v2, v2, v3
	v_cmp_gt_i64_e64 s[24:25], 0, v[5:6]
	v_not_b32_e32 v3, v6
	;; [unrolled: 8-line block ×5, first 2 shown]
	v_ashrrev_i32_e32 v2, 31, v2
	; wave barrier
	v_and_b32_e32 v1, v1, v4
	v_xor_b32_e32 v4, s25, v2
	v_xor_b32_e32 v6, s24, v2
	ds_read_u8 v22, v15
	ds_read_u8 v23, v15 offset:64
	ds_read_u8 v24, v15 offset:128
	v_and_b32_e32 v2, v1, v4
	v_and_b32_e32 v1, v3, v6
	v_mbcnt_lo_u32_b32 v3, v1, 0
	v_mbcnt_hi_u32_b32 v25, v2, v3
	v_cmp_ne_u64_e64 s[24:25], 0, v[1:2]
	v_cmp_eq_u32_e64 s[26:27], 0, v25
	v_lshlrev_b32_sdwa v3, v18, v21 dst_sel:DWORD dst_unused:UNUSED_PAD src0_sel:DWORD src1_sel:BYTE_0
	s_and_b64 s[26:27], s[24:25], s[26:27]
	v_add_u32_e32 v26, v17, v3
	s_waitcnt lgkmcnt(0)
	s_barrier
	ds_write2_b64 v12, v[7:8], v[9:10] offset0:2 offset1:3
	s_waitcnt lgkmcnt(0)
	s_barrier
	; wave barrier
	s_and_saveexec_b64 s[24:25], s[26:27]
; %bb.3:                                ;   in Loop: Header=BB267_2 Depth=1
	v_bcnt_u32_b32 v1, v1, 0
	v_bcnt_u32_b32 v1, v2, v1
	ds_write_b32 v26, v1 offset:16
; %bb.4:                                ;   in Loop: Header=BB267_2 Depth=1
	s_or_b64 exec, exec, s[24:25]
	v_lshlrev_b32_sdwa v1, v18, v20 dst_sel:DWORD dst_unused:UNUSED_PAD src0_sel:DWORD src1_sel:BYTE_0
	v_add_u32_e32 v28, v17, v1
	v_and_b32_e32 v1, 1, v20
	v_add_co_u32_e64 v2, s[24:25], -1, v1
	v_addc_co_u32_e64 v3, s[24:25], 0, -1, s[24:25]
	v_cmp_ne_u32_e64 s[24:25], 0, v1
	v_lshlrev_b32_e32 v6, 30, v20
	v_xor_b32_e32 v1, s25, v3
	v_xor_b32_e32 v2, s24, v2
	v_cmp_gt_i64_e64 s[24:25], 0, v[5:6]
	v_not_b32_e32 v3, v6
	v_ashrrev_i32_e32 v3, 31, v3
	v_and_b32_e32 v2, exec_lo, v2
	v_xor_b32_e32 v4, s25, v3
	v_xor_b32_e32 v3, s24, v3
	v_lshlrev_b32_e32 v6, 29, v20
	v_and_b32_e32 v2, v2, v3
	v_cmp_gt_i64_e64 s[24:25], 0, v[5:6]
	v_not_b32_e32 v3, v6
	v_and_b32_e32 v1, exec_hi, v1
	v_ashrrev_i32_e32 v3, 31, v3
	v_and_b32_e32 v1, v1, v4
	v_xor_b32_e32 v4, s25, v3
	v_xor_b32_e32 v3, s24, v3
	v_lshlrev_b32_e32 v6, 28, v20
	v_and_b32_e32 v2, v2, v3
	v_cmp_gt_i64_e64 s[24:25], 0, v[5:6]
	v_not_b32_e32 v3, v6
	v_ashrrev_i32_e32 v3, 31, v3
	v_and_b32_e32 v1, v1, v4
	v_xor_b32_e32 v4, s25, v3
	v_xor_b32_e32 v3, s24, v3
	v_lshlrev_b32_e32 v6, 27, v20
	v_and_b32_e32 v2, v2, v3
	v_cmp_gt_i64_e64 s[24:25], 0, v[5:6]
	v_not_b32_e32 v3, v6
	;; [unrolled: 8-line block ×5, first 2 shown]
	v_ashrrev_i32_e32 v2, 31, v2
	v_and_b32_e32 v1, v1, v4
	v_xor_b32_e32 v4, s25, v2
	v_xor_b32_e32 v6, s24, v2
	; wave barrier
	ds_read_b32 v27, v28 offset:16
	v_and_b32_e32 v2, v1, v4
	v_and_b32_e32 v1, v3, v6
	v_mbcnt_lo_u32_b32 v3, v1, 0
	v_mbcnt_hi_u32_b32 v29, v2, v3
	v_cmp_ne_u64_e64 s[24:25], 0, v[1:2]
	v_cmp_eq_u32_e64 s[26:27], 0, v29
	s_and_b64 s[26:27], s[24:25], s[26:27]
	; wave barrier
	s_and_saveexec_b64 s[24:25], s[26:27]
	s_cbranch_execz .LBB267_6
; %bb.5:                                ;   in Loop: Header=BB267_2 Depth=1
	v_bcnt_u32_b32 v1, v1, 0
	v_bcnt_u32_b32 v1, v2, v1
	s_waitcnt lgkmcnt(0)
	v_add_u32_e32 v1, v27, v1
	ds_write_b32 v28, v1 offset:16
.LBB267_6:                              ;   in Loop: Header=BB267_2 Depth=1
	s_or_b64 exec, exec, s[24:25]
	v_lshlrev_b32_sdwa v1, v18, v19 dst_sel:DWORD dst_unused:UNUSED_PAD src0_sel:DWORD src1_sel:BYTE_0
	v_add_u32_e32 v31, v17, v1
	v_and_b32_e32 v1, 1, v19
	v_add_co_u32_e64 v2, s[24:25], -1, v1
	v_addc_co_u32_e64 v3, s[24:25], 0, -1, s[24:25]
	v_cmp_ne_u32_e64 s[24:25], 0, v1
	v_lshlrev_b32_e32 v6, 30, v19
	v_xor_b32_e32 v1, s25, v3
	v_xor_b32_e32 v2, s24, v2
	v_cmp_gt_i64_e64 s[24:25], 0, v[5:6]
	v_not_b32_e32 v3, v6
	v_ashrrev_i32_e32 v3, 31, v3
	v_and_b32_e32 v2, exec_lo, v2
	v_xor_b32_e32 v4, s25, v3
	v_xor_b32_e32 v3, s24, v3
	v_lshlrev_b32_e32 v6, 29, v19
	v_and_b32_e32 v2, v2, v3
	v_cmp_gt_i64_e64 s[24:25], 0, v[5:6]
	v_not_b32_e32 v3, v6
	v_and_b32_e32 v1, exec_hi, v1
	v_ashrrev_i32_e32 v3, 31, v3
	v_and_b32_e32 v1, v1, v4
	v_xor_b32_e32 v4, s25, v3
	v_xor_b32_e32 v3, s24, v3
	v_lshlrev_b32_e32 v6, 28, v19
	v_and_b32_e32 v2, v2, v3
	v_cmp_gt_i64_e64 s[24:25], 0, v[5:6]
	v_not_b32_e32 v3, v6
	v_ashrrev_i32_e32 v3, 31, v3
	v_and_b32_e32 v1, v1, v4
	v_xor_b32_e32 v4, s25, v3
	v_xor_b32_e32 v3, s24, v3
	v_lshlrev_b32_e32 v6, 27, v19
	v_and_b32_e32 v2, v2, v3
	v_cmp_gt_i64_e64 s[24:25], 0, v[5:6]
	v_not_b32_e32 v3, v6
	;; [unrolled: 8-line block ×5, first 2 shown]
	v_ashrrev_i32_e32 v2, 31, v2
	v_and_b32_e32 v1, v1, v4
	v_xor_b32_e32 v4, s25, v2
	v_xor_b32_e32 v6, s24, v2
	; wave barrier
	ds_read_b32 v30, v31 offset:16
	v_and_b32_e32 v2, v1, v4
	v_and_b32_e32 v1, v3, v6
	v_mbcnt_lo_u32_b32 v3, v1, 0
	v_mbcnt_hi_u32_b32 v6, v2, v3
	v_cmp_ne_u64_e64 s[24:25], 0, v[1:2]
	v_cmp_eq_u32_e64 s[26:27], 0, v6
	s_and_b64 s[26:27], s[24:25], s[26:27]
	; wave barrier
	s_and_saveexec_b64 s[24:25], s[26:27]
	s_cbranch_execz .LBB267_8
; %bb.7:                                ;   in Loop: Header=BB267_2 Depth=1
	v_bcnt_u32_b32 v1, v1, 0
	v_bcnt_u32_b32 v1, v2, v1
	s_waitcnt lgkmcnt(0)
	v_add_u32_e32 v1, v30, v1
	ds_write_b32 v31, v1 offset:16
.LBB267_8:                              ;   in Loop: Header=BB267_2 Depth=1
	s_or_b64 exec, exec, s[24:25]
	; wave barrier
	s_waitcnt lgkmcnt(0)
	s_barrier
	ds_read2_b64 v[1:4], v12 offset0:2 offset1:3
	s_waitcnt lgkmcnt(0)
	v_add_u32_e32 v32, v2, v1
	v_add3_u32 v4, v32, v3, v4
	s_nop 1
	v_mov_b32_dpp v32, v4 row_shr:1 row_mask:0xf bank_mask:0xf
	v_cndmask_b32_e64 v32, v32, 0, s[10:11]
	v_add_u32_e32 v4, v32, v4
	s_nop 1
	v_mov_b32_dpp v32, v4 row_shr:2 row_mask:0xf bank_mask:0xf
	v_cndmask_b32_e64 v32, 0, v32, s[12:13]
	v_add_u32_e32 v4, v4, v32
	s_nop 1
	v_mov_b32_dpp v32, v4 row_shr:4 row_mask:0xf bank_mask:0xf
	v_cndmask_b32_e64 v32, 0, v32, s[14:15]
	v_add_u32_e32 v4, v4, v32
	s_nop 1
	v_mov_b32_dpp v32, v4 row_shr:8 row_mask:0xf bank_mask:0xf
	v_cndmask_b32_e64 v32, 0, v32, s[16:17]
	v_add_u32_e32 v4, v4, v32
	s_nop 1
	v_mov_b32_dpp v32, v4 row_bcast:15 row_mask:0xf bank_mask:0xf
	v_cndmask_b32_e64 v32, v32, 0, s[18:19]
	v_add_u32_e32 v4, v4, v32
	s_nop 1
	v_mov_b32_dpp v32, v4 row_bcast:31 row_mask:0xf bank_mask:0xf
	v_cndmask_b32_e64 v32, 0, v32, s[4:5]
	v_add_u32_e32 v4, v4, v32
	s_and_saveexec_b64 s[24:25], s[6:7]
; %bb.9:                                ;   in Loop: Header=BB267_2 Depth=1
	ds_write_b32 v13, v4
; %bb.10:                               ;   in Loop: Header=BB267_2 Depth=1
	s_or_b64 exec, exec, s[24:25]
	s_waitcnt lgkmcnt(0)
	s_barrier
	s_and_saveexec_b64 s[24:25], vcc
	s_cbranch_execz .LBB267_12
; %bb.11:                               ;   in Loop: Header=BB267_2 Depth=1
	v_add_u32_e32 v32, v0, v11
	ds_read_b32 v33, v32
	s_waitcnt lgkmcnt(0)
	s_nop 0
	v_mov_b32_dpp v34, v33 row_shr:1 row_mask:0xf bank_mask:0xf
	v_cndmask_b32_e64 v34, v34, 0, s[20:21]
	v_add_u32_e32 v33, v34, v33
	s_nop 1
	v_mov_b32_dpp v34, v33 row_shr:2 row_mask:0xf bank_mask:0xf
	v_cndmask_b32_e64 v34, 0, v34, s[22:23]
	v_add_u32_e32 v33, v33, v34
	ds_write_b32 v32, v33
.LBB267_12:                             ;   in Loop: Header=BB267_2 Depth=1
	s_or_b64 exec, exec, s[24:25]
	v_mov_b32_e32 v32, 0
	s_waitcnt lgkmcnt(0)
	s_barrier
	s_and_saveexec_b64 s[24:25], s[0:1]
	s_cbranch_execz .LBB267_1
; %bb.13:                               ;   in Loop: Header=BB267_2 Depth=1
	v_add_u32_e32 v32, -4, v13
	ds_read_b32 v32, v32
	s_branch .LBB267_1
.LBB267_14:
	s_add_u32 s0, s30, s33
	v_add_u16_e32 v1, v3, v6
	s_addc_u32 s1, s31, 0
	v_add_u16_e32 v2, v2, v19
	v_add_u16_e32 v3, v4, v20
	global_store_byte v0, v1, s[0:1]
	global_store_byte v0, v2, s[0:1] offset:256
	global_store_byte v0, v3, s[0:1] offset:512
	s_endpgm
	.section	.rodata,"a",@progbits
	.p2align	6, 0x0
	.amdhsa_kernel _Z17sort_pairs_kernelI22helper_blocked_stripedaLj256ELj3ELj10EEvPKT0_PS1_
		.amdhsa_group_segment_fixed_size 4112
		.amdhsa_private_segment_fixed_size 0
		.amdhsa_kernarg_size 272
		.amdhsa_user_sgpr_count 6
		.amdhsa_user_sgpr_private_segment_buffer 1
		.amdhsa_user_sgpr_dispatch_ptr 0
		.amdhsa_user_sgpr_queue_ptr 0
		.amdhsa_user_sgpr_kernarg_segment_ptr 1
		.amdhsa_user_sgpr_dispatch_id 0
		.amdhsa_user_sgpr_flat_scratch_init 0
		.amdhsa_user_sgpr_private_segment_size 0
		.amdhsa_uses_dynamic_stack 0
		.amdhsa_system_sgpr_private_segment_wavefront_offset 0
		.amdhsa_system_sgpr_workgroup_id_x 1
		.amdhsa_system_sgpr_workgroup_id_y 0
		.amdhsa_system_sgpr_workgroup_id_z 0
		.amdhsa_system_sgpr_workgroup_info 0
		.amdhsa_system_vgpr_workitem_id 2
		.amdhsa_next_free_vgpr 35
		.amdhsa_next_free_sgpr 34
		.amdhsa_reserve_vcc 1
		.amdhsa_reserve_flat_scratch 0
		.amdhsa_float_round_mode_32 0
		.amdhsa_float_round_mode_16_64 0
		.amdhsa_float_denorm_mode_32 3
		.amdhsa_float_denorm_mode_16_64 3
		.amdhsa_dx10_clamp 1
		.amdhsa_ieee_mode 1
		.amdhsa_fp16_overflow 0
		.amdhsa_exception_fp_ieee_invalid_op 0
		.amdhsa_exception_fp_denorm_src 0
		.amdhsa_exception_fp_ieee_div_zero 0
		.amdhsa_exception_fp_ieee_overflow 0
		.amdhsa_exception_fp_ieee_underflow 0
		.amdhsa_exception_fp_ieee_inexact 0
		.amdhsa_exception_int_div_zero 0
	.end_amdhsa_kernel
	.section	.text._Z17sort_pairs_kernelI22helper_blocked_stripedaLj256ELj3ELj10EEvPKT0_PS1_,"axG",@progbits,_Z17sort_pairs_kernelI22helper_blocked_stripedaLj256ELj3ELj10EEvPKT0_PS1_,comdat
.Lfunc_end267:
	.size	_Z17sort_pairs_kernelI22helper_blocked_stripedaLj256ELj3ELj10EEvPKT0_PS1_, .Lfunc_end267-_Z17sort_pairs_kernelI22helper_blocked_stripedaLj256ELj3ELj10EEvPKT0_PS1_
                                        ; -- End function
	.set _Z17sort_pairs_kernelI22helper_blocked_stripedaLj256ELj3ELj10EEvPKT0_PS1_.num_vgpr, 35
	.set _Z17sort_pairs_kernelI22helper_blocked_stripedaLj256ELj3ELj10EEvPKT0_PS1_.num_agpr, 0
	.set _Z17sort_pairs_kernelI22helper_blocked_stripedaLj256ELj3ELj10EEvPKT0_PS1_.numbered_sgpr, 34
	.set _Z17sort_pairs_kernelI22helper_blocked_stripedaLj256ELj3ELj10EEvPKT0_PS1_.num_named_barrier, 0
	.set _Z17sort_pairs_kernelI22helper_blocked_stripedaLj256ELj3ELj10EEvPKT0_PS1_.private_seg_size, 0
	.set _Z17sort_pairs_kernelI22helper_blocked_stripedaLj256ELj3ELj10EEvPKT0_PS1_.uses_vcc, 1
	.set _Z17sort_pairs_kernelI22helper_blocked_stripedaLj256ELj3ELj10EEvPKT0_PS1_.uses_flat_scratch, 0
	.set _Z17sort_pairs_kernelI22helper_blocked_stripedaLj256ELj3ELj10EEvPKT0_PS1_.has_dyn_sized_stack, 0
	.set _Z17sort_pairs_kernelI22helper_blocked_stripedaLj256ELj3ELj10EEvPKT0_PS1_.has_recursion, 0
	.set _Z17sort_pairs_kernelI22helper_blocked_stripedaLj256ELj3ELj10EEvPKT0_PS1_.has_indirect_call, 0
	.section	.AMDGPU.csdata,"",@progbits
; Kernel info:
; codeLenInByte = 2408
; TotalNumSgprs: 38
; NumVgprs: 35
; ScratchSize: 0
; MemoryBound: 0
; FloatMode: 240
; IeeeMode: 1
; LDSByteSize: 4112 bytes/workgroup (compile time only)
; SGPRBlocks: 4
; VGPRBlocks: 8
; NumSGPRsForWavesPerEU: 38
; NumVGPRsForWavesPerEU: 35
; Occupancy: 7
; WaveLimiterHint : 1
; COMPUTE_PGM_RSRC2:SCRATCH_EN: 0
; COMPUTE_PGM_RSRC2:USER_SGPR: 6
; COMPUTE_PGM_RSRC2:TRAP_HANDLER: 0
; COMPUTE_PGM_RSRC2:TGID_X_EN: 1
; COMPUTE_PGM_RSRC2:TGID_Y_EN: 0
; COMPUTE_PGM_RSRC2:TGID_Z_EN: 0
; COMPUTE_PGM_RSRC2:TIDIG_COMP_CNT: 2
	.section	.text._Z16sort_keys_kernelI22helper_blocked_stripedaLj256ELj4ELj10EEvPKT0_PS1_,"axG",@progbits,_Z16sort_keys_kernelI22helper_blocked_stripedaLj256ELj4ELj10EEvPKT0_PS1_,comdat
	.protected	_Z16sort_keys_kernelI22helper_blocked_stripedaLj256ELj4ELj10EEvPKT0_PS1_ ; -- Begin function _Z16sort_keys_kernelI22helper_blocked_stripedaLj256ELj4ELj10EEvPKT0_PS1_
	.globl	_Z16sort_keys_kernelI22helper_blocked_stripedaLj256ELj4ELj10EEvPKT0_PS1_
	.p2align	8
	.type	_Z16sort_keys_kernelI22helper_blocked_stripedaLj256ELj4ELj10EEvPKT0_PS1_,@function
_Z16sort_keys_kernelI22helper_blocked_stripedaLj256ELj4ELj10EEvPKT0_PS1_: ; @_Z16sort_keys_kernelI22helper_blocked_stripedaLj256ELj4ELj10EEvPKT0_PS1_
; %bb.0:
	s_load_dwordx4 s[36:39], s[4:5], 0x0
	s_load_dword s30, s[4:5], 0x1c
	s_lshl_b32 s33, s6, 10
	v_lshlrev_b32_e32 v3, 2, v0
	v_mbcnt_lo_u32_b32 v4, -1, 0
	s_waitcnt lgkmcnt(0)
	s_add_u32 s0, s36, s33
	s_addc_u32 s1, s37, 0
	global_load_dword v3, v3, s[0:1]
	s_lshr_b32 s31, s30, 16
	s_and_b32 s30, s30, 0xffff
	v_mad_u32_u24 v1, v2, s31, v1
	v_mad_u64_u32 v[1:2], s[30:31], v1, s30, v[0:1]
	v_mbcnt_hi_u32_b32 v4, -1, v4
	s_mov_b32 s10, 0
	v_mul_u32_u24_e32 v9, 3, v0
	v_lshrrev_b32_e32 v10, 2, v4
	v_and_b32_e32 v17, 64, v4
	v_subrev_co_u32_e64 v19, s[8:9], 1, v4
	v_or_b32_e32 v5, 63, v0
	v_lshrrev_b32_e32 v6, 4, v0
	s_mov_b32 s12, s10
	v_and_b32_e32 v16, 15, v4
	v_add_u32_e32 v14, v0, v9
	v_or_b32_e32 v9, v10, v17
	v_add_u32_e32 v10, 48, v10
	v_cmp_lt_i32_e64 s[28:29], v19, v17
	s_mov_b32 s11, s10
	s_mov_b32 s13, s10
	v_and_b32_e32 v15, 3, v4
	v_and_b32_e32 v18, 16, v4
	v_cmp_lt_u32_e64 s[4:5], 31, v4
	v_cmp_eq_u32_e64 s[6:7], v0, v5
	v_and_b32_e32 v13, 12, v6
	v_mov_b32_e32 v5, s10
	v_mov_b32_e32 v7, s12
	v_cmp_eq_u32_e64 s[18:19], 0, v16
	v_cmp_lt_u32_e64 s[20:21], 1, v16
	v_cmp_lt_u32_e64 s[22:23], 3, v16
	;; [unrolled: 1-line block ×3, first 2 shown]
	v_cndmask_b32_e64 v4, v19, v4, s[28:29]
	v_lshlrev_b32_e32 v16, 2, v9
	v_and_or_b32 v9, v10, 63, v17
	v_lshrrev_b32_e32 v1, 4, v1
	s_mov_b32 s36, 10
	s_mov_b32 s37, 0xffff
	s_movk_i32 s40, 0xff
	s_mov_b32 s41, 0x3020104
	s_mov_b32 s42, 0xffff0000
	;; [unrolled: 1-line block ×3, first 2 shown]
	v_mov_b32_e32 v11, 4
	v_lshlrev_b32_e32 v12, 4, v0
	v_cmp_gt_u32_e32 vcc, 4, v0
	v_cmp_lt_u32_e64 s[0:1], 63, v0
	v_cmp_eq_u32_e64 s[2:3], 0, v0
	v_mov_b32_e32 v6, s11
	v_mov_b32_e32 v8, s13
	v_cmp_eq_u32_e64 s[10:11], 3, v15
	v_cmp_eq_u32_e64 s[12:13], 2, v15
	;; [unrolled: 1-line block ×5, first 2 shown]
	v_cmp_lt_u32_e64 s[28:29], 1, v15
	v_add_u32_e32 v15, -4, v13
	v_lshlrev_b32_e32 v17, 2, v4
	v_add_u32_e32 v18, 64, v16
	v_or_b32_e32 v19, 0x80, v16
	v_lshlrev_b32_e32 v20, 2, v9
	v_and_b32_e32 v21, 0xffffffc, v1
	v_mov_b32_e32 v9, 0
	s_waitcnt vmcnt(0)
	v_lshrrev_b32_e32 v2, 24, v3
	v_lshrrev_b32_e32 v1, 16, v3
	;; [unrolled: 1-line block ×3, first 2 shown]
	s_branch .LBB268_2
.LBB268_1:                              ;   in Loop: Header=BB268_2 Depth=1
	s_or_b64 exec, exec, s[30:31]
	s_waitcnt lgkmcnt(0)
	v_add_u32_e32 v4, v36, v4
	ds_bpermute_b32 v4, v17, v4
	s_add_i32 s36, s36, -1
	s_cmp_eq_u32 s36, 0
	s_waitcnt lgkmcnt(0)
	v_cndmask_b32_e64 v4, v4, v36, s[8:9]
	v_cndmask_b32_e64 v36, v4, 0, s[2:3]
	v_add_u32_e32 v37, v36, v1
	v_add_u32_e32 v1, v37, v2
	;; [unrolled: 1-line block ×3, first 2 shown]
	ds_write2_b64 v12, v[36:37], v[1:2] offset0:2 offset1:3
	s_waitcnt lgkmcnt(0)
	s_barrier
	ds_read_b32 v1, v24 offset:16
	ds_read_b32 v2, v27 offset:16
	ds_read_b32 v3, v31 offset:16
	ds_read_b32 v4, v35 offset:16
	s_waitcnt lgkmcnt(0)
	v_add_u32_e32 v1, v1, v23
	s_barrier
	ds_write_b8 v1, v22
	v_add3_u32 v1, v28, v26, v2
	ds_write_b8 v1, v25
	v_add3_u32 v1, v32, v30, v3
	;; [unrolled: 2-line block ×3, first 2 shown]
	ds_write_b8 v1, v33
	s_waitcnt lgkmcnt(0)
	s_barrier
	ds_read_u8 v1, v0
	ds_read_u8 v2, v0 offset:256
	ds_read_u8 v10, v0 offset:512
	;; [unrolled: 1-line block ×3, first 2 shown]
	s_waitcnt lgkmcnt(3)
	v_xor_b32_e32 v3, 0xffffff80, v1
	s_waitcnt lgkmcnt(2)
	v_xor_b32_e32 v4, 0xffffff80, v2
	;; [unrolled: 2-line block ×4, first 2 shown]
	s_cbranch_scc1 .LBB268_16
.LBB268_2:                              ; =>This Inner Loop Header: Depth=1
	v_xor_b32_e32 v3, 0x80, v3
	v_xor_b32_e32 v4, 0x80, v4
	v_and_b32_e32 v3, 0xff, v3
	ds_bpermute_b32 v10, v16, v3
	v_xor_b32_e32 v1, 0x80, v1
	v_and_b32_e32 v4, 0xff, v4
	ds_bpermute_b32 v22, v16, v4
	v_and_b32_e32 v1, 0xff, v1
	ds_bpermute_b32 v23, v16, v1
	v_xor_b32_e32 v2, 0x80, v2
	v_and_b32_e32 v2, 0xff, v2
	s_waitcnt lgkmcnt(2)
	v_and_b32_e32 v10, 0xff, v10
	ds_bpermute_b32 v24, v16, v2
	v_cndmask_b32_e64 v10, 0, v10, s[16:17]
	s_waitcnt lgkmcnt(2)
	v_and_b32_e32 v22, 0xff, v22
	v_cndmask_b32_e64 v10, v10, v22, s[14:15]
	s_waitcnt lgkmcnt(1)
	v_and_b32_e32 v22, 0xff, v23
	ds_bpermute_b32 v23, v18, v3
	v_cndmask_b32_e64 v10, v10, v22, s[12:13]
	s_waitcnt lgkmcnt(1)
	v_perm_b32 v22, v24, v10, s41
	v_cndmask_b32_e64 v10, v10, v22, s[10:11]
	ds_bpermute_b32 v22, v18, v4
	s_waitcnt lgkmcnt(1)
	v_lshlrev_b16_e32 v23, 8, v23
	v_or_b32_sdwa v23, v10, v23 dst_sel:DWORD dst_unused:UNUSED_PAD src0_sel:BYTE_0 src1_sel:DWORD
	v_and_b32_e32 v23, 0xffff, v23
	v_cndmask_b32_e64 v10, v10, v23, s[16:17]
	ds_bpermute_b32 v23, v18, v1
	s_waitcnt lgkmcnt(1)
	v_lshlrev_b16_e32 v22, 8, v22
	v_or_b32_sdwa v22, v10, v22 dst_sel:DWORD dst_unused:UNUSED_PAD src0_sel:BYTE_0 src1_sel:DWORD
	v_and_b32_e32 v22, 0xffff, v22
	v_and_or_b32 v22, v10, s42, v22
	v_cndmask_b32_e64 v10, v10, v22, s[14:15]
	s_waitcnt lgkmcnt(0)
	v_lshlrev_b16_e32 v22, 8, v23
	ds_bpermute_b32 v23, v18, v2
	v_or_b32_sdwa v22, v10, v22 dst_sel:DWORD dst_unused:UNUSED_PAD src0_sel:BYTE_0 src1_sel:DWORD
	v_and_b32_e32 v22, 0xffff, v22
	v_and_or_b32 v22, v10, s42, v22
	v_cndmask_b32_e64 v10, v10, v22, s[12:13]
	s_waitcnt lgkmcnt(0)
	v_lshlrev_b16_e32 v22, 8, v23
	ds_bpermute_b32 v23, v19, v3
	v_or_b32_sdwa v22, v10, v22 dst_sel:DWORD dst_unused:UNUSED_PAD src0_sel:BYTE_0 src1_sel:DWORD
	v_and_b32_e32 v22, 0xffff, v22
	v_and_or_b32 v22, v10, s42, v22
	v_cndmask_b32_e64 v10, v10, v22, s[10:11]
	ds_bpermute_b32 v22, v19, v4
	s_waitcnt lgkmcnt(1)
	v_perm_b32 v23, v23, v10, s43
	v_lshlrev_b32_e32 v23, 16, v23
	v_and_or_b32 v23, v10, s37, v23
	v_cndmask_b32_e64 v10, v10, v23, s[16:17]
	ds_bpermute_b32 v23, v19, v1
	s_waitcnt lgkmcnt(1)
	v_perm_b32 v22, v22, v10, s43
	v_lshlrev_b32_e32 v22, 16, v22
	;; [unrolled: 6-line block ×4, first 2 shown]
	v_and_or_b32 v22, v10, s37, v22
	v_cndmask_b32_e64 v10, v10, v22, s[10:11]
	ds_bpermute_b32 v4, v20, v4
	v_and_b32_sdwa v22, v10, s40 dst_sel:DWORD dst_unused:UNUSED_PAD src0_sel:WORD_1 src1_sel:DWORD
	s_waitcnt lgkmcnt(1)
	v_lshlrev_b16_e32 v3, 8, v3
	v_or_b32_sdwa v3, v22, v3 dst_sel:WORD_1 dst_unused:UNUSED_PAD src0_sel:DWORD src1_sel:DWORD
	v_and_or_b32 v3, v10, s37, v3
	v_cndmask_b32_e64 v3, v10, v3, s[16:17]
	ds_bpermute_b32 v1, v20, v1
	v_and_b32_sdwa v10, v3, s40 dst_sel:DWORD dst_unused:UNUSED_PAD src0_sel:WORD_1 src1_sel:DWORD
	s_waitcnt lgkmcnt(1)
	v_lshlrev_b16_e32 v4, 8, v4
	v_or_b32_sdwa v4, v10, v4 dst_sel:WORD_1 dst_unused:UNUSED_PAD src0_sel:DWORD src1_sel:DWORD
	;; [unrolled: 7-line block ×3, first 2 shown]
	v_and_or_b32 v1, v3, s37, v1
	v_cndmask_b32_e64 v1, v3, v1, s[12:13]
	v_and_b32_sdwa v3, v1, s40 dst_sel:DWORD dst_unused:UNUSED_PAD src0_sel:WORD_1 src1_sel:DWORD
	s_waitcnt lgkmcnt(0)
	v_lshlrev_b16_e32 v2, 8, v2
	v_or_b32_sdwa v2, v3, v2 dst_sel:WORD_1 dst_unused:UNUSED_PAD src0_sel:DWORD src1_sel:DWORD
	v_and_or_b32 v2, v1, s37, v2
	v_cndmask_b32_e64 v22, v1, v2, s[10:11]
	v_and_b32_e32 v1, 1, v22
	v_add_co_u32_e64 v2, s[30:31], -1, v1
	v_addc_co_u32_e64 v4, s[30:31], 0, -1, s[30:31]
	v_cmp_ne_u32_e64 s[30:31], 0, v1
	v_lshlrev_b32_e32 v10, 30, v22
	v_xor_b32_e32 v1, s31, v4
	v_xor_b32_e32 v2, s30, v2
	v_cmp_gt_i64_e64 s[30:31], 0, v[9:10]
	v_not_b32_e32 v4, v10
	v_ashrrev_i32_e32 v4, 31, v4
	v_and_b32_e32 v1, exec_hi, v1
	v_xor_b32_e32 v10, s31, v4
	v_and_b32_e32 v2, exec_lo, v2
	v_xor_b32_e32 v4, s30, v4
	v_and_b32_e32 v1, v1, v10
	v_lshlrev_b32_e32 v10, 29, v22
	v_and_b32_e32 v2, v2, v4
	v_cmp_gt_i64_e64 s[30:31], 0, v[9:10]
	v_not_b32_e32 v4, v10
	v_ashrrev_i32_e32 v4, 31, v4
	v_xor_b32_e32 v10, s31, v4
	v_xor_b32_e32 v4, s30, v4
	v_and_b32_e32 v1, v1, v10
	v_lshlrev_b32_e32 v10, 28, v22
	v_and_b32_e32 v2, v2, v4
	v_cmp_gt_i64_e64 s[30:31], 0, v[9:10]
	v_not_b32_e32 v4, v10
	v_ashrrev_i32_e32 v4, 31, v4
	v_xor_b32_e32 v10, s31, v4
	v_xor_b32_e32 v4, s30, v4
	v_and_b32_e32 v1, v1, v10
	v_lshlrev_b32_e32 v10, 27, v22
	v_and_b32_e32 v2, v2, v4
	v_cmp_gt_i64_e64 s[30:31], 0, v[9:10]
	v_not_b32_e32 v4, v10
	v_ashrrev_i32_e32 v4, 31, v4
	v_xor_b32_e32 v10, s31, v4
	v_xor_b32_e32 v4, s30, v4
	v_and_b32_e32 v1, v1, v10
	v_lshlrev_b32_e32 v10, 26, v22
	v_and_b32_e32 v2, v2, v4
	v_cmp_gt_i64_e64 s[30:31], 0, v[9:10]
	v_not_b32_e32 v4, v10
	v_ashrrev_i32_e32 v4, 31, v4
	v_xor_b32_e32 v10, s31, v4
	v_xor_b32_e32 v4, s30, v4
	v_and_b32_e32 v1, v1, v10
	v_lshlrev_b32_e32 v10, 25, v22
	v_and_b32_e32 v2, v2, v4
	v_cmp_gt_i64_e64 s[30:31], 0, v[9:10]
	v_not_b32_e32 v4, v10
	v_ashrrev_i32_e32 v4, 31, v4
	v_xor_b32_e32 v10, s31, v4
	v_xor_b32_e32 v4, s30, v4
	v_and_b32_e32 v1, v1, v10
	v_lshlrev_b32_e32 v10, 24, v22
	v_and_b32_e32 v4, v2, v4
	v_cmp_gt_i64_e64 s[30:31], 0, v[9:10]
	v_not_b32_e32 v2, v10
	v_ashrrev_i32_e32 v2, 31, v2
	v_xor_b32_e32 v10, s31, v2
	v_xor_b32_e32 v23, s30, v2
	v_and_b32_e32 v2, v1, v10
	v_and_b32_e32 v1, v4, v23
	v_mbcnt_lo_u32_b32 v4, v1, 0
	v_mbcnt_hi_u32_b32 v23, v2, v4
	v_cmp_ne_u64_e64 s[30:31], 0, v[1:2]
	v_lshlrev_b32_sdwa v3, v11, v22 dst_sel:DWORD dst_unused:UNUSED_PAD src0_sel:DWORD src1_sel:BYTE_0
	v_cmp_eq_u32_e64 s[34:35], 0, v23
	s_and_b64 s[34:35], s[34:35], s[30:31]
	v_add_u32_e32 v24, v21, v3
	s_barrier
	ds_write2_b64 v12, v[5:6], v[7:8] offset0:2 offset1:3
	s_waitcnt lgkmcnt(0)
	s_barrier
	; wave barrier
	s_and_saveexec_b64 s[30:31], s[34:35]
; %bb.3:                                ;   in Loop: Header=BB268_2 Depth=1
	v_bcnt_u32_b32 v1, v1, 0
	v_bcnt_u32_b32 v1, v2, v1
	ds_write_b32 v24, v1 offset:16
; %bb.4:                                ;   in Loop: Header=BB268_2 Depth=1
	s_or_b64 exec, exec, s[30:31]
	v_lshlrev_b32_sdwa v1, v11, v22 dst_sel:DWORD dst_unused:UNUSED_PAD src0_sel:DWORD src1_sel:BYTE_1
	v_add_u32_e32 v27, v21, v1
	v_bfe_u32 v1, v22, 8, 1
	v_add_co_u32_e64 v2, s[30:31], -1, v1
	v_lshrrev_b32_e32 v25, 8, v22
	v_addc_co_u32_e64 v3, s[30:31], 0, -1, s[30:31]
	v_cmp_ne_u32_e64 s[30:31], 0, v1
	v_lshlrev_b32_e32 v10, 30, v25
	v_xor_b32_e32 v1, s31, v3
	v_xor_b32_e32 v2, s30, v2
	v_cmp_gt_i64_e64 s[30:31], 0, v[9:10]
	v_not_b32_e32 v3, v10
	v_ashrrev_i32_e32 v3, 31, v3
	v_and_b32_e32 v2, exec_lo, v2
	v_xor_b32_e32 v4, s31, v3
	v_xor_b32_e32 v3, s30, v3
	v_lshlrev_b32_e32 v10, 29, v25
	v_and_b32_e32 v2, v2, v3
	v_cmp_gt_i64_e64 s[30:31], 0, v[9:10]
	v_not_b32_e32 v3, v10
	v_and_b32_e32 v1, exec_hi, v1
	v_ashrrev_i32_e32 v3, 31, v3
	v_and_b32_e32 v1, v1, v4
	v_xor_b32_e32 v4, s31, v3
	v_xor_b32_e32 v3, s30, v3
	v_lshlrev_b32_e32 v10, 28, v25
	v_and_b32_e32 v2, v2, v3
	v_cmp_gt_i64_e64 s[30:31], 0, v[9:10]
	v_not_b32_e32 v3, v10
	v_ashrrev_i32_e32 v3, 31, v3
	v_and_b32_e32 v1, v1, v4
	v_xor_b32_e32 v4, s31, v3
	v_xor_b32_e32 v3, s30, v3
	v_lshlrev_b32_e32 v10, 27, v25
	v_and_b32_e32 v2, v2, v3
	v_cmp_gt_i64_e64 s[30:31], 0, v[9:10]
	v_not_b32_e32 v3, v10
	;; [unrolled: 8-line block ×5, first 2 shown]
	v_ashrrev_i32_e32 v2, 31, v2
	v_and_b32_e32 v1, v1, v4
	v_xor_b32_e32 v4, s31, v2
	v_xor_b32_e32 v10, s30, v2
	; wave barrier
	ds_read_b32 v26, v27 offset:16
	v_and_b32_e32 v2, v1, v4
	v_and_b32_e32 v1, v3, v10
	v_mbcnt_lo_u32_b32 v3, v1, 0
	v_mbcnt_hi_u32_b32 v28, v2, v3
	v_cmp_ne_u64_e64 s[30:31], 0, v[1:2]
	v_cmp_eq_u32_e64 s[34:35], 0, v28
	s_and_b64 s[34:35], s[30:31], s[34:35]
	; wave barrier
	s_and_saveexec_b64 s[30:31], s[34:35]
	s_cbranch_execz .LBB268_6
; %bb.5:                                ;   in Loop: Header=BB268_2 Depth=1
	v_bcnt_u32_b32 v1, v1, 0
	v_bcnt_u32_b32 v1, v2, v1
	s_waitcnt lgkmcnt(0)
	v_add_u32_e32 v1, v26, v1
	ds_write_b32 v27, v1 offset:16
.LBB268_6:                              ;   in Loop: Header=BB268_2 Depth=1
	s_or_b64 exec, exec, s[30:31]
	v_lshlrev_b32_sdwa v1, v11, v22 dst_sel:DWORD dst_unused:UNUSED_PAD src0_sel:DWORD src1_sel:BYTE_2
	v_add_u32_e32 v31, v21, v1
	v_bfe_u32 v1, v22, 16, 1
	v_add_co_u32_e64 v2, s[30:31], -1, v1
	v_lshrrev_b32_e32 v29, 16, v22
	v_addc_co_u32_e64 v3, s[30:31], 0, -1, s[30:31]
	v_cmp_ne_u32_e64 s[30:31], 0, v1
	v_lshlrev_b32_e32 v10, 30, v29
	v_xor_b32_e32 v1, s31, v3
	v_xor_b32_e32 v2, s30, v2
	v_cmp_gt_i64_e64 s[30:31], 0, v[9:10]
	v_not_b32_e32 v3, v10
	v_ashrrev_i32_e32 v3, 31, v3
	v_and_b32_e32 v2, exec_lo, v2
	v_xor_b32_e32 v4, s31, v3
	v_xor_b32_e32 v3, s30, v3
	v_lshlrev_b32_e32 v10, 29, v29
	v_and_b32_e32 v2, v2, v3
	v_cmp_gt_i64_e64 s[30:31], 0, v[9:10]
	v_not_b32_e32 v3, v10
	v_and_b32_e32 v1, exec_hi, v1
	v_ashrrev_i32_e32 v3, 31, v3
	v_and_b32_e32 v1, v1, v4
	v_xor_b32_e32 v4, s31, v3
	v_xor_b32_e32 v3, s30, v3
	v_lshlrev_b32_e32 v10, 28, v29
	v_and_b32_e32 v2, v2, v3
	v_cmp_gt_i64_e64 s[30:31], 0, v[9:10]
	v_not_b32_e32 v3, v10
	v_ashrrev_i32_e32 v3, 31, v3
	v_and_b32_e32 v1, v1, v4
	v_xor_b32_e32 v4, s31, v3
	v_xor_b32_e32 v3, s30, v3
	v_lshlrev_b32_e32 v10, 27, v29
	v_and_b32_e32 v2, v2, v3
	v_cmp_gt_i64_e64 s[30:31], 0, v[9:10]
	v_not_b32_e32 v3, v10
	;; [unrolled: 8-line block ×5, first 2 shown]
	v_ashrrev_i32_e32 v2, 31, v2
	v_and_b32_e32 v1, v1, v4
	v_xor_b32_e32 v4, s31, v2
	v_xor_b32_e32 v10, s30, v2
	; wave barrier
	ds_read_b32 v30, v31 offset:16
	v_and_b32_e32 v2, v1, v4
	v_and_b32_e32 v1, v3, v10
	v_mbcnt_lo_u32_b32 v3, v1, 0
	v_mbcnt_hi_u32_b32 v32, v2, v3
	v_cmp_ne_u64_e64 s[30:31], 0, v[1:2]
	v_cmp_eq_u32_e64 s[34:35], 0, v32
	s_and_b64 s[34:35], s[30:31], s[34:35]
	; wave barrier
	s_and_saveexec_b64 s[30:31], s[34:35]
	s_cbranch_execz .LBB268_8
; %bb.7:                                ;   in Loop: Header=BB268_2 Depth=1
	v_bcnt_u32_b32 v1, v1, 0
	v_bcnt_u32_b32 v1, v2, v1
	s_waitcnt lgkmcnt(0)
	v_add_u32_e32 v1, v30, v1
	ds_write_b32 v31, v1 offset:16
.LBB268_8:                              ;   in Loop: Header=BB268_2 Depth=1
	s_or_b64 exec, exec, s[30:31]
	v_lshrrev_b32_e32 v33, 24, v22
	v_lshlrev_b32_e32 v1, 4, v33
	v_add_u32_e32 v35, v21, v1
	v_bfe_u32 v1, v22, 24, 1
	v_add_co_u32_e64 v2, s[30:31], -1, v1
	v_addc_co_u32_e64 v3, s[30:31], 0, -1, s[30:31]
	v_cmp_ne_u32_e64 s[30:31], 0, v1
	v_lshlrev_b32_e32 v10, 30, v33
	v_xor_b32_e32 v1, s31, v3
	v_xor_b32_e32 v2, s30, v2
	v_cmp_gt_i64_e64 s[30:31], 0, v[9:10]
	v_not_b32_e32 v3, v10
	v_ashrrev_i32_e32 v3, 31, v3
	v_and_b32_e32 v2, exec_lo, v2
	v_xor_b32_e32 v4, s31, v3
	v_xor_b32_e32 v3, s30, v3
	v_lshlrev_b32_e32 v10, 29, v33
	v_and_b32_e32 v2, v2, v3
	v_cmp_gt_i64_e64 s[30:31], 0, v[9:10]
	v_not_b32_e32 v3, v10
	v_and_b32_e32 v1, exec_hi, v1
	v_ashrrev_i32_e32 v3, 31, v3
	v_and_b32_e32 v1, v1, v4
	v_xor_b32_e32 v4, s31, v3
	v_xor_b32_e32 v3, s30, v3
	v_lshlrev_b32_e32 v10, 28, v33
	v_and_b32_e32 v2, v2, v3
	v_cmp_gt_i64_e64 s[30:31], 0, v[9:10]
	v_not_b32_e32 v3, v10
	v_ashrrev_i32_e32 v3, 31, v3
	v_and_b32_e32 v1, v1, v4
	v_xor_b32_e32 v4, s31, v3
	v_xor_b32_e32 v3, s30, v3
	v_lshlrev_b32_e32 v10, 27, v33
	v_and_b32_e32 v2, v2, v3
	v_cmp_gt_i64_e64 s[30:31], 0, v[9:10]
	v_not_b32_e32 v3, v10
	;; [unrolled: 8-line block ×4, first 2 shown]
	v_ashrrev_i32_e32 v3, 31, v3
	v_and_b32_e32 v1, v1, v4
	v_xor_b32_e32 v4, s31, v3
	v_xor_b32_e32 v3, s30, v3
	v_and_b32_e32 v10, 0xff000000, v22
	v_and_b32_e32 v3, v2, v3
	v_cmp_gt_i64_e64 s[30:31], 0, v[9:10]
	v_not_b32_e32 v2, v10
	v_ashrrev_i32_e32 v2, 31, v2
	v_and_b32_e32 v1, v1, v4
	v_xor_b32_e32 v4, s31, v2
	v_xor_b32_e32 v10, s30, v2
	; wave barrier
	ds_read_b32 v34, v35 offset:16
	v_and_b32_e32 v2, v1, v4
	v_and_b32_e32 v1, v3, v10
	v_mbcnt_lo_u32_b32 v3, v1, 0
	v_mbcnt_hi_u32_b32 v10, v2, v3
	v_cmp_ne_u64_e64 s[30:31], 0, v[1:2]
	v_cmp_eq_u32_e64 s[34:35], 0, v10
	s_and_b64 s[34:35], s[30:31], s[34:35]
	; wave barrier
	s_and_saveexec_b64 s[30:31], s[34:35]
	s_cbranch_execz .LBB268_10
; %bb.9:                                ;   in Loop: Header=BB268_2 Depth=1
	v_bcnt_u32_b32 v1, v1, 0
	v_bcnt_u32_b32 v1, v2, v1
	s_waitcnt lgkmcnt(0)
	v_add_u32_e32 v1, v34, v1
	ds_write_b32 v35, v1 offset:16
.LBB268_10:                             ;   in Loop: Header=BB268_2 Depth=1
	s_or_b64 exec, exec, s[30:31]
	; wave barrier
	s_waitcnt lgkmcnt(0)
	s_barrier
	ds_read2_b64 v[1:4], v12 offset0:2 offset1:3
	s_waitcnt lgkmcnt(0)
	v_add_u32_e32 v36, v2, v1
	v_add3_u32 v4, v36, v3, v4
	s_nop 1
	v_mov_b32_dpp v36, v4 row_shr:1 row_mask:0xf bank_mask:0xf
	v_cndmask_b32_e64 v36, v36, 0, s[18:19]
	v_add_u32_e32 v4, v36, v4
	s_nop 1
	v_mov_b32_dpp v36, v4 row_shr:2 row_mask:0xf bank_mask:0xf
	v_cndmask_b32_e64 v36, 0, v36, s[20:21]
	v_add_u32_e32 v4, v4, v36
	;; [unrolled: 4-line block ×4, first 2 shown]
	s_nop 1
	v_mov_b32_dpp v36, v4 row_bcast:15 row_mask:0xf bank_mask:0xf
	v_cndmask_b32_e64 v36, v36, 0, s[26:27]
	v_add_u32_e32 v4, v4, v36
	s_nop 1
	v_mov_b32_dpp v36, v4 row_bcast:31 row_mask:0xf bank_mask:0xf
	v_cndmask_b32_e64 v36, 0, v36, s[4:5]
	v_add_u32_e32 v4, v4, v36
	s_and_saveexec_b64 s[30:31], s[6:7]
; %bb.11:                               ;   in Loop: Header=BB268_2 Depth=1
	ds_write_b32 v13, v4
; %bb.12:                               ;   in Loop: Header=BB268_2 Depth=1
	s_or_b64 exec, exec, s[30:31]
	s_waitcnt lgkmcnt(0)
	s_barrier
	s_and_saveexec_b64 s[30:31], vcc
	s_cbranch_execz .LBB268_14
; %bb.13:                               ;   in Loop: Header=BB268_2 Depth=1
	ds_read_b32 v36, v14
	s_waitcnt lgkmcnt(0)
	s_nop 0
	v_mov_b32_dpp v37, v36 row_shr:1 row_mask:0xf bank_mask:0xf
	v_cndmask_b32_e64 v37, v37, 0, s[16:17]
	v_add_u32_e32 v36, v37, v36
	s_nop 1
	v_mov_b32_dpp v37, v36 row_shr:2 row_mask:0xf bank_mask:0xf
	v_cndmask_b32_e64 v37, 0, v37, s[28:29]
	v_add_u32_e32 v36, v36, v37
	ds_write_b32 v14, v36
.LBB268_14:                             ;   in Loop: Header=BB268_2 Depth=1
	s_or_b64 exec, exec, s[30:31]
	v_mov_b32_e32 v36, 0
	s_waitcnt lgkmcnt(0)
	s_barrier
	s_and_saveexec_b64 s[30:31], s[0:1]
	s_cbranch_execz .LBB268_1
; %bb.15:                               ;   in Loop: Header=BB268_2 Depth=1
	ds_read_b32 v36, v15
	s_branch .LBB268_1
.LBB268_16:
	s_add_u32 s0, s38, s33
	s_addc_u32 s1, s39, 0
	global_store_byte v0, v3, s[0:1]
	global_store_byte v0, v4, s[0:1] offset:256
	global_store_byte v0, v1, s[0:1] offset:512
	;; [unrolled: 1-line block ×3, first 2 shown]
	s_endpgm
	.section	.rodata,"a",@progbits
	.p2align	6, 0x0
	.amdhsa_kernel _Z16sort_keys_kernelI22helper_blocked_stripedaLj256ELj4ELj10EEvPKT0_PS1_
		.amdhsa_group_segment_fixed_size 4112
		.amdhsa_private_segment_fixed_size 0
		.amdhsa_kernarg_size 272
		.amdhsa_user_sgpr_count 6
		.amdhsa_user_sgpr_private_segment_buffer 1
		.amdhsa_user_sgpr_dispatch_ptr 0
		.amdhsa_user_sgpr_queue_ptr 0
		.amdhsa_user_sgpr_kernarg_segment_ptr 1
		.amdhsa_user_sgpr_dispatch_id 0
		.amdhsa_user_sgpr_flat_scratch_init 0
		.amdhsa_user_sgpr_private_segment_size 0
		.amdhsa_uses_dynamic_stack 0
		.amdhsa_system_sgpr_private_segment_wavefront_offset 0
		.amdhsa_system_sgpr_workgroup_id_x 1
		.amdhsa_system_sgpr_workgroup_id_y 0
		.amdhsa_system_sgpr_workgroup_id_z 0
		.amdhsa_system_sgpr_workgroup_info 0
		.amdhsa_system_vgpr_workitem_id 2
		.amdhsa_next_free_vgpr 38
		.amdhsa_next_free_sgpr 44
		.amdhsa_reserve_vcc 1
		.amdhsa_reserve_flat_scratch 0
		.amdhsa_float_round_mode_32 0
		.amdhsa_float_round_mode_16_64 0
		.amdhsa_float_denorm_mode_32 3
		.amdhsa_float_denorm_mode_16_64 3
		.amdhsa_dx10_clamp 1
		.amdhsa_ieee_mode 1
		.amdhsa_fp16_overflow 0
		.amdhsa_exception_fp_ieee_invalid_op 0
		.amdhsa_exception_fp_denorm_src 0
		.amdhsa_exception_fp_ieee_div_zero 0
		.amdhsa_exception_fp_ieee_overflow 0
		.amdhsa_exception_fp_ieee_underflow 0
		.amdhsa_exception_fp_ieee_inexact 0
		.amdhsa_exception_int_div_zero 0
	.end_amdhsa_kernel
	.section	.text._Z16sort_keys_kernelI22helper_blocked_stripedaLj256ELj4ELj10EEvPKT0_PS1_,"axG",@progbits,_Z16sort_keys_kernelI22helper_blocked_stripedaLj256ELj4ELj10EEvPKT0_PS1_,comdat
.Lfunc_end268:
	.size	_Z16sort_keys_kernelI22helper_blocked_stripedaLj256ELj4ELj10EEvPKT0_PS1_, .Lfunc_end268-_Z16sort_keys_kernelI22helper_blocked_stripedaLj256ELj4ELj10EEvPKT0_PS1_
                                        ; -- End function
	.set _Z16sort_keys_kernelI22helper_blocked_stripedaLj256ELj4ELj10EEvPKT0_PS1_.num_vgpr, 38
	.set _Z16sort_keys_kernelI22helper_blocked_stripedaLj256ELj4ELj10EEvPKT0_PS1_.num_agpr, 0
	.set _Z16sort_keys_kernelI22helper_blocked_stripedaLj256ELj4ELj10EEvPKT0_PS1_.numbered_sgpr, 44
	.set _Z16sort_keys_kernelI22helper_blocked_stripedaLj256ELj4ELj10EEvPKT0_PS1_.num_named_barrier, 0
	.set _Z16sort_keys_kernelI22helper_blocked_stripedaLj256ELj4ELj10EEvPKT0_PS1_.private_seg_size, 0
	.set _Z16sort_keys_kernelI22helper_blocked_stripedaLj256ELj4ELj10EEvPKT0_PS1_.uses_vcc, 1
	.set _Z16sort_keys_kernelI22helper_blocked_stripedaLj256ELj4ELj10EEvPKT0_PS1_.uses_flat_scratch, 0
	.set _Z16sort_keys_kernelI22helper_blocked_stripedaLj256ELj4ELj10EEvPKT0_PS1_.has_dyn_sized_stack, 0
	.set _Z16sort_keys_kernelI22helper_blocked_stripedaLj256ELj4ELj10EEvPKT0_PS1_.has_recursion, 0
	.set _Z16sort_keys_kernelI22helper_blocked_stripedaLj256ELj4ELj10EEvPKT0_PS1_.has_indirect_call, 0
	.section	.AMDGPU.csdata,"",@progbits
; Kernel info:
; codeLenInByte = 3372
; TotalNumSgprs: 48
; NumVgprs: 38
; ScratchSize: 0
; MemoryBound: 0
; FloatMode: 240
; IeeeMode: 1
; LDSByteSize: 4112 bytes/workgroup (compile time only)
; SGPRBlocks: 5
; VGPRBlocks: 9
; NumSGPRsForWavesPerEU: 48
; NumVGPRsForWavesPerEU: 38
; Occupancy: 6
; WaveLimiterHint : 1
; COMPUTE_PGM_RSRC2:SCRATCH_EN: 0
; COMPUTE_PGM_RSRC2:USER_SGPR: 6
; COMPUTE_PGM_RSRC2:TRAP_HANDLER: 0
; COMPUTE_PGM_RSRC2:TGID_X_EN: 1
; COMPUTE_PGM_RSRC2:TGID_Y_EN: 0
; COMPUTE_PGM_RSRC2:TGID_Z_EN: 0
; COMPUTE_PGM_RSRC2:TIDIG_COMP_CNT: 2
	.section	.text._Z17sort_pairs_kernelI22helper_blocked_stripedaLj256ELj4ELj10EEvPKT0_PS1_,"axG",@progbits,_Z17sort_pairs_kernelI22helper_blocked_stripedaLj256ELj4ELj10EEvPKT0_PS1_,comdat
	.protected	_Z17sort_pairs_kernelI22helper_blocked_stripedaLj256ELj4ELj10EEvPKT0_PS1_ ; -- Begin function _Z17sort_pairs_kernelI22helper_blocked_stripedaLj256ELj4ELj10EEvPKT0_PS1_
	.globl	_Z17sort_pairs_kernelI22helper_blocked_stripedaLj256ELj4ELj10EEvPKT0_PS1_
	.p2align	8
	.type	_Z17sort_pairs_kernelI22helper_blocked_stripedaLj256ELj4ELj10EEvPKT0_PS1_,@function
_Z17sort_pairs_kernelI22helper_blocked_stripedaLj256ELj4ELj10EEvPKT0_PS1_: ; @_Z17sort_pairs_kernelI22helper_blocked_stripedaLj256ELj4ELj10EEvPKT0_PS1_
; %bb.0:
	s_load_dwordx4 s[36:39], s[4:5], 0x0
	s_load_dword s30, s[4:5], 0x1c
	s_lshl_b32 s33, s6, 10
	v_lshlrev_b32_e32 v3, 2, v0
	s_mov_b32 s12, 0
	s_waitcnt lgkmcnt(0)
	s_add_u32 s0, s36, s33
	s_addc_u32 s1, s37, 0
	global_load_dword v4, v3, s[0:1]
	s_lshr_b32 s31, s30, 16
	s_and_b32 s30, s30, 0xffff
	v_mad_u32_u24 v1, v2, s31, v1
	v_mbcnt_lo_u32_b32 v3, -1, 0
	v_mad_u64_u32 v[1:2], s[30:31], v1, s30, v[0:1]
	v_mbcnt_hi_u32_b32 v3, -1, v3
	v_lshrrev_b32_e32 v9, 2, v3
	v_and_b32_e32 v17, 64, v3
	v_subrev_co_u32_e64 v18, s[10:11], 1, v3
	v_or_b32_e32 v19, v9, v17
	v_add_u32_e32 v9, 48, v9
	v_cmp_lt_i32_e64 s[28:29], v18, v17
	v_and_b32_e32 v10, 3, v3
	v_and_b32_e32 v15, 15, v3
	;; [unrolled: 1-line block ×3, first 2 shown]
	v_cmp_lt_u32_e64 s[6:7], 31, v3
	v_cndmask_b32_e64 v3, v18, v3, s[28:29]
	v_and_or_b32 v9, v9, 63, v17
	v_lshrrev_b32_e32 v1, 4, v1
	v_lshlrev_b32_e32 v17, 2, v3
	v_lshlrev_b32_e32 v20, 2, v9
	v_and_b32_e32 v21, 0xffffffc, v1
	s_movk_i32 s34, 0x100
	v_or_b32_e32 v5, 63, v0
	v_lshrrev_b32_e32 v6, 4, v0
	v_mul_u32_u24_e32 v7, 3, v0
	s_mov_b32 s14, s12
	s_mov_b32 s13, s12
	;; [unrolled: 1-line block ×3, first 2 shown]
	v_cmp_eq_u32_e64 s[8:9], v0, v5
	v_and_b32_e32 v13, 12, v6
	v_mov_b32_e32 v5, s12
	v_add_u32_e32 v14, v0, v7
	v_mov_b32_e32 v7, s14
	v_cmp_eq_u32_e64 s[26:27], 0, v16
	v_lshlrev_b32_e32 v16, 2, v19
	s_mov_b32 s36, 10
	s_movk_i32 s37, 0xff
	s_mov_b32 s40, 0xffff
	s_mov_b32 s41, 0x3020104
	;; [unrolled: 1-line block ×7, first 2 shown]
	v_mov_b32_e32 v11, 4
	v_lshlrev_b32_e32 v12, 4, v0
	v_cmp_gt_u32_e64 s[0:1], 4, v0
	v_cmp_lt_u32_e64 s[2:3], 63, v0
	v_cmp_eq_u32_e64 s[4:5], 0, v0
	v_mov_b32_e32 v6, s13
	v_mov_b32_e32 v8, s15
	v_cmp_eq_u32_e64 s[12:13], 3, v10
	v_cmp_eq_u32_e64 s[14:15], 2, v10
	v_cmp_eq_u32_e64 s[16:17], 1, v10
	v_cmp_eq_u32_e32 vcc, 0, v10
	v_cmp_eq_u32_e64 s[18:19], 0, v15
	v_cmp_lt_u32_e64 s[20:21], 1, v15
	v_cmp_lt_u32_e64 s[22:23], 3, v15
	;; [unrolled: 1-line block ×4, first 2 shown]
	v_add_u32_e32 v15, -4, v13
	v_add_u32_e32 v18, 64, v16
	v_or_b32_e32 v19, 0x80, v16
	s_waitcnt vmcnt(0)
	v_lshrrev_b32_e32 v1, 16, v4
	v_and_b32_e32 v3, 0xffffff00, v4
	v_add_u16_e32 v9, 1, v4
	v_or_b32_sdwa v3, v3, v9 dst_sel:DWORD dst_unused:UNUSED_PAD src0_sel:DWORD src1_sel:BYTE_0
	v_and_b32_e32 v9, 0xffffff00, v1
	v_add_u16_e32 v22, 1, v1
	v_or_b32_sdwa v9, v9, v22 dst_sel:DWORD dst_unused:UNUSED_PAD src0_sel:DWORD src1_sel:BYTE_0
	v_add_u16_e32 v3, 0x100, v3
	v_add_u16_sdwa v9, v9, s34 dst_sel:WORD_1 dst_unused:UNUSED_PAD src0_sel:DWORD src1_sel:DWORD
	v_lshrrev_b32_e32 v2, 24, v4
	v_lshrrev_b32_e32 v10, 8, v4
	v_or_b32_e32 v3, v3, v9
	v_mov_b32_e32 v9, 0
	s_branch .LBB269_2
.LBB269_1:                              ;   in Loop: Header=BB269_2 Depth=1
	s_or_b64 exec, exec, s[30:31]
	v_cndmask_b32_sdwa v39, v9, v39, vcc dst_sel:DWORD dst_unused:UNUSED_PAD src0_sel:DWORD src1_sel:BYTE_0
	v_and_b32_e32 v41, 0xff, v41
	v_cndmask_b32_e64 v39, v39, v41, s[16:17]
	v_and_b32_e32 v41, 0xff, v42
	v_cndmask_b32_e64 v39, v39, v41, s[14:15]
	v_perm_b32 v41, v43, v39, s41
	v_cndmask_b32_e64 v39, v39, v41, s[12:13]
	v_perm_b32 v36, v39, v36, s44
	v_cndmask_b32_e32 v36, v39, v36, vcc
	v_perm_b32 v37, v36, v37, s44
	v_cndmask_b32_e64 v36, v36, v37, s[16:17]
	v_perm_b32 v37, v36, v38, s44
	v_cndmask_b32_e64 v36, v36, v37, s[14:15]
	;; [unrolled: 2-line block ×3, first 2 shown]
	v_perm_b32 v32, v32, v36, s43
	v_lshlrev_b32_e32 v32, 16, v32
	v_and_or_b32 v32, v36, s40, v32
	v_cndmask_b32_e32 v32, v36, v32, vcc
	v_perm_b32 v33, v33, v32, s43
	v_lshlrev_b32_e32 v33, 16, v33
	v_and_or_b32 v33, v32, s40, v33
	v_cndmask_b32_e64 v32, v32, v33, s[16:17]
	v_perm_b32 v33, v34, v32, s43
	v_lshlrev_b32_e32 v33, 16, v33
	v_and_or_b32 v33, v32, s40, v33
	v_cndmask_b32_e64 v32, v32, v33, s[14:15]
	;; [unrolled: 4-line block ×3, first 2 shown]
	v_perm_b32 v26, v32, v26, s45
	v_lshlrev_b32_e32 v26, 16, v26
	v_and_or_b32 v26, v32, s40, v26
	v_cndmask_b32_e32 v26, v32, v26, vcc
	v_perm_b32 v27, v26, v27, s45
	v_lshlrev_b32_e32 v27, 16, v27
	v_and_or_b32 v27, v26, s40, v27
	v_cndmask_b32_e64 v26, v26, v27, s[16:17]
	v_perm_b32 v27, v26, v28, s45
	s_waitcnt lgkmcnt(0)
	v_add_u32_e32 v4, v52, v4
	v_lshlrev_b32_e32 v27, 16, v27
	ds_bpermute_b32 v4, v17, v4
	v_and_or_b32 v27, v26, s40, v27
	v_cndmask_b32_e64 v26, v26, v27, s[14:15]
	v_perm_b32 v27, v26, v29, s45
	v_lshlrev_b32_e32 v27, 16, v27
	v_and_or_b32 v27, v26, s40, v27
	s_waitcnt lgkmcnt(0)
	v_cndmask_b32_e64 v4, v4, v52, s[10:11]
	v_cndmask_b32_e64 v28, v26, v27, s[12:13]
	;; [unrolled: 1-line block ×3, first 2 shown]
	v_add_u32_e32 v27, v26, v1
	v_add_u32_e32 v1, v27, v2
	;; [unrolled: 1-line block ×3, first 2 shown]
	ds_write2_b64 v12, v[26:27], v[1:2] offset0:2 offset1:3
	s_waitcnt lgkmcnt(0)
	s_barrier
	ds_read_b32 v1, v24 offset:16
	ds_read_b32 v2, v31 offset:16
	;; [unrolled: 1-line block ×4, first 2 shown]
	v_lshrrev_b32_e32 v29, 8, v28
	s_waitcnt lgkmcnt(3)
	v_add_u32_e32 v1, v1, v23
	s_waitcnt lgkmcnt(2)
	v_add3_u32 v2, v44, v30, v2
	s_waitcnt lgkmcnt(1)
	v_add3_u32 v3, v48, v46, v3
	;; [unrolled: 2-line block ×3, first 2 shown]
	v_lshrrev_b32_e32 v32, 24, v28
	s_barrier
	ds_write_b8 v1, v22
	ds_write_b8 v2, v25
	;; [unrolled: 1-line block ×4, first 2 shown]
	s_waitcnt lgkmcnt(0)
	s_barrier
	ds_read_u8 v10, v0
	ds_read_u8 v26, v0 offset:256
	ds_read_u8 v27, v0 offset:512
	;; [unrolled: 1-line block ×3, first 2 shown]
	s_waitcnt lgkmcnt(0)
	s_barrier
	ds_write_b8 v1, v28
	ds_write_b8 v2, v29
	ds_write_b8_d16_hi v3, v28
	ds_write_b8 v4, v32
	s_waitcnt lgkmcnt(0)
	s_barrier
	ds_read_u8 v22, v0
	ds_read_u8 v23, v0 offset:256
	ds_read_u8 v24, v0 offset:512
	;; [unrolled: 1-line block ×3, first 2 shown]
	s_add_i32 s36, s36, -1
	v_xor_b32_e32 v4, 0xffffff80, v10
	s_waitcnt lgkmcnt(2)
	v_perm_b32 v1, v22, v23, s46
	v_xor_b32_e32 v10, 0xffffff80, v26
	s_waitcnt lgkmcnt(0)
	v_perm_b32 v2, v24, v25, s46
	v_lshl_or_b32 v3, v2, 16, v1
	v_xor_b32_e32 v1, 0xffffff80, v27
	s_cmp_eq_u32 s36, 0
	v_xor_b32_e32 v2, 0xffffff80, v30
	s_cbranch_scc1 .LBB269_16
.LBB269_2:                              ; =>This Inner Loop Header: Depth=1
	v_xor_b32_e32 v4, 0x80, v4
	v_xor_b32_e32 v10, 0x80, v10
	v_and_b32_e32 v4, 0xff, v4
	ds_bpermute_b32 v22, v16, v4
	v_and_b32_e32 v10, 0xff, v10
	v_xor_b32_e32 v1, 0x80, v1
	ds_bpermute_b32 v23, v16, v10
	v_and_b32_e32 v1, 0xff, v1
	ds_bpermute_b32 v24, v16, v1
	v_xor_b32_e32 v2, 0x80, v2
	v_and_b32_e32 v2, 0xff, v2
	s_waitcnt lgkmcnt(2)
	v_and_b32_e32 v22, 0xff, v22
	ds_bpermute_b32 v25, v16, v2
	v_cndmask_b32_e32 v22, 0, v22, vcc
	s_waitcnt lgkmcnt(2)
	v_and_b32_e32 v23, 0xff, v23
	v_cndmask_b32_e64 v22, v22, v23, s[16:17]
	s_waitcnt lgkmcnt(1)
	v_and_b32_e32 v23, 0xff, v24
	ds_bpermute_b32 v24, v18, v4
	v_cndmask_b32_e64 v22, v22, v23, s[14:15]
	s_waitcnt lgkmcnt(1)
	v_perm_b32 v23, v25, v22, s41
	v_cndmask_b32_e64 v22, v22, v23, s[12:13]
	ds_bpermute_b32 v23, v18, v10
	s_waitcnt lgkmcnt(1)
	v_lshlrev_b16_e32 v24, 8, v24
	v_or_b32_sdwa v24, v22, v24 dst_sel:DWORD dst_unused:UNUSED_PAD src0_sel:BYTE_0 src1_sel:DWORD
	v_and_b32_e32 v24, 0xffff, v24
	v_cndmask_b32_e32 v22, v22, v24, vcc
	ds_bpermute_b32 v24, v18, v1
	s_waitcnt lgkmcnt(1)
	v_lshlrev_b16_e32 v23, 8, v23
	v_or_b32_sdwa v23, v22, v23 dst_sel:DWORD dst_unused:UNUSED_PAD src0_sel:BYTE_0 src1_sel:DWORD
	v_and_b32_e32 v23, 0xffff, v23
	v_and_or_b32 v23, v22, s42, v23
	v_cndmask_b32_e64 v22, v22, v23, s[16:17]
	s_waitcnt lgkmcnt(0)
	v_lshlrev_b16_e32 v23, 8, v24
	ds_bpermute_b32 v24, v18, v2
	v_or_b32_sdwa v23, v22, v23 dst_sel:DWORD dst_unused:UNUSED_PAD src0_sel:BYTE_0 src1_sel:DWORD
	v_and_b32_e32 v23, 0xffff, v23
	v_and_or_b32 v23, v22, s42, v23
	v_cndmask_b32_e64 v22, v22, v23, s[14:15]
	s_waitcnt lgkmcnt(0)
	v_lshlrev_b16_e32 v23, 8, v24
	ds_bpermute_b32 v24, v19, v4
	v_or_b32_sdwa v23, v22, v23 dst_sel:DWORD dst_unused:UNUSED_PAD src0_sel:BYTE_0 src1_sel:DWORD
	v_and_b32_e32 v23, 0xffff, v23
	v_and_or_b32 v23, v22, s42, v23
	v_cndmask_b32_e64 v22, v22, v23, s[12:13]
	ds_bpermute_b32 v23, v19, v10
	s_waitcnt lgkmcnt(1)
	v_perm_b32 v24, v24, v22, s43
	v_lshlrev_b32_e32 v24, 16, v24
	v_and_or_b32 v24, v22, s40, v24
	v_cndmask_b32_e32 v22, v22, v24, vcc
	ds_bpermute_b32 v24, v19, v1
	s_waitcnt lgkmcnt(1)
	v_perm_b32 v23, v23, v22, s43
	v_lshlrev_b32_e32 v23, 16, v23
	v_and_or_b32 v23, v22, s40, v23
	v_cndmask_b32_e64 v22, v22, v23, s[16:17]
	ds_bpermute_b32 v23, v19, v2
	s_waitcnt lgkmcnt(1)
	v_perm_b32 v24, v24, v22, s43
	v_lshlrev_b32_e32 v24, 16, v24
	v_and_or_b32 v24, v22, s40, v24
	v_cndmask_b32_e64 v22, v22, v24, s[14:15]
	;; [unrolled: 6-line block ×3, first 2 shown]
	ds_bpermute_b32 v10, v20, v10
	v_and_b32_sdwa v23, v22, s37 dst_sel:DWORD dst_unused:UNUSED_PAD src0_sel:WORD_1 src1_sel:DWORD
	s_waitcnt lgkmcnt(1)
	v_lshlrev_b16_e32 v4, 8, v4
	v_or_b32_sdwa v4, v23, v4 dst_sel:WORD_1 dst_unused:UNUSED_PAD src0_sel:DWORD src1_sel:DWORD
	v_and_or_b32 v4, v22, s40, v4
	v_cndmask_b32_e32 v4, v22, v4, vcc
	ds_bpermute_b32 v1, v20, v1
	v_and_b32_sdwa v22, v4, s37 dst_sel:DWORD dst_unused:UNUSED_PAD src0_sel:WORD_1 src1_sel:DWORD
	s_waitcnt lgkmcnt(1)
	v_lshlrev_b16_e32 v10, 8, v10
	v_or_b32_sdwa v10, v22, v10 dst_sel:WORD_1 dst_unused:UNUSED_PAD src0_sel:DWORD src1_sel:DWORD
	v_and_or_b32 v10, v4, s40, v10
	v_cndmask_b32_e64 v4, v4, v10, s[16:17]
	ds_bpermute_b32 v2, v20, v2
	v_and_b32_sdwa v10, v4, s37 dst_sel:DWORD dst_unused:UNUSED_PAD src0_sel:WORD_1 src1_sel:DWORD
	s_waitcnt lgkmcnt(1)
	v_lshlrev_b16_e32 v1, 8, v1
	v_or_b32_sdwa v1, v10, v1 dst_sel:WORD_1 dst_unused:UNUSED_PAD src0_sel:DWORD src1_sel:DWORD
	v_and_or_b32 v1, v4, s40, v1
	v_cndmask_b32_e64 v1, v4, v1, s[14:15]
	v_and_b32_sdwa v4, v1, s37 dst_sel:DWORD dst_unused:UNUSED_PAD src0_sel:WORD_1 src1_sel:DWORD
	s_waitcnt lgkmcnt(0)
	v_lshlrev_b16_e32 v2, 8, v2
	v_or_b32_sdwa v2, v4, v2 dst_sel:WORD_1 dst_unused:UNUSED_PAD src0_sel:DWORD src1_sel:DWORD
	v_and_or_b32 v2, v1, s40, v2
	v_cndmask_b32_e64 v22, v1, v2, s[12:13]
	v_and_b32_e32 v1, 1, v22
	v_add_co_u32_e64 v2, s[30:31], -1, v1
	v_addc_co_u32_e64 v10, s[30:31], 0, -1, s[30:31]
	v_cmp_ne_u32_e64 s[30:31], 0, v1
	v_xor_b32_e32 v1, s31, v10
	v_lshlrev_b32_e32 v10, 30, v22
	v_xor_b32_e32 v2, s30, v2
	v_cmp_gt_i64_e64 s[30:31], 0, v[9:10]
	v_not_b32_e32 v10, v10
	v_ashrrev_i32_e32 v10, 31, v10
	v_and_b32_e32 v2, exec_lo, v2
	v_xor_b32_e32 v23, s31, v10
	v_xor_b32_e32 v10, s30, v10
	v_and_b32_e32 v2, v2, v10
	v_lshlrev_b32_e32 v10, 29, v22
	v_cmp_gt_i64_e64 s[30:31], 0, v[9:10]
	v_not_b32_e32 v10, v10
	v_and_b32_e32 v1, exec_hi, v1
	v_ashrrev_i32_e32 v10, 31, v10
	v_and_b32_e32 v1, v1, v23
	v_xor_b32_e32 v23, s31, v10
	v_xor_b32_e32 v10, s30, v10
	v_and_b32_e32 v2, v2, v10
	v_lshlrev_b32_e32 v10, 28, v22
	v_cmp_gt_i64_e64 s[30:31], 0, v[9:10]
	v_not_b32_e32 v10, v10
	v_ashrrev_i32_e32 v10, 31, v10
	v_and_b32_e32 v1, v1, v23
	v_xor_b32_e32 v23, s31, v10
	v_xor_b32_e32 v10, s30, v10
	v_and_b32_e32 v2, v2, v10
	v_lshlrev_b32_e32 v10, 27, v22
	v_cmp_gt_i64_e64 s[30:31], 0, v[9:10]
	v_not_b32_e32 v10, v10
	;; [unrolled: 8-line block ×4, first 2 shown]
	v_ashrrev_i32_e32 v10, 31, v10
	v_and_b32_e32 v1, v1, v23
	v_xor_b32_e32 v23, s31, v10
	v_xor_b32_e32 v10, s30, v10
	v_and_b32_e32 v1, v1, v23
	v_and_b32_e32 v23, v2, v10
	v_lshlrev_b32_e32 v10, 24, v22
	v_cmp_gt_i64_e64 s[30:31], 0, v[9:10]
	v_not_b32_e32 v2, v10
	v_ashrrev_i32_e32 v2, 31, v2
	v_xor_b32_e32 v10, s31, v2
	v_xor_b32_e32 v24, s30, v2
	v_and_b32_e32 v4, 0xff, v3
	v_and_b32_e32 v2, v1, v10
	v_and_b32_e32 v1, v23, v24
	v_bfe_u32 v10, v3, 8, 8
	v_bfe_u32 v23, v3, 16, 8
	v_lshrrev_b32_e32 v3, 24, v3
	ds_bpermute_b32 v39, v16, v4
	ds_bpermute_b32 v36, v18, v4
	;; [unrolled: 1-line block ×16, first 2 shown]
	v_mbcnt_lo_u32_b32 v3, v1, 0
	v_mbcnt_hi_u32_b32 v23, v2, v3
	v_cmp_ne_u64_e64 s[30:31], 0, v[1:2]
	v_cmp_eq_u32_e64 s[34:35], 0, v23
	v_lshlrev_b32_sdwa v3, v11, v22 dst_sel:DWORD dst_unused:UNUSED_PAD src0_sel:DWORD src1_sel:BYTE_0
	s_and_b64 s[34:35], s[30:31], s[34:35]
	v_add_u32_e32 v24, v21, v3
	s_waitcnt lgkmcnt(0)
	s_barrier
	ds_write2_b64 v12, v[5:6], v[7:8] offset0:2 offset1:3
	s_waitcnt lgkmcnt(0)
	s_barrier
	; wave barrier
	s_and_saveexec_b64 s[30:31], s[34:35]
; %bb.3:                                ;   in Loop: Header=BB269_2 Depth=1
	v_bcnt_u32_b32 v1, v1, 0
	v_bcnt_u32_b32 v1, v2, v1
	ds_write_b32 v24, v1 offset:16
; %bb.4:                                ;   in Loop: Header=BB269_2 Depth=1
	s_or_b64 exec, exec, s[30:31]
	v_lshlrev_b32_sdwa v1, v11, v22 dst_sel:DWORD dst_unused:UNUSED_PAD src0_sel:DWORD src1_sel:BYTE_1
	v_add_u32_e32 v31, v21, v1
	v_bfe_u32 v1, v22, 8, 1
	v_add_co_u32_e64 v2, s[30:31], -1, v1
	v_lshrrev_b32_e32 v25, 8, v22
	v_addc_co_u32_e64 v3, s[30:31], 0, -1, s[30:31]
	v_cmp_ne_u32_e64 s[30:31], 0, v1
	v_lshlrev_b32_e32 v10, 30, v25
	v_xor_b32_e32 v1, s31, v3
	v_xor_b32_e32 v2, s30, v2
	v_cmp_gt_i64_e64 s[30:31], 0, v[9:10]
	v_not_b32_e32 v3, v10
	v_ashrrev_i32_e32 v3, 31, v3
	v_and_b32_e32 v2, exec_lo, v2
	v_xor_b32_e32 v4, s31, v3
	v_xor_b32_e32 v3, s30, v3
	v_lshlrev_b32_e32 v10, 29, v25
	v_and_b32_e32 v2, v2, v3
	v_cmp_gt_i64_e64 s[30:31], 0, v[9:10]
	v_not_b32_e32 v3, v10
	v_and_b32_e32 v1, exec_hi, v1
	v_ashrrev_i32_e32 v3, 31, v3
	v_and_b32_e32 v1, v1, v4
	v_xor_b32_e32 v4, s31, v3
	v_xor_b32_e32 v3, s30, v3
	v_lshlrev_b32_e32 v10, 28, v25
	v_and_b32_e32 v2, v2, v3
	v_cmp_gt_i64_e64 s[30:31], 0, v[9:10]
	v_not_b32_e32 v3, v10
	v_ashrrev_i32_e32 v3, 31, v3
	v_and_b32_e32 v1, v1, v4
	v_xor_b32_e32 v4, s31, v3
	v_xor_b32_e32 v3, s30, v3
	v_lshlrev_b32_e32 v10, 27, v25
	v_and_b32_e32 v2, v2, v3
	v_cmp_gt_i64_e64 s[30:31], 0, v[9:10]
	v_not_b32_e32 v3, v10
	;; [unrolled: 8-line block ×5, first 2 shown]
	v_ashrrev_i32_e32 v2, 31, v2
	v_and_b32_e32 v1, v1, v4
	v_xor_b32_e32 v4, s31, v2
	v_xor_b32_e32 v10, s30, v2
	; wave barrier
	ds_read_b32 v30, v31 offset:16
	v_and_b32_e32 v2, v1, v4
	v_and_b32_e32 v1, v3, v10
	v_mbcnt_lo_u32_b32 v3, v1, 0
	v_mbcnt_hi_u32_b32 v44, v2, v3
	v_cmp_ne_u64_e64 s[30:31], 0, v[1:2]
	v_cmp_eq_u32_e64 s[34:35], 0, v44
	s_and_b64 s[34:35], s[30:31], s[34:35]
	; wave barrier
	s_and_saveexec_b64 s[30:31], s[34:35]
	s_cbranch_execz .LBB269_6
; %bb.5:                                ;   in Loop: Header=BB269_2 Depth=1
	v_bcnt_u32_b32 v1, v1, 0
	v_bcnt_u32_b32 v1, v2, v1
	s_waitcnt lgkmcnt(0)
	v_add_u32_e32 v1, v30, v1
	ds_write_b32 v31, v1 offset:16
.LBB269_6:                              ;   in Loop: Header=BB269_2 Depth=1
	s_or_b64 exec, exec, s[30:31]
	v_lshlrev_b32_sdwa v1, v11, v22 dst_sel:DWORD dst_unused:UNUSED_PAD src0_sel:DWORD src1_sel:BYTE_2
	v_add_u32_e32 v47, v21, v1
	v_bfe_u32 v1, v22, 16, 1
	v_add_co_u32_e64 v2, s[30:31], -1, v1
	v_lshrrev_b32_e32 v45, 16, v22
	v_addc_co_u32_e64 v3, s[30:31], 0, -1, s[30:31]
	v_cmp_ne_u32_e64 s[30:31], 0, v1
	v_lshlrev_b32_e32 v10, 30, v45
	v_xor_b32_e32 v1, s31, v3
	v_xor_b32_e32 v2, s30, v2
	v_cmp_gt_i64_e64 s[30:31], 0, v[9:10]
	v_not_b32_e32 v3, v10
	v_ashrrev_i32_e32 v3, 31, v3
	v_and_b32_e32 v2, exec_lo, v2
	v_xor_b32_e32 v4, s31, v3
	v_xor_b32_e32 v3, s30, v3
	v_lshlrev_b32_e32 v10, 29, v45
	v_and_b32_e32 v2, v2, v3
	v_cmp_gt_i64_e64 s[30:31], 0, v[9:10]
	v_not_b32_e32 v3, v10
	v_and_b32_e32 v1, exec_hi, v1
	v_ashrrev_i32_e32 v3, 31, v3
	v_and_b32_e32 v1, v1, v4
	v_xor_b32_e32 v4, s31, v3
	v_xor_b32_e32 v3, s30, v3
	v_lshlrev_b32_e32 v10, 28, v45
	v_and_b32_e32 v2, v2, v3
	v_cmp_gt_i64_e64 s[30:31], 0, v[9:10]
	v_not_b32_e32 v3, v10
	v_ashrrev_i32_e32 v3, 31, v3
	v_and_b32_e32 v1, v1, v4
	v_xor_b32_e32 v4, s31, v3
	v_xor_b32_e32 v3, s30, v3
	v_lshlrev_b32_e32 v10, 27, v45
	v_and_b32_e32 v2, v2, v3
	v_cmp_gt_i64_e64 s[30:31], 0, v[9:10]
	v_not_b32_e32 v3, v10
	;; [unrolled: 8-line block ×5, first 2 shown]
	v_ashrrev_i32_e32 v2, 31, v2
	v_and_b32_e32 v1, v1, v4
	v_xor_b32_e32 v4, s31, v2
	v_xor_b32_e32 v10, s30, v2
	; wave barrier
	ds_read_b32 v46, v47 offset:16
	v_and_b32_e32 v2, v1, v4
	v_and_b32_e32 v1, v3, v10
	v_mbcnt_lo_u32_b32 v3, v1, 0
	v_mbcnt_hi_u32_b32 v48, v2, v3
	v_cmp_ne_u64_e64 s[30:31], 0, v[1:2]
	v_cmp_eq_u32_e64 s[34:35], 0, v48
	s_and_b64 s[34:35], s[30:31], s[34:35]
	; wave barrier
	s_and_saveexec_b64 s[30:31], s[34:35]
	s_cbranch_execz .LBB269_8
; %bb.7:                                ;   in Loop: Header=BB269_2 Depth=1
	v_bcnt_u32_b32 v1, v1, 0
	v_bcnt_u32_b32 v1, v2, v1
	s_waitcnt lgkmcnt(0)
	v_add_u32_e32 v1, v46, v1
	ds_write_b32 v47, v1 offset:16
.LBB269_8:                              ;   in Loop: Header=BB269_2 Depth=1
	s_or_b64 exec, exec, s[30:31]
	v_lshrrev_b32_e32 v49, 24, v22
	v_lshlrev_b32_e32 v1, 4, v49
	v_add_u32_e32 v51, v21, v1
	v_bfe_u32 v1, v22, 24, 1
	v_add_co_u32_e64 v2, s[30:31], -1, v1
	v_addc_co_u32_e64 v3, s[30:31], 0, -1, s[30:31]
	v_cmp_ne_u32_e64 s[30:31], 0, v1
	v_lshlrev_b32_e32 v10, 30, v49
	v_xor_b32_e32 v1, s31, v3
	v_xor_b32_e32 v2, s30, v2
	v_cmp_gt_i64_e64 s[30:31], 0, v[9:10]
	v_not_b32_e32 v3, v10
	v_ashrrev_i32_e32 v3, 31, v3
	v_and_b32_e32 v2, exec_lo, v2
	v_xor_b32_e32 v4, s31, v3
	v_xor_b32_e32 v3, s30, v3
	v_lshlrev_b32_e32 v10, 29, v49
	v_and_b32_e32 v2, v2, v3
	v_cmp_gt_i64_e64 s[30:31], 0, v[9:10]
	v_not_b32_e32 v3, v10
	v_and_b32_e32 v1, exec_hi, v1
	v_ashrrev_i32_e32 v3, 31, v3
	v_and_b32_e32 v1, v1, v4
	v_xor_b32_e32 v4, s31, v3
	v_xor_b32_e32 v3, s30, v3
	v_lshlrev_b32_e32 v10, 28, v49
	v_and_b32_e32 v2, v2, v3
	v_cmp_gt_i64_e64 s[30:31], 0, v[9:10]
	v_not_b32_e32 v3, v10
	v_ashrrev_i32_e32 v3, 31, v3
	v_and_b32_e32 v1, v1, v4
	v_xor_b32_e32 v4, s31, v3
	v_xor_b32_e32 v3, s30, v3
	v_lshlrev_b32_e32 v10, 27, v49
	v_and_b32_e32 v2, v2, v3
	v_cmp_gt_i64_e64 s[30:31], 0, v[9:10]
	v_not_b32_e32 v3, v10
	;; [unrolled: 8-line block ×4, first 2 shown]
	v_ashrrev_i32_e32 v3, 31, v3
	v_and_b32_e32 v1, v1, v4
	v_xor_b32_e32 v4, s31, v3
	v_xor_b32_e32 v3, s30, v3
	v_and_b32_e32 v10, 0xff000000, v22
	v_and_b32_e32 v3, v2, v3
	v_cmp_gt_i64_e64 s[30:31], 0, v[9:10]
	v_not_b32_e32 v2, v10
	v_ashrrev_i32_e32 v2, 31, v2
	v_and_b32_e32 v1, v1, v4
	v_xor_b32_e32 v4, s31, v2
	v_xor_b32_e32 v10, s30, v2
	; wave barrier
	ds_read_b32 v50, v51 offset:16
	v_and_b32_e32 v2, v1, v4
	v_and_b32_e32 v1, v3, v10
	v_mbcnt_lo_u32_b32 v3, v1, 0
	v_mbcnt_hi_u32_b32 v10, v2, v3
	v_cmp_ne_u64_e64 s[30:31], 0, v[1:2]
	v_cmp_eq_u32_e64 s[34:35], 0, v10
	s_and_b64 s[34:35], s[30:31], s[34:35]
	; wave barrier
	s_and_saveexec_b64 s[30:31], s[34:35]
	s_cbranch_execz .LBB269_10
; %bb.9:                                ;   in Loop: Header=BB269_2 Depth=1
	v_bcnt_u32_b32 v1, v1, 0
	v_bcnt_u32_b32 v1, v2, v1
	s_waitcnt lgkmcnt(0)
	v_add_u32_e32 v1, v50, v1
	ds_write_b32 v51, v1 offset:16
.LBB269_10:                             ;   in Loop: Header=BB269_2 Depth=1
	s_or_b64 exec, exec, s[30:31]
	; wave barrier
	s_waitcnt lgkmcnt(0)
	s_barrier
	ds_read2_b64 v[1:4], v12 offset0:2 offset1:3
	s_waitcnt lgkmcnt(0)
	v_add_u32_e32 v52, v2, v1
	v_add3_u32 v4, v52, v3, v4
	s_nop 1
	v_mov_b32_dpp v52, v4 row_shr:1 row_mask:0xf bank_mask:0xf
	v_cndmask_b32_e64 v52, v52, 0, s[18:19]
	v_add_u32_e32 v4, v52, v4
	s_nop 1
	v_mov_b32_dpp v52, v4 row_shr:2 row_mask:0xf bank_mask:0xf
	v_cndmask_b32_e64 v52, 0, v52, s[20:21]
	v_add_u32_e32 v4, v4, v52
	;; [unrolled: 4-line block ×4, first 2 shown]
	s_nop 1
	v_mov_b32_dpp v52, v4 row_bcast:15 row_mask:0xf bank_mask:0xf
	v_cndmask_b32_e64 v52, v52, 0, s[26:27]
	v_add_u32_e32 v4, v4, v52
	s_nop 1
	v_mov_b32_dpp v52, v4 row_bcast:31 row_mask:0xf bank_mask:0xf
	v_cndmask_b32_e64 v52, 0, v52, s[6:7]
	v_add_u32_e32 v4, v4, v52
	s_and_saveexec_b64 s[30:31], s[8:9]
; %bb.11:                               ;   in Loop: Header=BB269_2 Depth=1
	ds_write_b32 v13, v4
; %bb.12:                               ;   in Loop: Header=BB269_2 Depth=1
	s_or_b64 exec, exec, s[30:31]
	s_waitcnt lgkmcnt(0)
	s_barrier
	s_and_saveexec_b64 s[30:31], s[0:1]
	s_cbranch_execz .LBB269_14
; %bb.13:                               ;   in Loop: Header=BB269_2 Depth=1
	ds_read_b32 v52, v14
	s_waitcnt lgkmcnt(0)
	s_nop 0
	v_mov_b32_dpp v53, v52 row_shr:1 row_mask:0xf bank_mask:0xf
	v_cndmask_b32_e64 v53, v53, 0, vcc
	v_add_u32_e32 v52, v53, v52
	s_nop 1
	v_mov_b32_dpp v53, v52 row_shr:2 row_mask:0xf bank_mask:0xf
	v_cndmask_b32_e64 v53, 0, v53, s[28:29]
	v_add_u32_e32 v52, v52, v53
	ds_write_b32 v14, v52
.LBB269_14:                             ;   in Loop: Header=BB269_2 Depth=1
	s_or_b64 exec, exec, s[30:31]
	v_mov_b32_e32 v52, 0
	s_waitcnt lgkmcnt(0)
	s_barrier
	s_and_saveexec_b64 s[30:31], s[2:3]
	s_cbranch_execz .LBB269_1
; %bb.15:                               ;   in Loop: Header=BB269_2 Depth=1
	ds_read_b32 v52, v15
	s_branch .LBB269_1
.LBB269_16:
	s_add_u32 s0, s38, s33
	v_add_u16_e32 v3, v4, v22
	s_addc_u32 s1, s39, 0
	v_add_u16_e32 v4, v10, v23
	v_add_u16_e32 v1, v1, v24
	;; [unrolled: 1-line block ×3, first 2 shown]
	global_store_byte v0, v3, s[0:1]
	global_store_byte v0, v4, s[0:1] offset:256
	global_store_byte v0, v1, s[0:1] offset:512
	;; [unrolled: 1-line block ×3, first 2 shown]
	s_endpgm
	.section	.rodata,"a",@progbits
	.p2align	6, 0x0
	.amdhsa_kernel _Z17sort_pairs_kernelI22helper_blocked_stripedaLj256ELj4ELj10EEvPKT0_PS1_
		.amdhsa_group_segment_fixed_size 4112
		.amdhsa_private_segment_fixed_size 0
		.amdhsa_kernarg_size 272
		.amdhsa_user_sgpr_count 6
		.amdhsa_user_sgpr_private_segment_buffer 1
		.amdhsa_user_sgpr_dispatch_ptr 0
		.amdhsa_user_sgpr_queue_ptr 0
		.amdhsa_user_sgpr_kernarg_segment_ptr 1
		.amdhsa_user_sgpr_dispatch_id 0
		.amdhsa_user_sgpr_flat_scratch_init 0
		.amdhsa_user_sgpr_private_segment_size 0
		.amdhsa_uses_dynamic_stack 0
		.amdhsa_system_sgpr_private_segment_wavefront_offset 0
		.amdhsa_system_sgpr_workgroup_id_x 1
		.amdhsa_system_sgpr_workgroup_id_y 0
		.amdhsa_system_sgpr_workgroup_id_z 0
		.amdhsa_system_sgpr_workgroup_info 0
		.amdhsa_system_vgpr_workitem_id 2
		.amdhsa_next_free_vgpr 54
		.amdhsa_next_free_sgpr 47
		.amdhsa_reserve_vcc 1
		.amdhsa_reserve_flat_scratch 0
		.amdhsa_float_round_mode_32 0
		.amdhsa_float_round_mode_16_64 0
		.amdhsa_float_denorm_mode_32 3
		.amdhsa_float_denorm_mode_16_64 3
		.amdhsa_dx10_clamp 1
		.amdhsa_ieee_mode 1
		.amdhsa_fp16_overflow 0
		.amdhsa_exception_fp_ieee_invalid_op 0
		.amdhsa_exception_fp_denorm_src 0
		.amdhsa_exception_fp_ieee_div_zero 0
		.amdhsa_exception_fp_ieee_overflow 0
		.amdhsa_exception_fp_ieee_underflow 0
		.amdhsa_exception_fp_ieee_inexact 0
		.amdhsa_exception_int_div_zero 0
	.end_amdhsa_kernel
	.section	.text._Z17sort_pairs_kernelI22helper_blocked_stripedaLj256ELj4ELj10EEvPKT0_PS1_,"axG",@progbits,_Z17sort_pairs_kernelI22helper_blocked_stripedaLj256ELj4ELj10EEvPKT0_PS1_,comdat
.Lfunc_end269:
	.size	_Z17sort_pairs_kernelI22helper_blocked_stripedaLj256ELj4ELj10EEvPKT0_PS1_, .Lfunc_end269-_Z17sort_pairs_kernelI22helper_blocked_stripedaLj256ELj4ELj10EEvPKT0_PS1_
                                        ; -- End function
	.set _Z17sort_pairs_kernelI22helper_blocked_stripedaLj256ELj4ELj10EEvPKT0_PS1_.num_vgpr, 54
	.set _Z17sort_pairs_kernelI22helper_blocked_stripedaLj256ELj4ELj10EEvPKT0_PS1_.num_agpr, 0
	.set _Z17sort_pairs_kernelI22helper_blocked_stripedaLj256ELj4ELj10EEvPKT0_PS1_.numbered_sgpr, 47
	.set _Z17sort_pairs_kernelI22helper_blocked_stripedaLj256ELj4ELj10EEvPKT0_PS1_.num_named_barrier, 0
	.set _Z17sort_pairs_kernelI22helper_blocked_stripedaLj256ELj4ELj10EEvPKT0_PS1_.private_seg_size, 0
	.set _Z17sort_pairs_kernelI22helper_blocked_stripedaLj256ELj4ELj10EEvPKT0_PS1_.uses_vcc, 1
	.set _Z17sort_pairs_kernelI22helper_blocked_stripedaLj256ELj4ELj10EEvPKT0_PS1_.uses_flat_scratch, 0
	.set _Z17sort_pairs_kernelI22helper_blocked_stripedaLj256ELj4ELj10EEvPKT0_PS1_.has_dyn_sized_stack, 0
	.set _Z17sort_pairs_kernelI22helper_blocked_stripedaLj256ELj4ELj10EEvPKT0_PS1_.has_recursion, 0
	.set _Z17sort_pairs_kernelI22helper_blocked_stripedaLj256ELj4ELj10EEvPKT0_PS1_.has_indirect_call, 0
	.section	.AMDGPU.csdata,"",@progbits
; Kernel info:
; codeLenInByte = 4068
; TotalNumSgprs: 51
; NumVgprs: 54
; ScratchSize: 0
; MemoryBound: 0
; FloatMode: 240
; IeeeMode: 1
; LDSByteSize: 4112 bytes/workgroup (compile time only)
; SGPRBlocks: 6
; VGPRBlocks: 13
; NumSGPRsForWavesPerEU: 51
; NumVGPRsForWavesPerEU: 54
; Occupancy: 4
; WaveLimiterHint : 1
; COMPUTE_PGM_RSRC2:SCRATCH_EN: 0
; COMPUTE_PGM_RSRC2:USER_SGPR: 6
; COMPUTE_PGM_RSRC2:TRAP_HANDLER: 0
; COMPUTE_PGM_RSRC2:TGID_X_EN: 1
; COMPUTE_PGM_RSRC2:TGID_Y_EN: 0
; COMPUTE_PGM_RSRC2:TGID_Z_EN: 0
; COMPUTE_PGM_RSRC2:TIDIG_COMP_CNT: 2
	.section	.text._Z16sort_keys_kernelI22helper_blocked_stripedaLj256ELj8ELj10EEvPKT0_PS1_,"axG",@progbits,_Z16sort_keys_kernelI22helper_blocked_stripedaLj256ELj8ELj10EEvPKT0_PS1_,comdat
	.protected	_Z16sort_keys_kernelI22helper_blocked_stripedaLj256ELj8ELj10EEvPKT0_PS1_ ; -- Begin function _Z16sort_keys_kernelI22helper_blocked_stripedaLj256ELj8ELj10EEvPKT0_PS1_
	.globl	_Z16sort_keys_kernelI22helper_blocked_stripedaLj256ELj8ELj10EEvPKT0_PS1_
	.p2align	8
	.type	_Z16sort_keys_kernelI22helper_blocked_stripedaLj256ELj8ELj10EEvPKT0_PS1_,@function
_Z16sort_keys_kernelI22helper_blocked_stripedaLj256ELj8ELj10EEvPKT0_PS1_: ; @_Z16sort_keys_kernelI22helper_blocked_stripedaLj256ELj8ELj10EEvPKT0_PS1_
; %bb.0:
	s_load_dwordx4 s[28:31], s[4:5], 0x0
	s_load_dword s2, s[4:5], 0x1c
	s_lshl_b32 s33, s6, 11
	v_lshlrev_b32_e32 v5, 3, v0
	v_mbcnt_lo_u32_b32 v6, -1, 0
	s_waitcnt lgkmcnt(0)
	s_add_u32 s0, s28, s33
	s_addc_u32 s1, s29, 0
	global_load_dwordx2 v[3:4], v5, s[0:1]
	s_lshr_b32 s0, s2, 16
	s_and_b32 s1, s2, 0xffff
	v_mad_u32_u24 v1, v2, s0, v1
	v_mad_u64_u32 v[1:2], s[0:1], v1, s1, v[0:1]
	v_mbcnt_hi_u32_b32 v6, -1, v6
	v_and_b32_e32 v7, 0xc0, v0
	v_lshrrev_b32_e32 v1, 4, v1
	v_and_b32_e32 v13, 0xffffffc, v1
	v_and_b32_e32 v1, 15, v6
	v_cmp_eq_u32_e32 vcc, 0, v1
	v_cmp_lt_u32_e64 s[0:1], 1, v1
	v_cmp_lt_u32_e64 s[2:3], 3, v1
	;; [unrolled: 1-line block ×3, first 2 shown]
	v_and_b32_e32 v1, 16, v6
	v_cmp_eq_u32_e64 s[6:7], 0, v1
	v_or_b32_e32 v1, 63, v7
	v_and_b32_e32 v2, 0x600, v5
	v_cmp_eq_u32_e64 s[10:11], v0, v1
	v_subrev_co_u32_e64 v1, s[16:17], 1, v6
	v_and_b32_e32 v5, 64, v6
	v_cmp_lt_i32_e64 s[18:19], v1, v5
	s_mov_b32 s24, 0
	v_cndmask_b32_e64 v1, v1, v6, s[18:19]
	v_lshlrev_b32_e32 v14, 2, v1
	v_lshrrev_b32_e32 v1, 4, v0
	v_and_b32_e32 v5, 3, v6
	s_mov_b32 s26, s24
	v_add_lshl_u32 v11, v6, v7, 3
	v_cmp_lt_u32_e64 s[8:9], 31, v6
	v_and_b32_e32 v15, 12, v1
	v_mul_u32_u24_e32 v1, 3, v0
	v_cmp_eq_u32_e64 s[20:21], 0, v5
	v_cmp_lt_u32_e64 s[22:23], 1, v5
	v_add_u32_e32 v17, v6, v2
	s_mov_b32 s25, s24
	s_mov_b32 s27, s24
	v_mov_b32_e32 v5, s24
	v_mov_b32_e32 v7, s26
	v_lshlrev_b32_e32 v12, 4, v0
	v_cmp_gt_u32_e64 s[12:13], 4, v0
	v_cmp_lt_u32_e64 s[14:15], 63, v0
	v_cmp_eq_u32_e64 s[18:19], 0, v0
	v_add_u32_e32 v16, -4, v15
	s_mov_b32 s28, 10
	s_movk_i32 s29, 0xff00
	s_movk_i32 s34, 0x80
	;; [unrolled: 1-line block ×3, first 2 shown]
	v_mov_b32_e32 v6, s25
	v_mov_b32_e32 v8, s27
	;; [unrolled: 1-line block ×3, first 2 shown]
	v_add_u32_e32 v18, v0, v1
	v_mov_b32_e32 v19, 4
	s_branch .LBB270_2
.LBB270_1:                              ;   in Loop: Header=BB270_2 Depth=1
	s_or_b64 exec, exec, s[24:25]
	s_waitcnt lgkmcnt(0)
	v_add_u32_e32 v4, v50, v4
	ds_bpermute_b32 v4, v14, v4
	s_add_i32 s28, s28, -1
	s_cmp_eq_u32 s28, 0
	s_waitcnt lgkmcnt(0)
	v_cndmask_b32_e64 v4, v4, v50, s[16:17]
	v_cndmask_b32_e64 v50, v4, 0, s[18:19]
	v_add_u32_e32 v51, v50, v1
	v_add_u32_e32 v1, v51, v2
	v_add_u32_e32 v2, v1, v3
	ds_write2_b64 v12, v[50:51], v[1:2] offset0:2 offset1:3
	s_waitcnt lgkmcnt(0)
	s_barrier
	ds_read_b32 v1, v29 offset:16
	ds_read_b32 v2, v31 offset:16
	ds_read_b32 v3, v34 offset:16
	ds_read_b32 v4, v37 offset:16
	ds_read_b32 v29, v40 offset:16
	ds_read_b32 v31, v43 offset:16
	ds_read_b32 v34, v46 offset:16
	ds_read_b32 v37, v49 offset:16
	s_waitcnt lgkmcnt(7)
	v_add_u32_e32 v1, v1, v28
	s_waitcnt lgkmcnt(0)
	s_barrier
	ds_write_b8 v1, v27
	v_add3_u32 v1, v32, v30, v2
	ds_write_b8 v1, v26
	v_add3_u32 v1, v35, v33, v3
	;; [unrolled: 2-line block ×7, first 2 shown]
	ds_write_b8 v1, v20
	s_waitcnt lgkmcnt(0)
	s_barrier
	ds_read_u8 v1, v0
	ds_read_u8 v2, v0 offset:256
	ds_read_u8 v3, v0 offset:512
	;; [unrolled: 1-line block ×7, first 2 shown]
	s_waitcnt lgkmcnt(6)
	v_xor_b32_e32 v2, 0xffffff80, v2
	s_waitcnt lgkmcnt(4)
	v_xor_b32_e32 v20, 0xffffff80, v4
	v_xor_b32_e32 v1, 0xffffff80, v1
	;; [unrolled: 1-line block ×3, first 2 shown]
	v_lshlrev_b16_e32 v3, 8, v2
	v_lshlrev_b16_e32 v4, 8, v20
	s_waitcnt lgkmcnt(2)
	v_xor_b32_e32 v22, 0xffffff80, v22
	s_waitcnt lgkmcnt(0)
	v_xor_b32_e32 v24, 0xffffff80, v24
	v_or_b32_sdwa v3, v1, v3 dst_sel:DWORD dst_unused:UNUSED_PAD src0_sel:BYTE_0 src1_sel:DWORD
	v_or_b32_sdwa v4, v10, v4 dst_sel:WORD_1 dst_unused:UNUSED_PAD src0_sel:BYTE_0 src1_sel:DWORD
	v_xor_b32_e32 v21, 0xffffff80, v21
	v_xor_b32_e32 v23, 0xffffff80, v23
	v_or_b32_sdwa v3, v3, v4 dst_sel:DWORD dst_unused:UNUSED_PAD src0_sel:WORD_0 src1_sel:DWORD
	v_lshlrev_b16_e32 v4, 8, v22
	v_lshlrev_b16_e32 v25, 8, v24
	v_or_b32_sdwa v4, v21, v4 dst_sel:DWORD dst_unused:UNUSED_PAD src0_sel:BYTE_0 src1_sel:DWORD
	v_or_b32_sdwa v25, v23, v25 dst_sel:WORD_1 dst_unused:UNUSED_PAD src0_sel:BYTE_0 src1_sel:DWORD
	v_or_b32_sdwa v4, v4, v25 dst_sel:DWORD dst_unused:UNUSED_PAD src0_sel:WORD_0 src1_sel:DWORD
	s_cbranch_scc1 .LBB270_24
.LBB270_2:                              ; =>This Inner Loop Header: Depth=1
	s_waitcnt vmcnt(0)
	v_and_b32_e32 v1, 0xffffff00, v3
	v_xor_b32_e32 v2, 0x80, v3
	v_or_b32_sdwa v1, v2, v1 dst_sel:DWORD dst_unused:UNUSED_PAD src0_sel:BYTE_0 src1_sel:DWORD
	v_and_b32_sdwa v2, v3, s29 dst_sel:DWORD dst_unused:UNUSED_PAD src0_sel:WORD_1 src1_sel:DWORD
	v_xor_b32_sdwa v3, v3, s34 dst_sel:DWORD dst_unused:UNUSED_PAD src0_sel:WORD_1 src1_sel:DWORD
	v_or_b32_sdwa v2, v3, v2 dst_sel:DWORD dst_unused:UNUSED_PAD src0_sel:BYTE_0 src1_sel:DWORD
	v_add_u16_e32 v1, 0x8000, v1
	v_add_u16_sdwa v2, v2, s35 dst_sel:WORD_1 dst_unused:UNUSED_PAD src0_sel:DWORD src1_sel:DWORD
	v_or_b32_e32 v1, v1, v2
	v_and_b32_e32 v2, 0xffffff00, v4
	v_xor_b32_e32 v3, 0x80, v4
	v_or_b32_sdwa v2, v3, v2 dst_sel:DWORD dst_unused:UNUSED_PAD src0_sel:BYTE_0 src1_sel:DWORD
	v_and_b32_sdwa v3, v4, s29 dst_sel:DWORD dst_unused:UNUSED_PAD src0_sel:WORD_1 src1_sel:DWORD
	v_xor_b32_sdwa v4, v4, s34 dst_sel:DWORD dst_unused:UNUSED_PAD src0_sel:WORD_1 src1_sel:DWORD
	v_or_b32_sdwa v3, v4, v3 dst_sel:DWORD dst_unused:UNUSED_PAD src0_sel:BYTE_0 src1_sel:DWORD
	v_add_u16_e32 v2, 0x8000, v2
	v_add_u16_sdwa v3, v3, s35 dst_sel:WORD_1 dst_unused:UNUSED_PAD src0_sel:DWORD src1_sel:DWORD
	v_or_b32_e32 v2, v2, v3
	ds_write_b64 v11, v[1:2]
	; wave barrier
	ds_read_u8 v27, v17
	ds_read_u8 v26, v17 offset:64
	ds_read_u8 v25, v17 offset:128
	;; [unrolled: 1-line block ×7, first 2 shown]
	s_waitcnt lgkmcnt(7)
	v_and_b32_e32 v1, 1, v27
	v_cmp_ne_u32_e64 s[24:25], 0, v1
	v_add_co_u32_e64 v1, s[26:27], -1, v1
	v_addc_co_u32_e64 v2, s[26:27], 0, -1, s[26:27]
	v_lshlrev_b32_e32 v10, 30, v27
	v_cmp_gt_i64_e64 s[26:27], 0, v[9:10]
	v_not_b32_e32 v3, v10
	v_ashrrev_i32_e32 v3, 31, v3
	v_xor_b32_e32 v1, s24, v1
	v_xor_b32_e32 v4, s27, v3
	v_and_b32_e32 v1, exec_lo, v1
	v_xor_b32_e32 v3, s26, v3
	v_lshlrev_b32_e32 v10, 29, v27
	v_xor_b32_e32 v2, s25, v2
	v_and_b32_e32 v1, v1, v3
	v_cmp_gt_i64_e64 s[24:25], 0, v[9:10]
	v_not_b32_e32 v3, v10
	v_and_b32_e32 v2, exec_hi, v2
	v_ashrrev_i32_e32 v3, 31, v3
	v_and_b32_e32 v2, v2, v4
	v_xor_b32_e32 v4, s25, v3
	v_xor_b32_e32 v3, s24, v3
	v_lshlrev_b32_e32 v10, 28, v27
	v_and_b32_e32 v1, v1, v3
	v_cmp_gt_i64_e64 s[24:25], 0, v[9:10]
	v_not_b32_e32 v3, v10
	v_ashrrev_i32_e32 v3, 31, v3
	v_and_b32_e32 v2, v2, v4
	v_xor_b32_e32 v4, s25, v3
	v_xor_b32_e32 v3, s24, v3
	v_lshlrev_b32_e32 v10, 27, v27
	v_and_b32_e32 v1, v1, v3
	v_cmp_gt_i64_e64 s[24:25], 0, v[9:10]
	v_not_b32_e32 v3, v10
	;; [unrolled: 8-line block ×5, first 2 shown]
	v_ashrrev_i32_e32 v3, 31, v3
	v_and_b32_e32 v2, v2, v4
	v_xor_b32_e32 v4, s25, v3
	v_xor_b32_e32 v3, s24, v3
	v_and_b32_e32 v1, v1, v3
	v_and_b32_e32 v2, v2, v4
	v_mbcnt_lo_u32_b32 v3, v1, 0
	v_mbcnt_hi_u32_b32 v28, v2, v3
	v_cmp_ne_u64_e64 s[24:25], 0, v[1:2]
	v_cmp_eq_u32_e64 s[26:27], 0, v28
	v_lshlrev_b32_sdwa v3, v19, v27 dst_sel:DWORD dst_unused:UNUSED_PAD src0_sel:DWORD src1_sel:BYTE_0
	s_and_b64 s[26:27], s[24:25], s[26:27]
	v_add_u32_e32 v29, v13, v3
	; wave barrier
	; wave barrier
	s_waitcnt lgkmcnt(0)
	s_barrier
	ds_write2_b64 v12, v[5:6], v[7:8] offset0:2 offset1:3
	s_waitcnt lgkmcnt(0)
	s_barrier
	; wave barrier
	s_and_saveexec_b64 s[24:25], s[26:27]
; %bb.3:                                ;   in Loop: Header=BB270_2 Depth=1
	v_bcnt_u32_b32 v1, v1, 0
	v_bcnt_u32_b32 v1, v2, v1
	ds_write_b32 v29, v1 offset:16
; %bb.4:                                ;   in Loop: Header=BB270_2 Depth=1
	s_or_b64 exec, exec, s[24:25]
	v_lshlrev_b32_sdwa v1, v19, v26 dst_sel:DWORD dst_unused:UNUSED_PAD src0_sel:DWORD src1_sel:BYTE_0
	v_add_u32_e32 v31, v13, v1
	v_and_b32_e32 v1, 1, v26
	v_add_co_u32_e64 v2, s[24:25], -1, v1
	v_addc_co_u32_e64 v3, s[24:25], 0, -1, s[24:25]
	v_cmp_ne_u32_e64 s[24:25], 0, v1
	v_lshlrev_b32_e32 v10, 30, v26
	v_xor_b32_e32 v1, s25, v3
	v_xor_b32_e32 v2, s24, v2
	v_cmp_gt_i64_e64 s[24:25], 0, v[9:10]
	v_not_b32_e32 v3, v10
	v_ashrrev_i32_e32 v3, 31, v3
	v_and_b32_e32 v2, exec_lo, v2
	v_xor_b32_e32 v4, s25, v3
	v_xor_b32_e32 v3, s24, v3
	v_lshlrev_b32_e32 v10, 29, v26
	v_and_b32_e32 v2, v2, v3
	v_cmp_gt_i64_e64 s[24:25], 0, v[9:10]
	v_not_b32_e32 v3, v10
	v_and_b32_e32 v1, exec_hi, v1
	v_ashrrev_i32_e32 v3, 31, v3
	v_and_b32_e32 v1, v1, v4
	v_xor_b32_e32 v4, s25, v3
	v_xor_b32_e32 v3, s24, v3
	v_lshlrev_b32_e32 v10, 28, v26
	v_and_b32_e32 v2, v2, v3
	v_cmp_gt_i64_e64 s[24:25], 0, v[9:10]
	v_not_b32_e32 v3, v10
	v_ashrrev_i32_e32 v3, 31, v3
	v_and_b32_e32 v1, v1, v4
	v_xor_b32_e32 v4, s25, v3
	v_xor_b32_e32 v3, s24, v3
	v_lshlrev_b32_e32 v10, 27, v26
	v_and_b32_e32 v2, v2, v3
	v_cmp_gt_i64_e64 s[24:25], 0, v[9:10]
	v_not_b32_e32 v3, v10
	;; [unrolled: 8-line block ×5, first 2 shown]
	v_ashrrev_i32_e32 v2, 31, v2
	v_and_b32_e32 v1, v1, v4
	v_xor_b32_e32 v4, s25, v2
	v_xor_b32_e32 v10, s24, v2
	; wave barrier
	ds_read_b32 v30, v31 offset:16
	v_and_b32_e32 v2, v1, v4
	v_and_b32_e32 v1, v3, v10
	v_mbcnt_lo_u32_b32 v3, v1, 0
	v_mbcnt_hi_u32_b32 v32, v2, v3
	v_cmp_ne_u64_e64 s[24:25], 0, v[1:2]
	v_cmp_eq_u32_e64 s[26:27], 0, v32
	s_and_b64 s[26:27], s[24:25], s[26:27]
	; wave barrier
	s_and_saveexec_b64 s[24:25], s[26:27]
	s_cbranch_execz .LBB270_6
; %bb.5:                                ;   in Loop: Header=BB270_2 Depth=1
	v_bcnt_u32_b32 v1, v1, 0
	v_bcnt_u32_b32 v1, v2, v1
	s_waitcnt lgkmcnt(0)
	v_add_u32_e32 v1, v30, v1
	ds_write_b32 v31, v1 offset:16
.LBB270_6:                              ;   in Loop: Header=BB270_2 Depth=1
	s_or_b64 exec, exec, s[24:25]
	v_lshlrev_b32_sdwa v1, v19, v25 dst_sel:DWORD dst_unused:UNUSED_PAD src0_sel:DWORD src1_sel:BYTE_0
	v_add_u32_e32 v34, v13, v1
	v_and_b32_e32 v1, 1, v25
	v_add_co_u32_e64 v2, s[24:25], -1, v1
	v_addc_co_u32_e64 v3, s[24:25], 0, -1, s[24:25]
	v_cmp_ne_u32_e64 s[24:25], 0, v1
	v_lshlrev_b32_e32 v10, 30, v25
	v_xor_b32_e32 v1, s25, v3
	v_xor_b32_e32 v2, s24, v2
	v_cmp_gt_i64_e64 s[24:25], 0, v[9:10]
	v_not_b32_e32 v3, v10
	v_ashrrev_i32_e32 v3, 31, v3
	v_and_b32_e32 v2, exec_lo, v2
	v_xor_b32_e32 v4, s25, v3
	v_xor_b32_e32 v3, s24, v3
	v_lshlrev_b32_e32 v10, 29, v25
	v_and_b32_e32 v2, v2, v3
	v_cmp_gt_i64_e64 s[24:25], 0, v[9:10]
	v_not_b32_e32 v3, v10
	v_and_b32_e32 v1, exec_hi, v1
	v_ashrrev_i32_e32 v3, 31, v3
	v_and_b32_e32 v1, v1, v4
	v_xor_b32_e32 v4, s25, v3
	v_xor_b32_e32 v3, s24, v3
	v_lshlrev_b32_e32 v10, 28, v25
	v_and_b32_e32 v2, v2, v3
	v_cmp_gt_i64_e64 s[24:25], 0, v[9:10]
	v_not_b32_e32 v3, v10
	v_ashrrev_i32_e32 v3, 31, v3
	v_and_b32_e32 v1, v1, v4
	v_xor_b32_e32 v4, s25, v3
	v_xor_b32_e32 v3, s24, v3
	v_lshlrev_b32_e32 v10, 27, v25
	v_and_b32_e32 v2, v2, v3
	v_cmp_gt_i64_e64 s[24:25], 0, v[9:10]
	v_not_b32_e32 v3, v10
	;; [unrolled: 8-line block ×5, first 2 shown]
	v_ashrrev_i32_e32 v2, 31, v2
	v_and_b32_e32 v1, v1, v4
	v_xor_b32_e32 v4, s25, v2
	v_xor_b32_e32 v10, s24, v2
	; wave barrier
	ds_read_b32 v33, v34 offset:16
	v_and_b32_e32 v2, v1, v4
	v_and_b32_e32 v1, v3, v10
	v_mbcnt_lo_u32_b32 v3, v1, 0
	v_mbcnt_hi_u32_b32 v35, v2, v3
	v_cmp_ne_u64_e64 s[24:25], 0, v[1:2]
	v_cmp_eq_u32_e64 s[26:27], 0, v35
	s_and_b64 s[26:27], s[24:25], s[26:27]
	; wave barrier
	s_and_saveexec_b64 s[24:25], s[26:27]
	s_cbranch_execz .LBB270_8
; %bb.7:                                ;   in Loop: Header=BB270_2 Depth=1
	v_bcnt_u32_b32 v1, v1, 0
	v_bcnt_u32_b32 v1, v2, v1
	s_waitcnt lgkmcnt(0)
	v_add_u32_e32 v1, v33, v1
	ds_write_b32 v34, v1 offset:16
.LBB270_8:                              ;   in Loop: Header=BB270_2 Depth=1
	s_or_b64 exec, exec, s[24:25]
	v_lshlrev_b32_sdwa v1, v19, v24 dst_sel:DWORD dst_unused:UNUSED_PAD src0_sel:DWORD src1_sel:BYTE_0
	v_add_u32_e32 v37, v13, v1
	v_and_b32_e32 v1, 1, v24
	v_add_co_u32_e64 v2, s[24:25], -1, v1
	v_addc_co_u32_e64 v3, s[24:25], 0, -1, s[24:25]
	v_cmp_ne_u32_e64 s[24:25], 0, v1
	v_lshlrev_b32_e32 v10, 30, v24
	v_xor_b32_e32 v1, s25, v3
	v_xor_b32_e32 v2, s24, v2
	v_cmp_gt_i64_e64 s[24:25], 0, v[9:10]
	v_not_b32_e32 v3, v10
	v_ashrrev_i32_e32 v3, 31, v3
	v_and_b32_e32 v2, exec_lo, v2
	v_xor_b32_e32 v4, s25, v3
	v_xor_b32_e32 v3, s24, v3
	v_lshlrev_b32_e32 v10, 29, v24
	v_and_b32_e32 v2, v2, v3
	v_cmp_gt_i64_e64 s[24:25], 0, v[9:10]
	v_not_b32_e32 v3, v10
	v_and_b32_e32 v1, exec_hi, v1
	v_ashrrev_i32_e32 v3, 31, v3
	v_and_b32_e32 v1, v1, v4
	v_xor_b32_e32 v4, s25, v3
	v_xor_b32_e32 v3, s24, v3
	v_lshlrev_b32_e32 v10, 28, v24
	v_and_b32_e32 v2, v2, v3
	v_cmp_gt_i64_e64 s[24:25], 0, v[9:10]
	v_not_b32_e32 v3, v10
	v_ashrrev_i32_e32 v3, 31, v3
	v_and_b32_e32 v1, v1, v4
	v_xor_b32_e32 v4, s25, v3
	v_xor_b32_e32 v3, s24, v3
	v_lshlrev_b32_e32 v10, 27, v24
	v_and_b32_e32 v2, v2, v3
	v_cmp_gt_i64_e64 s[24:25], 0, v[9:10]
	v_not_b32_e32 v3, v10
	v_ashrrev_i32_e32 v3, 31, v3
	v_and_b32_e32 v1, v1, v4
	v_xor_b32_e32 v4, s25, v3
	v_xor_b32_e32 v3, s24, v3
	v_lshlrev_b32_e32 v10, 26, v24
	v_and_b32_e32 v2, v2, v3
	v_cmp_gt_i64_e64 s[24:25], 0, v[9:10]
	v_not_b32_e32 v3, v10
	v_ashrrev_i32_e32 v3, 31, v3
	v_and_b32_e32 v1, v1, v4
	v_xor_b32_e32 v4, s25, v3
	v_xor_b32_e32 v3, s24, v3
	v_lshlrev_b32_e32 v10, 25, v24
	v_and_b32_e32 v2, v2, v3
	v_cmp_gt_i64_e64 s[24:25], 0, v[9:10]
	v_not_b32_e32 v3, v10
	v_ashrrev_i32_e32 v3, 31, v3
	v_and_b32_e32 v1, v1, v4
	v_xor_b32_e32 v4, s25, v3
	v_xor_b32_e32 v3, s24, v3
	v_lshlrev_b32_e32 v10, 24, v24
	v_and_b32_e32 v3, v2, v3
	v_cmp_gt_i64_e64 s[24:25], 0, v[9:10]
	v_not_b32_e32 v2, v10
	v_ashrrev_i32_e32 v2, 31, v2
	v_and_b32_e32 v1, v1, v4
	v_xor_b32_e32 v4, s25, v2
	v_xor_b32_e32 v10, s24, v2
	; wave barrier
	ds_read_b32 v36, v37 offset:16
	v_and_b32_e32 v2, v1, v4
	v_and_b32_e32 v1, v3, v10
	v_mbcnt_lo_u32_b32 v3, v1, 0
	v_mbcnt_hi_u32_b32 v38, v2, v3
	v_cmp_ne_u64_e64 s[24:25], 0, v[1:2]
	v_cmp_eq_u32_e64 s[26:27], 0, v38
	s_and_b64 s[26:27], s[24:25], s[26:27]
	; wave barrier
	s_and_saveexec_b64 s[24:25], s[26:27]
	s_cbranch_execz .LBB270_10
; %bb.9:                                ;   in Loop: Header=BB270_2 Depth=1
	v_bcnt_u32_b32 v1, v1, 0
	v_bcnt_u32_b32 v1, v2, v1
	s_waitcnt lgkmcnt(0)
	v_add_u32_e32 v1, v36, v1
	ds_write_b32 v37, v1 offset:16
.LBB270_10:                             ;   in Loop: Header=BB270_2 Depth=1
	s_or_b64 exec, exec, s[24:25]
	v_lshlrev_b32_sdwa v1, v19, v23 dst_sel:DWORD dst_unused:UNUSED_PAD src0_sel:DWORD src1_sel:BYTE_0
	v_add_u32_e32 v40, v13, v1
	v_and_b32_e32 v1, 1, v23
	v_add_co_u32_e64 v2, s[24:25], -1, v1
	v_addc_co_u32_e64 v3, s[24:25], 0, -1, s[24:25]
	v_cmp_ne_u32_e64 s[24:25], 0, v1
	v_lshlrev_b32_e32 v10, 30, v23
	v_xor_b32_e32 v1, s25, v3
	v_xor_b32_e32 v2, s24, v2
	v_cmp_gt_i64_e64 s[24:25], 0, v[9:10]
	v_not_b32_e32 v3, v10
	v_ashrrev_i32_e32 v3, 31, v3
	v_and_b32_e32 v2, exec_lo, v2
	v_xor_b32_e32 v4, s25, v3
	v_xor_b32_e32 v3, s24, v3
	v_lshlrev_b32_e32 v10, 29, v23
	v_and_b32_e32 v2, v2, v3
	v_cmp_gt_i64_e64 s[24:25], 0, v[9:10]
	v_not_b32_e32 v3, v10
	v_and_b32_e32 v1, exec_hi, v1
	v_ashrrev_i32_e32 v3, 31, v3
	v_and_b32_e32 v1, v1, v4
	v_xor_b32_e32 v4, s25, v3
	v_xor_b32_e32 v3, s24, v3
	v_lshlrev_b32_e32 v10, 28, v23
	v_and_b32_e32 v2, v2, v3
	v_cmp_gt_i64_e64 s[24:25], 0, v[9:10]
	v_not_b32_e32 v3, v10
	v_ashrrev_i32_e32 v3, 31, v3
	v_and_b32_e32 v1, v1, v4
	v_xor_b32_e32 v4, s25, v3
	v_xor_b32_e32 v3, s24, v3
	v_lshlrev_b32_e32 v10, 27, v23
	v_and_b32_e32 v2, v2, v3
	v_cmp_gt_i64_e64 s[24:25], 0, v[9:10]
	v_not_b32_e32 v3, v10
	;; [unrolled: 8-line block ×5, first 2 shown]
	v_ashrrev_i32_e32 v2, 31, v2
	v_and_b32_e32 v1, v1, v4
	v_xor_b32_e32 v4, s25, v2
	v_xor_b32_e32 v10, s24, v2
	; wave barrier
	ds_read_b32 v39, v40 offset:16
	v_and_b32_e32 v2, v1, v4
	v_and_b32_e32 v1, v3, v10
	v_mbcnt_lo_u32_b32 v3, v1, 0
	v_mbcnt_hi_u32_b32 v41, v2, v3
	v_cmp_ne_u64_e64 s[24:25], 0, v[1:2]
	v_cmp_eq_u32_e64 s[26:27], 0, v41
	s_and_b64 s[26:27], s[24:25], s[26:27]
	; wave barrier
	s_and_saveexec_b64 s[24:25], s[26:27]
	s_cbranch_execz .LBB270_12
; %bb.11:                               ;   in Loop: Header=BB270_2 Depth=1
	v_bcnt_u32_b32 v1, v1, 0
	v_bcnt_u32_b32 v1, v2, v1
	s_waitcnt lgkmcnt(0)
	v_add_u32_e32 v1, v39, v1
	ds_write_b32 v40, v1 offset:16
.LBB270_12:                             ;   in Loop: Header=BB270_2 Depth=1
	s_or_b64 exec, exec, s[24:25]
	v_lshlrev_b32_sdwa v1, v19, v22 dst_sel:DWORD dst_unused:UNUSED_PAD src0_sel:DWORD src1_sel:BYTE_0
	v_add_u32_e32 v43, v13, v1
	v_and_b32_e32 v1, 1, v22
	v_add_co_u32_e64 v2, s[24:25], -1, v1
	v_addc_co_u32_e64 v3, s[24:25], 0, -1, s[24:25]
	v_cmp_ne_u32_e64 s[24:25], 0, v1
	v_lshlrev_b32_e32 v10, 30, v22
	v_xor_b32_e32 v1, s25, v3
	v_xor_b32_e32 v2, s24, v2
	v_cmp_gt_i64_e64 s[24:25], 0, v[9:10]
	v_not_b32_e32 v3, v10
	v_ashrrev_i32_e32 v3, 31, v3
	v_and_b32_e32 v2, exec_lo, v2
	v_xor_b32_e32 v4, s25, v3
	v_xor_b32_e32 v3, s24, v3
	v_lshlrev_b32_e32 v10, 29, v22
	v_and_b32_e32 v2, v2, v3
	v_cmp_gt_i64_e64 s[24:25], 0, v[9:10]
	v_not_b32_e32 v3, v10
	v_and_b32_e32 v1, exec_hi, v1
	v_ashrrev_i32_e32 v3, 31, v3
	v_and_b32_e32 v1, v1, v4
	v_xor_b32_e32 v4, s25, v3
	v_xor_b32_e32 v3, s24, v3
	v_lshlrev_b32_e32 v10, 28, v22
	v_and_b32_e32 v2, v2, v3
	v_cmp_gt_i64_e64 s[24:25], 0, v[9:10]
	v_not_b32_e32 v3, v10
	v_ashrrev_i32_e32 v3, 31, v3
	v_and_b32_e32 v1, v1, v4
	v_xor_b32_e32 v4, s25, v3
	v_xor_b32_e32 v3, s24, v3
	v_lshlrev_b32_e32 v10, 27, v22
	v_and_b32_e32 v2, v2, v3
	v_cmp_gt_i64_e64 s[24:25], 0, v[9:10]
	v_not_b32_e32 v3, v10
	v_ashrrev_i32_e32 v3, 31, v3
	v_and_b32_e32 v1, v1, v4
	v_xor_b32_e32 v4, s25, v3
	v_xor_b32_e32 v3, s24, v3
	v_lshlrev_b32_e32 v10, 26, v22
	v_and_b32_e32 v2, v2, v3
	v_cmp_gt_i64_e64 s[24:25], 0, v[9:10]
	v_not_b32_e32 v3, v10
	v_ashrrev_i32_e32 v3, 31, v3
	v_and_b32_e32 v1, v1, v4
	v_xor_b32_e32 v4, s25, v3
	v_xor_b32_e32 v3, s24, v3
	v_lshlrev_b32_e32 v10, 25, v22
	v_and_b32_e32 v2, v2, v3
	v_cmp_gt_i64_e64 s[24:25], 0, v[9:10]
	v_not_b32_e32 v3, v10
	v_ashrrev_i32_e32 v3, 31, v3
	v_and_b32_e32 v1, v1, v4
	v_xor_b32_e32 v4, s25, v3
	v_xor_b32_e32 v3, s24, v3
	v_lshlrev_b32_e32 v10, 24, v22
	v_and_b32_e32 v3, v2, v3
	v_cmp_gt_i64_e64 s[24:25], 0, v[9:10]
	v_not_b32_e32 v2, v10
	v_ashrrev_i32_e32 v2, 31, v2
	v_and_b32_e32 v1, v1, v4
	v_xor_b32_e32 v4, s25, v2
	v_xor_b32_e32 v10, s24, v2
	; wave barrier
	ds_read_b32 v42, v43 offset:16
	v_and_b32_e32 v2, v1, v4
	v_and_b32_e32 v1, v3, v10
	v_mbcnt_lo_u32_b32 v3, v1, 0
	v_mbcnt_hi_u32_b32 v44, v2, v3
	v_cmp_ne_u64_e64 s[24:25], 0, v[1:2]
	v_cmp_eq_u32_e64 s[26:27], 0, v44
	s_and_b64 s[26:27], s[24:25], s[26:27]
	; wave barrier
	s_and_saveexec_b64 s[24:25], s[26:27]
	s_cbranch_execz .LBB270_14
; %bb.13:                               ;   in Loop: Header=BB270_2 Depth=1
	v_bcnt_u32_b32 v1, v1, 0
	v_bcnt_u32_b32 v1, v2, v1
	s_waitcnt lgkmcnt(0)
	v_add_u32_e32 v1, v42, v1
	ds_write_b32 v43, v1 offset:16
.LBB270_14:                             ;   in Loop: Header=BB270_2 Depth=1
	s_or_b64 exec, exec, s[24:25]
	v_lshlrev_b32_sdwa v1, v19, v21 dst_sel:DWORD dst_unused:UNUSED_PAD src0_sel:DWORD src1_sel:BYTE_0
	v_add_u32_e32 v46, v13, v1
	v_and_b32_e32 v1, 1, v21
	v_add_co_u32_e64 v2, s[24:25], -1, v1
	v_addc_co_u32_e64 v3, s[24:25], 0, -1, s[24:25]
	v_cmp_ne_u32_e64 s[24:25], 0, v1
	v_lshlrev_b32_e32 v10, 30, v21
	v_xor_b32_e32 v1, s25, v3
	v_xor_b32_e32 v2, s24, v2
	v_cmp_gt_i64_e64 s[24:25], 0, v[9:10]
	v_not_b32_e32 v3, v10
	v_ashrrev_i32_e32 v3, 31, v3
	v_and_b32_e32 v2, exec_lo, v2
	v_xor_b32_e32 v4, s25, v3
	v_xor_b32_e32 v3, s24, v3
	v_lshlrev_b32_e32 v10, 29, v21
	v_and_b32_e32 v2, v2, v3
	v_cmp_gt_i64_e64 s[24:25], 0, v[9:10]
	v_not_b32_e32 v3, v10
	v_and_b32_e32 v1, exec_hi, v1
	v_ashrrev_i32_e32 v3, 31, v3
	v_and_b32_e32 v1, v1, v4
	v_xor_b32_e32 v4, s25, v3
	v_xor_b32_e32 v3, s24, v3
	v_lshlrev_b32_e32 v10, 28, v21
	v_and_b32_e32 v2, v2, v3
	v_cmp_gt_i64_e64 s[24:25], 0, v[9:10]
	v_not_b32_e32 v3, v10
	v_ashrrev_i32_e32 v3, 31, v3
	v_and_b32_e32 v1, v1, v4
	v_xor_b32_e32 v4, s25, v3
	v_xor_b32_e32 v3, s24, v3
	v_lshlrev_b32_e32 v10, 27, v21
	v_and_b32_e32 v2, v2, v3
	v_cmp_gt_i64_e64 s[24:25], 0, v[9:10]
	v_not_b32_e32 v3, v10
	;; [unrolled: 8-line block ×5, first 2 shown]
	v_ashrrev_i32_e32 v2, 31, v2
	v_and_b32_e32 v1, v1, v4
	v_xor_b32_e32 v4, s25, v2
	v_xor_b32_e32 v10, s24, v2
	; wave barrier
	ds_read_b32 v45, v46 offset:16
	v_and_b32_e32 v2, v1, v4
	v_and_b32_e32 v1, v3, v10
	v_mbcnt_lo_u32_b32 v3, v1, 0
	v_mbcnt_hi_u32_b32 v47, v2, v3
	v_cmp_ne_u64_e64 s[24:25], 0, v[1:2]
	v_cmp_eq_u32_e64 s[26:27], 0, v47
	s_and_b64 s[26:27], s[24:25], s[26:27]
	; wave barrier
	s_and_saveexec_b64 s[24:25], s[26:27]
	s_cbranch_execz .LBB270_16
; %bb.15:                               ;   in Loop: Header=BB270_2 Depth=1
	v_bcnt_u32_b32 v1, v1, 0
	v_bcnt_u32_b32 v1, v2, v1
	s_waitcnt lgkmcnt(0)
	v_add_u32_e32 v1, v45, v1
	ds_write_b32 v46, v1 offset:16
.LBB270_16:                             ;   in Loop: Header=BB270_2 Depth=1
	s_or_b64 exec, exec, s[24:25]
	v_lshlrev_b32_sdwa v1, v19, v20 dst_sel:DWORD dst_unused:UNUSED_PAD src0_sel:DWORD src1_sel:BYTE_0
	v_add_u32_e32 v49, v13, v1
	v_and_b32_e32 v1, 1, v20
	v_add_co_u32_e64 v2, s[24:25], -1, v1
	v_addc_co_u32_e64 v3, s[24:25], 0, -1, s[24:25]
	v_cmp_ne_u32_e64 s[24:25], 0, v1
	v_lshlrev_b32_e32 v10, 30, v20
	v_xor_b32_e32 v1, s25, v3
	v_xor_b32_e32 v2, s24, v2
	v_cmp_gt_i64_e64 s[24:25], 0, v[9:10]
	v_not_b32_e32 v3, v10
	v_ashrrev_i32_e32 v3, 31, v3
	v_and_b32_e32 v2, exec_lo, v2
	v_xor_b32_e32 v4, s25, v3
	v_xor_b32_e32 v3, s24, v3
	v_lshlrev_b32_e32 v10, 29, v20
	v_and_b32_e32 v2, v2, v3
	v_cmp_gt_i64_e64 s[24:25], 0, v[9:10]
	v_not_b32_e32 v3, v10
	v_and_b32_e32 v1, exec_hi, v1
	v_ashrrev_i32_e32 v3, 31, v3
	v_and_b32_e32 v1, v1, v4
	v_xor_b32_e32 v4, s25, v3
	v_xor_b32_e32 v3, s24, v3
	v_lshlrev_b32_e32 v10, 28, v20
	v_and_b32_e32 v2, v2, v3
	v_cmp_gt_i64_e64 s[24:25], 0, v[9:10]
	v_not_b32_e32 v3, v10
	v_ashrrev_i32_e32 v3, 31, v3
	v_and_b32_e32 v1, v1, v4
	v_xor_b32_e32 v4, s25, v3
	v_xor_b32_e32 v3, s24, v3
	v_lshlrev_b32_e32 v10, 27, v20
	v_and_b32_e32 v2, v2, v3
	v_cmp_gt_i64_e64 s[24:25], 0, v[9:10]
	v_not_b32_e32 v3, v10
	;; [unrolled: 8-line block ×5, first 2 shown]
	v_ashrrev_i32_e32 v2, 31, v2
	v_and_b32_e32 v1, v1, v4
	v_xor_b32_e32 v4, s25, v2
	v_xor_b32_e32 v10, s24, v2
	; wave barrier
	ds_read_b32 v48, v49 offset:16
	v_and_b32_e32 v2, v1, v4
	v_and_b32_e32 v1, v3, v10
	v_mbcnt_lo_u32_b32 v3, v1, 0
	v_mbcnt_hi_u32_b32 v10, v2, v3
	v_cmp_ne_u64_e64 s[24:25], 0, v[1:2]
	v_cmp_eq_u32_e64 s[26:27], 0, v10
	s_and_b64 s[26:27], s[24:25], s[26:27]
	; wave barrier
	s_and_saveexec_b64 s[24:25], s[26:27]
	s_cbranch_execz .LBB270_18
; %bb.17:                               ;   in Loop: Header=BB270_2 Depth=1
	v_bcnt_u32_b32 v1, v1, 0
	v_bcnt_u32_b32 v1, v2, v1
	s_waitcnt lgkmcnt(0)
	v_add_u32_e32 v1, v48, v1
	ds_write_b32 v49, v1 offset:16
.LBB270_18:                             ;   in Loop: Header=BB270_2 Depth=1
	s_or_b64 exec, exec, s[24:25]
	; wave barrier
	s_waitcnt lgkmcnt(0)
	s_barrier
	ds_read2_b64 v[1:4], v12 offset0:2 offset1:3
	s_waitcnt lgkmcnt(0)
	v_add_u32_e32 v50, v2, v1
	v_add3_u32 v4, v50, v3, v4
	s_nop 1
	v_mov_b32_dpp v50, v4 row_shr:1 row_mask:0xf bank_mask:0xf
	v_cndmask_b32_e64 v50, v50, 0, vcc
	v_add_u32_e32 v4, v50, v4
	s_nop 1
	v_mov_b32_dpp v50, v4 row_shr:2 row_mask:0xf bank_mask:0xf
	v_cndmask_b32_e64 v50, 0, v50, s[0:1]
	v_add_u32_e32 v4, v4, v50
	s_nop 1
	v_mov_b32_dpp v50, v4 row_shr:4 row_mask:0xf bank_mask:0xf
	v_cndmask_b32_e64 v50, 0, v50, s[2:3]
	;; [unrolled: 4-line block ×3, first 2 shown]
	v_add_u32_e32 v4, v4, v50
	s_nop 1
	v_mov_b32_dpp v50, v4 row_bcast:15 row_mask:0xf bank_mask:0xf
	v_cndmask_b32_e64 v50, v50, 0, s[6:7]
	v_add_u32_e32 v4, v4, v50
	s_nop 1
	v_mov_b32_dpp v50, v4 row_bcast:31 row_mask:0xf bank_mask:0xf
	v_cndmask_b32_e64 v50, 0, v50, s[8:9]
	v_add_u32_e32 v4, v4, v50
	s_and_saveexec_b64 s[24:25], s[10:11]
; %bb.19:                               ;   in Loop: Header=BB270_2 Depth=1
	ds_write_b32 v15, v4
; %bb.20:                               ;   in Loop: Header=BB270_2 Depth=1
	s_or_b64 exec, exec, s[24:25]
	s_waitcnt lgkmcnt(0)
	s_barrier
	s_and_saveexec_b64 s[24:25], s[12:13]
	s_cbranch_execz .LBB270_22
; %bb.21:                               ;   in Loop: Header=BB270_2 Depth=1
	ds_read_b32 v50, v18
	s_waitcnt lgkmcnt(0)
	s_nop 0
	v_mov_b32_dpp v51, v50 row_shr:1 row_mask:0xf bank_mask:0xf
	v_cndmask_b32_e64 v51, v51, 0, s[20:21]
	v_add_u32_e32 v50, v51, v50
	s_nop 1
	v_mov_b32_dpp v51, v50 row_shr:2 row_mask:0xf bank_mask:0xf
	v_cndmask_b32_e64 v51, 0, v51, s[22:23]
	v_add_u32_e32 v50, v50, v51
	ds_write_b32 v18, v50
.LBB270_22:                             ;   in Loop: Header=BB270_2 Depth=1
	s_or_b64 exec, exec, s[24:25]
	v_mov_b32_e32 v50, 0
	s_waitcnt lgkmcnt(0)
	s_barrier
	s_and_saveexec_b64 s[24:25], s[14:15]
	s_cbranch_execz .LBB270_1
; %bb.23:                               ;   in Loop: Header=BB270_2 Depth=1
	ds_read_b32 v50, v16
	s_branch .LBB270_1
.LBB270_24:
	s_add_u32 s0, s30, s33
	s_addc_u32 s1, s31, 0
	global_store_byte v0, v1, s[0:1]
	global_store_byte v0, v2, s[0:1] offset:256
	global_store_byte v0, v10, s[0:1] offset:512
	;; [unrolled: 1-line block ×7, first 2 shown]
	s_endpgm
	.section	.rodata,"a",@progbits
	.p2align	6, 0x0
	.amdhsa_kernel _Z16sort_keys_kernelI22helper_blocked_stripedaLj256ELj8ELj10EEvPKT0_PS1_
		.amdhsa_group_segment_fixed_size 4112
		.amdhsa_private_segment_fixed_size 0
		.amdhsa_kernarg_size 272
		.amdhsa_user_sgpr_count 6
		.amdhsa_user_sgpr_private_segment_buffer 1
		.amdhsa_user_sgpr_dispatch_ptr 0
		.amdhsa_user_sgpr_queue_ptr 0
		.amdhsa_user_sgpr_kernarg_segment_ptr 1
		.amdhsa_user_sgpr_dispatch_id 0
		.amdhsa_user_sgpr_flat_scratch_init 0
		.amdhsa_user_sgpr_private_segment_size 0
		.amdhsa_uses_dynamic_stack 0
		.amdhsa_system_sgpr_private_segment_wavefront_offset 0
		.amdhsa_system_sgpr_workgroup_id_x 1
		.amdhsa_system_sgpr_workgroup_id_y 0
		.amdhsa_system_sgpr_workgroup_id_z 0
		.amdhsa_system_sgpr_workgroup_info 0
		.amdhsa_system_vgpr_workitem_id 2
		.amdhsa_next_free_vgpr 52
		.amdhsa_next_free_sgpr 36
		.amdhsa_reserve_vcc 1
		.amdhsa_reserve_flat_scratch 0
		.amdhsa_float_round_mode_32 0
		.amdhsa_float_round_mode_16_64 0
		.amdhsa_float_denorm_mode_32 3
		.amdhsa_float_denorm_mode_16_64 3
		.amdhsa_dx10_clamp 1
		.amdhsa_ieee_mode 1
		.amdhsa_fp16_overflow 0
		.amdhsa_exception_fp_ieee_invalid_op 0
		.amdhsa_exception_fp_denorm_src 0
		.amdhsa_exception_fp_ieee_div_zero 0
		.amdhsa_exception_fp_ieee_overflow 0
		.amdhsa_exception_fp_ieee_underflow 0
		.amdhsa_exception_fp_ieee_inexact 0
		.amdhsa_exception_int_div_zero 0
	.end_amdhsa_kernel
	.section	.text._Z16sort_keys_kernelI22helper_blocked_stripedaLj256ELj8ELj10EEvPKT0_PS1_,"axG",@progbits,_Z16sort_keys_kernelI22helper_blocked_stripedaLj256ELj8ELj10EEvPKT0_PS1_,comdat
.Lfunc_end270:
	.size	_Z16sort_keys_kernelI22helper_blocked_stripedaLj256ELj8ELj10EEvPKT0_PS1_, .Lfunc_end270-_Z16sort_keys_kernelI22helper_blocked_stripedaLj256ELj8ELj10EEvPKT0_PS1_
                                        ; -- End function
	.set _Z16sort_keys_kernelI22helper_blocked_stripedaLj256ELj8ELj10EEvPKT0_PS1_.num_vgpr, 52
	.set _Z16sort_keys_kernelI22helper_blocked_stripedaLj256ELj8ELj10EEvPKT0_PS1_.num_agpr, 0
	.set _Z16sort_keys_kernelI22helper_blocked_stripedaLj256ELj8ELj10EEvPKT0_PS1_.numbered_sgpr, 36
	.set _Z16sort_keys_kernelI22helper_blocked_stripedaLj256ELj8ELj10EEvPKT0_PS1_.num_named_barrier, 0
	.set _Z16sort_keys_kernelI22helper_blocked_stripedaLj256ELj8ELj10EEvPKT0_PS1_.private_seg_size, 0
	.set _Z16sort_keys_kernelI22helper_blocked_stripedaLj256ELj8ELj10EEvPKT0_PS1_.uses_vcc, 1
	.set _Z16sort_keys_kernelI22helper_blocked_stripedaLj256ELj8ELj10EEvPKT0_PS1_.uses_flat_scratch, 0
	.set _Z16sort_keys_kernelI22helper_blocked_stripedaLj256ELj8ELj10EEvPKT0_PS1_.has_dyn_sized_stack, 0
	.set _Z16sort_keys_kernelI22helper_blocked_stripedaLj256ELj8ELj10EEvPKT0_PS1_.has_recursion, 0
	.set _Z16sort_keys_kernelI22helper_blocked_stripedaLj256ELj8ELj10EEvPKT0_PS1_.has_indirect_call, 0
	.section	.AMDGPU.csdata,"",@progbits
; Kernel info:
; codeLenInByte = 4624
; TotalNumSgprs: 40
; NumVgprs: 52
; ScratchSize: 0
; MemoryBound: 0
; FloatMode: 240
; IeeeMode: 1
; LDSByteSize: 4112 bytes/workgroup (compile time only)
; SGPRBlocks: 4
; VGPRBlocks: 12
; NumSGPRsForWavesPerEU: 40
; NumVGPRsForWavesPerEU: 52
; Occupancy: 4
; WaveLimiterHint : 1
; COMPUTE_PGM_RSRC2:SCRATCH_EN: 0
; COMPUTE_PGM_RSRC2:USER_SGPR: 6
; COMPUTE_PGM_RSRC2:TRAP_HANDLER: 0
; COMPUTE_PGM_RSRC2:TGID_X_EN: 1
; COMPUTE_PGM_RSRC2:TGID_Y_EN: 0
; COMPUTE_PGM_RSRC2:TGID_Z_EN: 0
; COMPUTE_PGM_RSRC2:TIDIG_COMP_CNT: 2
	.section	.text._Z17sort_pairs_kernelI22helper_blocked_stripedaLj256ELj8ELj10EEvPKT0_PS1_,"axG",@progbits,_Z17sort_pairs_kernelI22helper_blocked_stripedaLj256ELj8ELj10EEvPKT0_PS1_,comdat
	.protected	_Z17sort_pairs_kernelI22helper_blocked_stripedaLj256ELj8ELj10EEvPKT0_PS1_ ; -- Begin function _Z17sort_pairs_kernelI22helper_blocked_stripedaLj256ELj8ELj10EEvPKT0_PS1_
	.globl	_Z17sort_pairs_kernelI22helper_blocked_stripedaLj256ELj8ELj10EEvPKT0_PS1_
	.p2align	8
	.type	_Z17sort_pairs_kernelI22helper_blocked_stripedaLj256ELj8ELj10EEvPKT0_PS1_,@function
_Z17sort_pairs_kernelI22helper_blocked_stripedaLj256ELj8ELj10EEvPKT0_PS1_: ; @_Z17sort_pairs_kernelI22helper_blocked_stripedaLj256ELj8ELj10EEvPKT0_PS1_
; %bb.0:
	s_load_dwordx4 s[28:31], s[4:5], 0x0
	s_load_dword s24, s[4:5], 0x1c
	s_lshl_b32 s33, s6, 11
	v_lshlrev_b32_e32 v6, 3, v0
	v_mbcnt_lo_u32_b32 v7, -1, 0
	s_waitcnt lgkmcnt(0)
	s_add_u32 s0, s28, s33
	s_addc_u32 s1, s29, 0
	global_load_dwordx2 v[3:4], v6, s[0:1]
	s_lshr_b32 s25, s24, 16
	s_and_b32 s24, s24, 0xffff
	v_mad_u32_u24 v1, v2, s25, v1
	v_mad_u64_u32 v[1:2], s[24:25], v1, s24, v[0:1]
	v_mbcnt_hi_u32_b32 v15, -1, v7
	v_and_b32_e32 v7, 0xc0, v0
	v_subrev_co_u32_e64 v20, s[6:7], 1, v15
	v_and_b32_e32 v21, 64, v15
	s_movk_i32 s28, 0xff00
	v_mov_b32_e32 v19, 1
	v_and_b32_e32 v6, 0x600, v6
	v_and_b32_e32 v17, 16, v15
	v_or_b32_e32 v18, 63, v7
	v_and_b32_e32 v22, 3, v15
	v_cmp_lt_i32_e64 s[20:21], v20, v21
	v_lshrrev_b32_e32 v1, 4, v1
	s_mov_b32 s8, 0
	v_add_lshl_u32 v12, v15, v7, 3
	v_and_b32_e32 v16, 15, v15
	v_cmp_lt_u32_e64 s[4:5], 31, v15
	v_cmp_eq_u32_e64 s[16:17], 0, v17
	v_cmp_eq_u32_e64 s[18:19], v0, v18
	v_cndmask_b32_e64 v17, v20, v15, s[20:21]
	v_cmp_eq_u32_e64 s[20:21], 0, v22
	v_cmp_lt_u32_e64 s[22:23], 1, v22
	v_add_u32_e32 v15, v15, v6
	v_and_b32_e32 v18, 0xffffffc, v1
	s_movk_i32 s26, 0x100
	v_lshrrev_b32_e32 v8, 4, v0
	s_mov_b32 s10, s8
	v_mul_u32_u24_e32 v14, 3, v0
	s_mov_b32 s9, s8
	s_mov_b32 s11, s8
	v_and_b32_e32 v13, 12, v8
	v_mov_b32_e32 v7, s8
	v_mov_b32_e32 v9, s10
	s_mov_b32 s29, 10
	s_movk_i32 s34, 0x80
	s_movk_i32 s35, 0x8000
	v_mov_b32_e32 v5, 0
	s_mov_b32 s36, 0xc0c0004
	v_lshlrev_b32_e32 v11, 4, v0
	v_cmp_gt_u32_e32 vcc, 4, v0
	v_cmp_lt_u32_e64 s[0:1], 63, v0
	v_cmp_eq_u32_e64 s[2:3], 0, v0
	v_mov_b32_e32 v8, s9
	v_mov_b32_e32 v10, s11
	v_add_u32_e32 v14, v0, v14
	v_cmp_eq_u32_e64 s[8:9], 0, v16
	v_cmp_lt_u32_e64 s[10:11], 1, v16
	v_cmp_lt_u32_e64 s[12:13], 3, v16
	v_cmp_lt_u32_e64 s[14:15], 7, v16
	v_add_u32_e32 v16, -4, v13
	v_lshlrev_b32_e32 v17, 2, v17
	s_waitcnt vmcnt(0)
	v_and_b32_e32 v1, 0xffffff00, v3
	v_add_u16_e32 v2, 1, v3
	v_and_b32_sdwa v6, v3, s28 dst_sel:DWORD dst_unused:UNUSED_PAD src0_sel:WORD_1 src1_sel:DWORD
	v_add_u16_sdwa v20, v3, v19 dst_sel:DWORD dst_unused:UNUSED_PAD src0_sel:WORD_1 src1_sel:DWORD
	v_and_b32_e32 v21, 0xffffff00, v4
	v_add_u16_e32 v22, 1, v4
	v_and_b32_sdwa v23, v4, s28 dst_sel:DWORD dst_unused:UNUSED_PAD src0_sel:WORD_1 src1_sel:DWORD
	v_add_u16_sdwa v19, v4, v19 dst_sel:DWORD dst_unused:UNUSED_PAD src0_sel:WORD_1 src1_sel:DWORD
	v_or_b32_sdwa v1, v1, v2 dst_sel:DWORD dst_unused:UNUSED_PAD src0_sel:DWORD src1_sel:BYTE_0
	v_or_b32_sdwa v2, v6, v20 dst_sel:DWORD dst_unused:UNUSED_PAD src0_sel:DWORD src1_sel:BYTE_0
	;; [unrolled: 1-line block ×4, first 2 shown]
	v_add_u16_e32 v1, 0x100, v1
	v_add_u16_sdwa v2, v2, s26 dst_sel:WORD_1 dst_unused:UNUSED_PAD src0_sel:DWORD src1_sel:DWORD
	v_add_u16_e32 v6, 0x100, v6
	v_add_u16_sdwa v19, v19, s26 dst_sel:WORD_1 dst_unused:UNUSED_PAD src0_sel:DWORD src1_sel:DWORD
	v_or_b32_e32 v1, v1, v2
	v_or_b32_e32 v2, v6, v19
	v_mov_b32_e32 v19, 4
	s_branch .LBB271_2
.LBB271_1:                              ;   in Loop: Header=BB271_2 Depth=1
	s_or_b64 exec, exec, s[24:25]
	s_waitcnt lgkmcnt(0)
	v_add_u32_e32 v4, v58, v4
	ds_bpermute_b32 v4, v17, v4
	s_add_i32 s29, s29, -1
	s_cmp_eq_u32 s29, 0
	s_waitcnt lgkmcnt(0)
	v_cndmask_b32_e64 v4, v4, v58, s[6:7]
	v_cndmask_b32_e64 v58, v4, 0, s[2:3]
	v_add_u32_e32 v59, v58, v1
	v_add_u32_e32 v1, v59, v2
	;; [unrolled: 1-line block ×3, first 2 shown]
	ds_write2_b64 v11, v[58:59], v[1:2] offset0:2 offset1:3
	s_waitcnt lgkmcnt(0)
	s_barrier
	ds_read_b32 v1, v37 offset:16
	ds_read_b32 v2, v39 offset:16
	;; [unrolled: 1-line block ×8, first 2 shown]
	s_waitcnt lgkmcnt(7)
	v_add_u32_e32 v1, v1, v36
	s_waitcnt lgkmcnt(6)
	v_add3_u32 v2, v40, v38, v2
	s_waitcnt lgkmcnt(5)
	v_add3_u32 v3, v43, v41, v3
	;; [unrolled: 2-line block ×3, first 2 shown]
	s_waitcnt lgkmcnt(0)
	s_barrier
	ds_write_b8 v1, v27
	ds_write_b8 v2, v26
	;; [unrolled: 1-line block ×4, first 2 shown]
	v_add3_u32 v24, v49, v47, v37
	ds_write_b8 v24, v23
	v_add3_u32 v23, v52, v50, v39
	ds_write_b8 v23, v22
	v_add3_u32 v22, v55, v53, v42
	v_add3_u32 v6, v6, v56, v45
	ds_write_b8 v22, v21
	ds_write_b8 v6, v20
	s_waitcnt lgkmcnt(0)
	s_barrier
	ds_read_u8 v27, v0
	ds_read_u8 v36, v0 offset:256
	ds_read_u8 v37, v0 offset:512
	;; [unrolled: 1-line block ×7, first 2 shown]
	s_waitcnt lgkmcnt(0)
	s_barrier
	ds_write_b8 v1, v28
	ds_write_b8 v2, v29
	;; [unrolled: 1-line block ×8, first 2 shown]
	v_xor_b32_e32 v28, 0xffffff80, v36
	v_xor_b32_e32 v30, 0xffffff80, v38
	s_waitcnt lgkmcnt(0)
	s_barrier
	ds_read_u8 v6, v0
	ds_read_u8 v20, v0 offset:256
	ds_read_u8 v21, v0 offset:512
	;; [unrolled: 1-line block ×7, first 2 shown]
	v_xor_b32_e32 v27, 0xffffff80, v27
	v_xor_b32_e32 v29, 0xffffff80, v37
	v_lshlrev_b16_e32 v1, 8, v28
	v_lshlrev_b16_e32 v2, 8, v30
	v_xor_b32_e32 v32, 0xffffff80, v40
	v_xor_b32_e32 v34, 0xffffff80, v42
	v_or_b32_sdwa v1, v27, v1 dst_sel:DWORD dst_unused:UNUSED_PAD src0_sel:BYTE_0 src1_sel:DWORD
	v_or_b32_sdwa v2, v29, v2 dst_sel:WORD_1 dst_unused:UNUSED_PAD src0_sel:BYTE_0 src1_sel:DWORD
	v_xor_b32_e32 v31, 0xffffff80, v39
	v_xor_b32_e32 v33, 0xffffff80, v41
	v_or_b32_sdwa v3, v1, v2 dst_sel:DWORD dst_unused:UNUSED_PAD src0_sel:WORD_0 src1_sel:DWORD
	v_lshlrev_b16_e32 v1, 8, v32
	v_lshlrev_b16_e32 v2, 8, v34
	v_or_b32_sdwa v1, v31, v1 dst_sel:DWORD dst_unused:UNUSED_PAD src0_sel:BYTE_0 src1_sel:DWORD
	v_or_b32_sdwa v2, v33, v2 dst_sel:WORD_1 dst_unused:UNUSED_PAD src0_sel:BYTE_0 src1_sel:DWORD
	v_or_b32_sdwa v4, v1, v2 dst_sel:DWORD dst_unused:UNUSED_PAD src0_sel:WORD_0 src1_sel:DWORD
	s_waitcnt lgkmcnt(6)
	v_perm_b32 v1, v6, v20, s36
	s_waitcnt lgkmcnt(4)
	v_perm_b32 v2, v21, v22, s36
	v_lshl_or_b32 v1, v2, 16, v1
	s_waitcnt lgkmcnt(2)
	v_perm_b32 v2, v23, v24, s36
	s_waitcnt lgkmcnt(0)
	v_perm_b32 v35, v25, v26, s36
	v_lshl_or_b32 v2, v35, 16, v2
	s_cbranch_scc1 .LBB271_24
.LBB271_2:                              ; =>This Inner Loop Header: Depth=1
	v_and_b32_e32 v6, 0xffffff00, v3
	v_xor_b32_e32 v20, 0x80, v3
	v_or_b32_sdwa v6, v20, v6 dst_sel:DWORD dst_unused:UNUSED_PAD src0_sel:BYTE_0 src1_sel:DWORD
	v_and_b32_sdwa v20, v3, s28 dst_sel:DWORD dst_unused:UNUSED_PAD src0_sel:WORD_1 src1_sel:DWORD
	v_xor_b32_sdwa v3, v3, s34 dst_sel:DWORD dst_unused:UNUSED_PAD src0_sel:WORD_1 src1_sel:DWORD
	v_or_b32_sdwa v3, v3, v20 dst_sel:DWORD dst_unused:UNUSED_PAD src0_sel:BYTE_0 src1_sel:DWORD
	v_add_u16_e32 v6, 0x8000, v6
	v_add_u16_sdwa v3, v3, s35 dst_sel:WORD_1 dst_unused:UNUSED_PAD src0_sel:DWORD src1_sel:DWORD
	v_or_b32_e32 v3, v6, v3
	v_and_b32_e32 v6, 0xffffff00, v4
	v_xor_b32_e32 v20, 0x80, v4
	v_or_b32_sdwa v6, v20, v6 dst_sel:DWORD dst_unused:UNUSED_PAD src0_sel:BYTE_0 src1_sel:DWORD
	v_and_b32_sdwa v20, v4, s28 dst_sel:DWORD dst_unused:UNUSED_PAD src0_sel:WORD_1 src1_sel:DWORD
	v_xor_b32_sdwa v4, v4, s34 dst_sel:DWORD dst_unused:UNUSED_PAD src0_sel:WORD_1 src1_sel:DWORD
	v_or_b32_sdwa v4, v4, v20 dst_sel:DWORD dst_unused:UNUSED_PAD src0_sel:BYTE_0 src1_sel:DWORD
	v_add_u16_e32 v6, 0x8000, v6
	v_add_u16_sdwa v4, v4, s35 dst_sel:WORD_1 dst_unused:UNUSED_PAD src0_sel:DWORD src1_sel:DWORD
	v_or_b32_e32 v4, v6, v4
	ds_write_b64 v12, v[3:4]
	; wave barrier
	ds_read_u8 v27, v15
	ds_read_u8 v26, v15 offset:64
	ds_read_u8 v25, v15 offset:128
	;; [unrolled: 1-line block ×7, first 2 shown]
	; wave barrier
	ds_write_b64 v12, v[1:2]
	s_waitcnt lgkmcnt(8)
	v_and_b32_e32 v1, 1, v27
	v_cmp_ne_u32_e64 s[24:25], 0, v1
	v_add_co_u32_e64 v1, s[26:27], -1, v1
	v_addc_co_u32_e64 v2, s[26:27], 0, -1, s[26:27]
	v_lshlrev_b32_e32 v6, 30, v27
	v_cmp_gt_i64_e64 s[26:27], 0, v[5:6]
	v_not_b32_e32 v3, v6
	v_ashrrev_i32_e32 v3, 31, v3
	v_xor_b32_e32 v1, s24, v1
	v_xor_b32_e32 v4, s27, v3
	v_and_b32_e32 v1, exec_lo, v1
	v_xor_b32_e32 v3, s26, v3
	v_lshlrev_b32_e32 v6, 29, v27
	v_xor_b32_e32 v2, s25, v2
	v_and_b32_e32 v1, v1, v3
	v_cmp_gt_i64_e64 s[24:25], 0, v[5:6]
	v_not_b32_e32 v3, v6
	v_and_b32_e32 v2, exec_hi, v2
	v_ashrrev_i32_e32 v3, 31, v3
	v_and_b32_e32 v2, v2, v4
	v_xor_b32_e32 v4, s25, v3
	v_xor_b32_e32 v3, s24, v3
	v_lshlrev_b32_e32 v6, 28, v27
	v_and_b32_e32 v1, v1, v3
	v_cmp_gt_i64_e64 s[24:25], 0, v[5:6]
	v_not_b32_e32 v3, v6
	v_ashrrev_i32_e32 v3, 31, v3
	v_and_b32_e32 v2, v2, v4
	v_xor_b32_e32 v4, s25, v3
	v_xor_b32_e32 v3, s24, v3
	v_lshlrev_b32_e32 v6, 27, v27
	v_and_b32_e32 v1, v1, v3
	v_cmp_gt_i64_e64 s[24:25], 0, v[5:6]
	v_not_b32_e32 v3, v6
	;; [unrolled: 8-line block ×4, first 2 shown]
	; wave barrier
	ds_read_u8 v28, v15
	ds_read_u8 v29, v15 offset:64
	ds_read_u8 v30, v15 offset:128
	ds_read_u8 v31, v15 offset:192
	ds_read_u8 v32, v15 offset:256
	ds_read_u8 v33, v15 offset:320
	ds_read_u8 v34, v15 offset:384
	ds_read_u8 v35, v15 offset:448
	v_ashrrev_i32_e32 v3, 31, v3
	v_and_b32_e32 v2, v2, v4
	v_xor_b32_e32 v4, s25, v3
	v_xor_b32_e32 v3, s24, v3
	v_lshlrev_b32_e32 v6, 24, v27
	v_and_b32_e32 v1, v1, v3
	v_cmp_gt_i64_e64 s[24:25], 0, v[5:6]
	v_not_b32_e32 v3, v6
	v_ashrrev_i32_e32 v3, 31, v3
	v_and_b32_e32 v2, v2, v4
	v_xor_b32_e32 v4, s25, v3
	v_xor_b32_e32 v3, s24, v3
	v_and_b32_e32 v1, v1, v3
	v_and_b32_e32 v2, v2, v4
	v_mbcnt_lo_u32_b32 v3, v1, 0
	v_mbcnt_hi_u32_b32 v36, v2, v3
	v_cmp_ne_u64_e64 s[24:25], 0, v[1:2]
	v_cmp_eq_u32_e64 s[26:27], 0, v36
	v_lshlrev_b32_sdwa v3, v19, v27 dst_sel:DWORD dst_unused:UNUSED_PAD src0_sel:DWORD src1_sel:BYTE_0
	s_and_b64 s[26:27], s[24:25], s[26:27]
	v_add_u32_e32 v37, v18, v3
	s_waitcnt lgkmcnt(0)
	s_barrier
	ds_write2_b64 v11, v[7:8], v[9:10] offset0:2 offset1:3
	s_waitcnt lgkmcnt(0)
	s_barrier
	; wave barrier
	s_and_saveexec_b64 s[24:25], s[26:27]
; %bb.3:                                ;   in Loop: Header=BB271_2 Depth=1
	v_bcnt_u32_b32 v1, v1, 0
	v_bcnt_u32_b32 v1, v2, v1
	ds_write_b32 v37, v1 offset:16
; %bb.4:                                ;   in Loop: Header=BB271_2 Depth=1
	s_or_b64 exec, exec, s[24:25]
	v_lshlrev_b32_sdwa v1, v19, v26 dst_sel:DWORD dst_unused:UNUSED_PAD src0_sel:DWORD src1_sel:BYTE_0
	v_add_u32_e32 v39, v18, v1
	v_and_b32_e32 v1, 1, v26
	v_add_co_u32_e64 v2, s[24:25], -1, v1
	v_addc_co_u32_e64 v3, s[24:25], 0, -1, s[24:25]
	v_cmp_ne_u32_e64 s[24:25], 0, v1
	v_lshlrev_b32_e32 v6, 30, v26
	v_xor_b32_e32 v1, s25, v3
	v_xor_b32_e32 v2, s24, v2
	v_cmp_gt_i64_e64 s[24:25], 0, v[5:6]
	v_not_b32_e32 v3, v6
	v_ashrrev_i32_e32 v3, 31, v3
	v_and_b32_e32 v2, exec_lo, v2
	v_xor_b32_e32 v4, s25, v3
	v_xor_b32_e32 v3, s24, v3
	v_lshlrev_b32_e32 v6, 29, v26
	v_and_b32_e32 v2, v2, v3
	v_cmp_gt_i64_e64 s[24:25], 0, v[5:6]
	v_not_b32_e32 v3, v6
	v_and_b32_e32 v1, exec_hi, v1
	v_ashrrev_i32_e32 v3, 31, v3
	v_and_b32_e32 v1, v1, v4
	v_xor_b32_e32 v4, s25, v3
	v_xor_b32_e32 v3, s24, v3
	v_lshlrev_b32_e32 v6, 28, v26
	v_and_b32_e32 v2, v2, v3
	v_cmp_gt_i64_e64 s[24:25], 0, v[5:6]
	v_not_b32_e32 v3, v6
	v_ashrrev_i32_e32 v3, 31, v3
	v_and_b32_e32 v1, v1, v4
	v_xor_b32_e32 v4, s25, v3
	v_xor_b32_e32 v3, s24, v3
	v_lshlrev_b32_e32 v6, 27, v26
	v_and_b32_e32 v2, v2, v3
	v_cmp_gt_i64_e64 s[24:25], 0, v[5:6]
	v_not_b32_e32 v3, v6
	;; [unrolled: 8-line block ×5, first 2 shown]
	v_ashrrev_i32_e32 v2, 31, v2
	v_and_b32_e32 v1, v1, v4
	v_xor_b32_e32 v4, s25, v2
	v_xor_b32_e32 v6, s24, v2
	; wave barrier
	ds_read_b32 v38, v39 offset:16
	v_and_b32_e32 v2, v1, v4
	v_and_b32_e32 v1, v3, v6
	v_mbcnt_lo_u32_b32 v3, v1, 0
	v_mbcnt_hi_u32_b32 v40, v2, v3
	v_cmp_ne_u64_e64 s[24:25], 0, v[1:2]
	v_cmp_eq_u32_e64 s[26:27], 0, v40
	s_and_b64 s[26:27], s[24:25], s[26:27]
	; wave barrier
	s_and_saveexec_b64 s[24:25], s[26:27]
	s_cbranch_execz .LBB271_6
; %bb.5:                                ;   in Loop: Header=BB271_2 Depth=1
	v_bcnt_u32_b32 v1, v1, 0
	v_bcnt_u32_b32 v1, v2, v1
	s_waitcnt lgkmcnt(0)
	v_add_u32_e32 v1, v38, v1
	ds_write_b32 v39, v1 offset:16
.LBB271_6:                              ;   in Loop: Header=BB271_2 Depth=1
	s_or_b64 exec, exec, s[24:25]
	v_lshlrev_b32_sdwa v1, v19, v25 dst_sel:DWORD dst_unused:UNUSED_PAD src0_sel:DWORD src1_sel:BYTE_0
	v_add_u32_e32 v42, v18, v1
	v_and_b32_e32 v1, 1, v25
	v_add_co_u32_e64 v2, s[24:25], -1, v1
	v_addc_co_u32_e64 v3, s[24:25], 0, -1, s[24:25]
	v_cmp_ne_u32_e64 s[24:25], 0, v1
	v_lshlrev_b32_e32 v6, 30, v25
	v_xor_b32_e32 v1, s25, v3
	v_xor_b32_e32 v2, s24, v2
	v_cmp_gt_i64_e64 s[24:25], 0, v[5:6]
	v_not_b32_e32 v3, v6
	v_ashrrev_i32_e32 v3, 31, v3
	v_and_b32_e32 v2, exec_lo, v2
	v_xor_b32_e32 v4, s25, v3
	v_xor_b32_e32 v3, s24, v3
	v_lshlrev_b32_e32 v6, 29, v25
	v_and_b32_e32 v2, v2, v3
	v_cmp_gt_i64_e64 s[24:25], 0, v[5:6]
	v_not_b32_e32 v3, v6
	v_and_b32_e32 v1, exec_hi, v1
	v_ashrrev_i32_e32 v3, 31, v3
	v_and_b32_e32 v1, v1, v4
	v_xor_b32_e32 v4, s25, v3
	v_xor_b32_e32 v3, s24, v3
	v_lshlrev_b32_e32 v6, 28, v25
	v_and_b32_e32 v2, v2, v3
	v_cmp_gt_i64_e64 s[24:25], 0, v[5:6]
	v_not_b32_e32 v3, v6
	v_ashrrev_i32_e32 v3, 31, v3
	v_and_b32_e32 v1, v1, v4
	v_xor_b32_e32 v4, s25, v3
	v_xor_b32_e32 v3, s24, v3
	v_lshlrev_b32_e32 v6, 27, v25
	v_and_b32_e32 v2, v2, v3
	v_cmp_gt_i64_e64 s[24:25], 0, v[5:6]
	v_not_b32_e32 v3, v6
	;; [unrolled: 8-line block ×5, first 2 shown]
	v_ashrrev_i32_e32 v2, 31, v2
	v_and_b32_e32 v1, v1, v4
	v_xor_b32_e32 v4, s25, v2
	v_xor_b32_e32 v6, s24, v2
	; wave barrier
	ds_read_b32 v41, v42 offset:16
	v_and_b32_e32 v2, v1, v4
	v_and_b32_e32 v1, v3, v6
	v_mbcnt_lo_u32_b32 v3, v1, 0
	v_mbcnt_hi_u32_b32 v43, v2, v3
	v_cmp_ne_u64_e64 s[24:25], 0, v[1:2]
	v_cmp_eq_u32_e64 s[26:27], 0, v43
	s_and_b64 s[26:27], s[24:25], s[26:27]
	; wave barrier
	s_and_saveexec_b64 s[24:25], s[26:27]
	s_cbranch_execz .LBB271_8
; %bb.7:                                ;   in Loop: Header=BB271_2 Depth=1
	v_bcnt_u32_b32 v1, v1, 0
	v_bcnt_u32_b32 v1, v2, v1
	s_waitcnt lgkmcnt(0)
	v_add_u32_e32 v1, v41, v1
	ds_write_b32 v42, v1 offset:16
.LBB271_8:                              ;   in Loop: Header=BB271_2 Depth=1
	s_or_b64 exec, exec, s[24:25]
	v_lshlrev_b32_sdwa v1, v19, v24 dst_sel:DWORD dst_unused:UNUSED_PAD src0_sel:DWORD src1_sel:BYTE_0
	v_add_u32_e32 v45, v18, v1
	v_and_b32_e32 v1, 1, v24
	v_add_co_u32_e64 v2, s[24:25], -1, v1
	v_addc_co_u32_e64 v3, s[24:25], 0, -1, s[24:25]
	v_cmp_ne_u32_e64 s[24:25], 0, v1
	v_lshlrev_b32_e32 v6, 30, v24
	v_xor_b32_e32 v1, s25, v3
	v_xor_b32_e32 v2, s24, v2
	v_cmp_gt_i64_e64 s[24:25], 0, v[5:6]
	v_not_b32_e32 v3, v6
	v_ashrrev_i32_e32 v3, 31, v3
	v_and_b32_e32 v2, exec_lo, v2
	v_xor_b32_e32 v4, s25, v3
	v_xor_b32_e32 v3, s24, v3
	v_lshlrev_b32_e32 v6, 29, v24
	v_and_b32_e32 v2, v2, v3
	v_cmp_gt_i64_e64 s[24:25], 0, v[5:6]
	v_not_b32_e32 v3, v6
	v_and_b32_e32 v1, exec_hi, v1
	v_ashrrev_i32_e32 v3, 31, v3
	v_and_b32_e32 v1, v1, v4
	v_xor_b32_e32 v4, s25, v3
	v_xor_b32_e32 v3, s24, v3
	v_lshlrev_b32_e32 v6, 28, v24
	v_and_b32_e32 v2, v2, v3
	v_cmp_gt_i64_e64 s[24:25], 0, v[5:6]
	v_not_b32_e32 v3, v6
	v_ashrrev_i32_e32 v3, 31, v3
	v_and_b32_e32 v1, v1, v4
	v_xor_b32_e32 v4, s25, v3
	v_xor_b32_e32 v3, s24, v3
	v_lshlrev_b32_e32 v6, 27, v24
	v_and_b32_e32 v2, v2, v3
	v_cmp_gt_i64_e64 s[24:25], 0, v[5:6]
	v_not_b32_e32 v3, v6
	;; [unrolled: 8-line block ×5, first 2 shown]
	v_ashrrev_i32_e32 v2, 31, v2
	v_and_b32_e32 v1, v1, v4
	v_xor_b32_e32 v4, s25, v2
	v_xor_b32_e32 v6, s24, v2
	; wave barrier
	ds_read_b32 v44, v45 offset:16
	v_and_b32_e32 v2, v1, v4
	v_and_b32_e32 v1, v3, v6
	v_mbcnt_lo_u32_b32 v3, v1, 0
	v_mbcnt_hi_u32_b32 v46, v2, v3
	v_cmp_ne_u64_e64 s[24:25], 0, v[1:2]
	v_cmp_eq_u32_e64 s[26:27], 0, v46
	s_and_b64 s[26:27], s[24:25], s[26:27]
	; wave barrier
	s_and_saveexec_b64 s[24:25], s[26:27]
	s_cbranch_execz .LBB271_10
; %bb.9:                                ;   in Loop: Header=BB271_2 Depth=1
	v_bcnt_u32_b32 v1, v1, 0
	v_bcnt_u32_b32 v1, v2, v1
	s_waitcnt lgkmcnt(0)
	v_add_u32_e32 v1, v44, v1
	ds_write_b32 v45, v1 offset:16
.LBB271_10:                             ;   in Loop: Header=BB271_2 Depth=1
	s_or_b64 exec, exec, s[24:25]
	v_lshlrev_b32_sdwa v1, v19, v23 dst_sel:DWORD dst_unused:UNUSED_PAD src0_sel:DWORD src1_sel:BYTE_0
	v_add_u32_e32 v48, v18, v1
	v_and_b32_e32 v1, 1, v23
	v_add_co_u32_e64 v2, s[24:25], -1, v1
	v_addc_co_u32_e64 v3, s[24:25], 0, -1, s[24:25]
	v_cmp_ne_u32_e64 s[24:25], 0, v1
	v_lshlrev_b32_e32 v6, 30, v23
	v_xor_b32_e32 v1, s25, v3
	v_xor_b32_e32 v2, s24, v2
	v_cmp_gt_i64_e64 s[24:25], 0, v[5:6]
	v_not_b32_e32 v3, v6
	v_ashrrev_i32_e32 v3, 31, v3
	v_and_b32_e32 v2, exec_lo, v2
	v_xor_b32_e32 v4, s25, v3
	v_xor_b32_e32 v3, s24, v3
	v_lshlrev_b32_e32 v6, 29, v23
	v_and_b32_e32 v2, v2, v3
	v_cmp_gt_i64_e64 s[24:25], 0, v[5:6]
	v_not_b32_e32 v3, v6
	v_and_b32_e32 v1, exec_hi, v1
	v_ashrrev_i32_e32 v3, 31, v3
	v_and_b32_e32 v1, v1, v4
	v_xor_b32_e32 v4, s25, v3
	v_xor_b32_e32 v3, s24, v3
	v_lshlrev_b32_e32 v6, 28, v23
	v_and_b32_e32 v2, v2, v3
	v_cmp_gt_i64_e64 s[24:25], 0, v[5:6]
	v_not_b32_e32 v3, v6
	v_ashrrev_i32_e32 v3, 31, v3
	v_and_b32_e32 v1, v1, v4
	v_xor_b32_e32 v4, s25, v3
	v_xor_b32_e32 v3, s24, v3
	v_lshlrev_b32_e32 v6, 27, v23
	v_and_b32_e32 v2, v2, v3
	v_cmp_gt_i64_e64 s[24:25], 0, v[5:6]
	v_not_b32_e32 v3, v6
	;; [unrolled: 8-line block ×5, first 2 shown]
	v_ashrrev_i32_e32 v2, 31, v2
	v_and_b32_e32 v1, v1, v4
	v_xor_b32_e32 v4, s25, v2
	v_xor_b32_e32 v6, s24, v2
	; wave barrier
	ds_read_b32 v47, v48 offset:16
	v_and_b32_e32 v2, v1, v4
	v_and_b32_e32 v1, v3, v6
	v_mbcnt_lo_u32_b32 v3, v1, 0
	v_mbcnt_hi_u32_b32 v49, v2, v3
	v_cmp_ne_u64_e64 s[24:25], 0, v[1:2]
	v_cmp_eq_u32_e64 s[26:27], 0, v49
	s_and_b64 s[26:27], s[24:25], s[26:27]
	; wave barrier
	s_and_saveexec_b64 s[24:25], s[26:27]
	s_cbranch_execz .LBB271_12
; %bb.11:                               ;   in Loop: Header=BB271_2 Depth=1
	v_bcnt_u32_b32 v1, v1, 0
	v_bcnt_u32_b32 v1, v2, v1
	s_waitcnt lgkmcnt(0)
	v_add_u32_e32 v1, v47, v1
	ds_write_b32 v48, v1 offset:16
.LBB271_12:                             ;   in Loop: Header=BB271_2 Depth=1
	s_or_b64 exec, exec, s[24:25]
	v_lshlrev_b32_sdwa v1, v19, v22 dst_sel:DWORD dst_unused:UNUSED_PAD src0_sel:DWORD src1_sel:BYTE_0
	v_add_u32_e32 v51, v18, v1
	v_and_b32_e32 v1, 1, v22
	v_add_co_u32_e64 v2, s[24:25], -1, v1
	v_addc_co_u32_e64 v3, s[24:25], 0, -1, s[24:25]
	v_cmp_ne_u32_e64 s[24:25], 0, v1
	v_lshlrev_b32_e32 v6, 30, v22
	v_xor_b32_e32 v1, s25, v3
	v_xor_b32_e32 v2, s24, v2
	v_cmp_gt_i64_e64 s[24:25], 0, v[5:6]
	v_not_b32_e32 v3, v6
	v_ashrrev_i32_e32 v3, 31, v3
	v_and_b32_e32 v2, exec_lo, v2
	v_xor_b32_e32 v4, s25, v3
	v_xor_b32_e32 v3, s24, v3
	v_lshlrev_b32_e32 v6, 29, v22
	v_and_b32_e32 v2, v2, v3
	v_cmp_gt_i64_e64 s[24:25], 0, v[5:6]
	v_not_b32_e32 v3, v6
	v_and_b32_e32 v1, exec_hi, v1
	v_ashrrev_i32_e32 v3, 31, v3
	v_and_b32_e32 v1, v1, v4
	v_xor_b32_e32 v4, s25, v3
	v_xor_b32_e32 v3, s24, v3
	v_lshlrev_b32_e32 v6, 28, v22
	v_and_b32_e32 v2, v2, v3
	v_cmp_gt_i64_e64 s[24:25], 0, v[5:6]
	v_not_b32_e32 v3, v6
	v_ashrrev_i32_e32 v3, 31, v3
	v_and_b32_e32 v1, v1, v4
	v_xor_b32_e32 v4, s25, v3
	v_xor_b32_e32 v3, s24, v3
	v_lshlrev_b32_e32 v6, 27, v22
	v_and_b32_e32 v2, v2, v3
	v_cmp_gt_i64_e64 s[24:25], 0, v[5:6]
	v_not_b32_e32 v3, v6
	;; [unrolled: 8-line block ×5, first 2 shown]
	v_ashrrev_i32_e32 v2, 31, v2
	v_and_b32_e32 v1, v1, v4
	v_xor_b32_e32 v4, s25, v2
	v_xor_b32_e32 v6, s24, v2
	; wave barrier
	ds_read_b32 v50, v51 offset:16
	v_and_b32_e32 v2, v1, v4
	v_and_b32_e32 v1, v3, v6
	v_mbcnt_lo_u32_b32 v3, v1, 0
	v_mbcnt_hi_u32_b32 v52, v2, v3
	v_cmp_ne_u64_e64 s[24:25], 0, v[1:2]
	v_cmp_eq_u32_e64 s[26:27], 0, v52
	s_and_b64 s[26:27], s[24:25], s[26:27]
	; wave barrier
	s_and_saveexec_b64 s[24:25], s[26:27]
	s_cbranch_execz .LBB271_14
; %bb.13:                               ;   in Loop: Header=BB271_2 Depth=1
	v_bcnt_u32_b32 v1, v1, 0
	v_bcnt_u32_b32 v1, v2, v1
	s_waitcnt lgkmcnt(0)
	v_add_u32_e32 v1, v50, v1
	ds_write_b32 v51, v1 offset:16
.LBB271_14:                             ;   in Loop: Header=BB271_2 Depth=1
	s_or_b64 exec, exec, s[24:25]
	v_lshlrev_b32_sdwa v1, v19, v21 dst_sel:DWORD dst_unused:UNUSED_PAD src0_sel:DWORD src1_sel:BYTE_0
	v_add_u32_e32 v54, v18, v1
	v_and_b32_e32 v1, 1, v21
	v_add_co_u32_e64 v2, s[24:25], -1, v1
	v_addc_co_u32_e64 v3, s[24:25], 0, -1, s[24:25]
	v_cmp_ne_u32_e64 s[24:25], 0, v1
	v_lshlrev_b32_e32 v6, 30, v21
	v_xor_b32_e32 v1, s25, v3
	v_xor_b32_e32 v2, s24, v2
	v_cmp_gt_i64_e64 s[24:25], 0, v[5:6]
	v_not_b32_e32 v3, v6
	v_ashrrev_i32_e32 v3, 31, v3
	v_and_b32_e32 v2, exec_lo, v2
	v_xor_b32_e32 v4, s25, v3
	v_xor_b32_e32 v3, s24, v3
	v_lshlrev_b32_e32 v6, 29, v21
	v_and_b32_e32 v2, v2, v3
	v_cmp_gt_i64_e64 s[24:25], 0, v[5:6]
	v_not_b32_e32 v3, v6
	v_and_b32_e32 v1, exec_hi, v1
	v_ashrrev_i32_e32 v3, 31, v3
	v_and_b32_e32 v1, v1, v4
	v_xor_b32_e32 v4, s25, v3
	v_xor_b32_e32 v3, s24, v3
	v_lshlrev_b32_e32 v6, 28, v21
	v_and_b32_e32 v2, v2, v3
	v_cmp_gt_i64_e64 s[24:25], 0, v[5:6]
	v_not_b32_e32 v3, v6
	v_ashrrev_i32_e32 v3, 31, v3
	v_and_b32_e32 v1, v1, v4
	v_xor_b32_e32 v4, s25, v3
	v_xor_b32_e32 v3, s24, v3
	v_lshlrev_b32_e32 v6, 27, v21
	v_and_b32_e32 v2, v2, v3
	v_cmp_gt_i64_e64 s[24:25], 0, v[5:6]
	v_not_b32_e32 v3, v6
	;; [unrolled: 8-line block ×5, first 2 shown]
	v_ashrrev_i32_e32 v2, 31, v2
	v_and_b32_e32 v1, v1, v4
	v_xor_b32_e32 v4, s25, v2
	v_xor_b32_e32 v6, s24, v2
	; wave barrier
	ds_read_b32 v53, v54 offset:16
	v_and_b32_e32 v2, v1, v4
	v_and_b32_e32 v1, v3, v6
	v_mbcnt_lo_u32_b32 v3, v1, 0
	v_mbcnt_hi_u32_b32 v55, v2, v3
	v_cmp_ne_u64_e64 s[24:25], 0, v[1:2]
	v_cmp_eq_u32_e64 s[26:27], 0, v55
	s_and_b64 s[26:27], s[24:25], s[26:27]
	; wave barrier
	s_and_saveexec_b64 s[24:25], s[26:27]
	s_cbranch_execz .LBB271_16
; %bb.15:                               ;   in Loop: Header=BB271_2 Depth=1
	v_bcnt_u32_b32 v1, v1, 0
	v_bcnt_u32_b32 v1, v2, v1
	s_waitcnt lgkmcnt(0)
	v_add_u32_e32 v1, v53, v1
	ds_write_b32 v54, v1 offset:16
.LBB271_16:                             ;   in Loop: Header=BB271_2 Depth=1
	s_or_b64 exec, exec, s[24:25]
	v_lshlrev_b32_sdwa v1, v19, v20 dst_sel:DWORD dst_unused:UNUSED_PAD src0_sel:DWORD src1_sel:BYTE_0
	v_add_u32_e32 v57, v18, v1
	v_and_b32_e32 v1, 1, v20
	v_add_co_u32_e64 v2, s[24:25], -1, v1
	v_addc_co_u32_e64 v3, s[24:25], 0, -1, s[24:25]
	v_cmp_ne_u32_e64 s[24:25], 0, v1
	v_lshlrev_b32_e32 v6, 30, v20
	v_xor_b32_e32 v1, s25, v3
	v_xor_b32_e32 v2, s24, v2
	v_cmp_gt_i64_e64 s[24:25], 0, v[5:6]
	v_not_b32_e32 v3, v6
	v_ashrrev_i32_e32 v3, 31, v3
	v_and_b32_e32 v2, exec_lo, v2
	v_xor_b32_e32 v4, s25, v3
	v_xor_b32_e32 v3, s24, v3
	v_lshlrev_b32_e32 v6, 29, v20
	v_and_b32_e32 v2, v2, v3
	v_cmp_gt_i64_e64 s[24:25], 0, v[5:6]
	v_not_b32_e32 v3, v6
	v_and_b32_e32 v1, exec_hi, v1
	v_ashrrev_i32_e32 v3, 31, v3
	v_and_b32_e32 v1, v1, v4
	v_xor_b32_e32 v4, s25, v3
	v_xor_b32_e32 v3, s24, v3
	v_lshlrev_b32_e32 v6, 28, v20
	v_and_b32_e32 v2, v2, v3
	v_cmp_gt_i64_e64 s[24:25], 0, v[5:6]
	v_not_b32_e32 v3, v6
	v_ashrrev_i32_e32 v3, 31, v3
	v_and_b32_e32 v1, v1, v4
	v_xor_b32_e32 v4, s25, v3
	v_xor_b32_e32 v3, s24, v3
	v_lshlrev_b32_e32 v6, 27, v20
	v_and_b32_e32 v2, v2, v3
	v_cmp_gt_i64_e64 s[24:25], 0, v[5:6]
	v_not_b32_e32 v3, v6
	;; [unrolled: 8-line block ×5, first 2 shown]
	v_ashrrev_i32_e32 v2, 31, v2
	v_and_b32_e32 v1, v1, v4
	v_xor_b32_e32 v4, s25, v2
	v_xor_b32_e32 v6, s24, v2
	; wave barrier
	ds_read_b32 v56, v57 offset:16
	v_and_b32_e32 v2, v1, v4
	v_and_b32_e32 v1, v3, v6
	v_mbcnt_lo_u32_b32 v3, v1, 0
	v_mbcnt_hi_u32_b32 v6, v2, v3
	v_cmp_ne_u64_e64 s[24:25], 0, v[1:2]
	v_cmp_eq_u32_e64 s[26:27], 0, v6
	s_and_b64 s[26:27], s[24:25], s[26:27]
	; wave barrier
	s_and_saveexec_b64 s[24:25], s[26:27]
	s_cbranch_execz .LBB271_18
; %bb.17:                               ;   in Loop: Header=BB271_2 Depth=1
	v_bcnt_u32_b32 v1, v1, 0
	v_bcnt_u32_b32 v1, v2, v1
	s_waitcnt lgkmcnt(0)
	v_add_u32_e32 v1, v56, v1
	ds_write_b32 v57, v1 offset:16
.LBB271_18:                             ;   in Loop: Header=BB271_2 Depth=1
	s_or_b64 exec, exec, s[24:25]
	; wave barrier
	s_waitcnt lgkmcnt(0)
	s_barrier
	ds_read2_b64 v[1:4], v11 offset0:2 offset1:3
	s_waitcnt lgkmcnt(0)
	v_add_u32_e32 v58, v2, v1
	v_add3_u32 v4, v58, v3, v4
	s_nop 1
	v_mov_b32_dpp v58, v4 row_shr:1 row_mask:0xf bank_mask:0xf
	v_cndmask_b32_e64 v58, v58, 0, s[8:9]
	v_add_u32_e32 v4, v58, v4
	s_nop 1
	v_mov_b32_dpp v58, v4 row_shr:2 row_mask:0xf bank_mask:0xf
	v_cndmask_b32_e64 v58, 0, v58, s[10:11]
	v_add_u32_e32 v4, v4, v58
	;; [unrolled: 4-line block ×4, first 2 shown]
	s_nop 1
	v_mov_b32_dpp v58, v4 row_bcast:15 row_mask:0xf bank_mask:0xf
	v_cndmask_b32_e64 v58, v58, 0, s[16:17]
	v_add_u32_e32 v4, v4, v58
	s_nop 1
	v_mov_b32_dpp v58, v4 row_bcast:31 row_mask:0xf bank_mask:0xf
	v_cndmask_b32_e64 v58, 0, v58, s[4:5]
	v_add_u32_e32 v4, v4, v58
	s_and_saveexec_b64 s[24:25], s[18:19]
; %bb.19:                               ;   in Loop: Header=BB271_2 Depth=1
	ds_write_b32 v13, v4
; %bb.20:                               ;   in Loop: Header=BB271_2 Depth=1
	s_or_b64 exec, exec, s[24:25]
	s_waitcnt lgkmcnt(0)
	s_barrier
	s_and_saveexec_b64 s[24:25], vcc
	s_cbranch_execz .LBB271_22
; %bb.21:                               ;   in Loop: Header=BB271_2 Depth=1
	ds_read_b32 v58, v14
	s_waitcnt lgkmcnt(0)
	s_nop 0
	v_mov_b32_dpp v59, v58 row_shr:1 row_mask:0xf bank_mask:0xf
	v_cndmask_b32_e64 v59, v59, 0, s[20:21]
	v_add_u32_e32 v58, v59, v58
	s_nop 1
	v_mov_b32_dpp v59, v58 row_shr:2 row_mask:0xf bank_mask:0xf
	v_cndmask_b32_e64 v59, 0, v59, s[22:23]
	v_add_u32_e32 v58, v58, v59
	ds_write_b32 v14, v58
.LBB271_22:                             ;   in Loop: Header=BB271_2 Depth=1
	s_or_b64 exec, exec, s[24:25]
	v_mov_b32_e32 v58, 0
	s_waitcnt lgkmcnt(0)
	s_barrier
	s_and_saveexec_b64 s[24:25], s[0:1]
	s_cbranch_execz .LBB271_1
; %bb.23:                               ;   in Loop: Header=BB271_2 Depth=1
	ds_read_b32 v58, v16
	s_branch .LBB271_1
.LBB271_24:
	s_add_u32 s0, s30, s33
	v_add_u16_e32 v1, v27, v6
	s_addc_u32 s1, s31, 0
	v_add_u16_e32 v2, v28, v20
	v_add_u16_e32 v3, v29, v21
	v_add_u16_e32 v4, v30, v22
	v_add_u16_e32 v5, v31, v23
	v_add_u16_e32 v6, v32, v24
	v_add_u16_e32 v7, v33, v25
	v_add_u16_e32 v8, v34, v26
	global_store_byte v0, v1, s[0:1]
	global_store_byte v0, v2, s[0:1] offset:256
	global_store_byte v0, v3, s[0:1] offset:512
	;; [unrolled: 1-line block ×7, first 2 shown]
	s_endpgm
	.section	.rodata,"a",@progbits
	.p2align	6, 0x0
	.amdhsa_kernel _Z17sort_pairs_kernelI22helper_blocked_stripedaLj256ELj8ELj10EEvPKT0_PS1_
		.amdhsa_group_segment_fixed_size 4112
		.amdhsa_private_segment_fixed_size 0
		.amdhsa_kernarg_size 272
		.amdhsa_user_sgpr_count 6
		.amdhsa_user_sgpr_private_segment_buffer 1
		.amdhsa_user_sgpr_dispatch_ptr 0
		.amdhsa_user_sgpr_queue_ptr 0
		.amdhsa_user_sgpr_kernarg_segment_ptr 1
		.amdhsa_user_sgpr_dispatch_id 0
		.amdhsa_user_sgpr_flat_scratch_init 0
		.amdhsa_user_sgpr_private_segment_size 0
		.amdhsa_uses_dynamic_stack 0
		.amdhsa_system_sgpr_private_segment_wavefront_offset 0
		.amdhsa_system_sgpr_workgroup_id_x 1
		.amdhsa_system_sgpr_workgroup_id_y 0
		.amdhsa_system_sgpr_workgroup_id_z 0
		.amdhsa_system_sgpr_workgroup_info 0
		.amdhsa_system_vgpr_workitem_id 2
		.amdhsa_next_free_vgpr 60
		.amdhsa_next_free_sgpr 37
		.amdhsa_reserve_vcc 1
		.amdhsa_reserve_flat_scratch 0
		.amdhsa_float_round_mode_32 0
		.amdhsa_float_round_mode_16_64 0
		.amdhsa_float_denorm_mode_32 3
		.amdhsa_float_denorm_mode_16_64 3
		.amdhsa_dx10_clamp 1
		.amdhsa_ieee_mode 1
		.amdhsa_fp16_overflow 0
		.amdhsa_exception_fp_ieee_invalid_op 0
		.amdhsa_exception_fp_denorm_src 0
		.amdhsa_exception_fp_ieee_div_zero 0
		.amdhsa_exception_fp_ieee_overflow 0
		.amdhsa_exception_fp_ieee_underflow 0
		.amdhsa_exception_fp_ieee_inexact 0
		.amdhsa_exception_int_div_zero 0
	.end_amdhsa_kernel
	.section	.text._Z17sort_pairs_kernelI22helper_blocked_stripedaLj256ELj8ELj10EEvPKT0_PS1_,"axG",@progbits,_Z17sort_pairs_kernelI22helper_blocked_stripedaLj256ELj8ELj10EEvPKT0_PS1_,comdat
.Lfunc_end271:
	.size	_Z17sort_pairs_kernelI22helper_blocked_stripedaLj256ELj8ELj10EEvPKT0_PS1_, .Lfunc_end271-_Z17sort_pairs_kernelI22helper_blocked_stripedaLj256ELj8ELj10EEvPKT0_PS1_
                                        ; -- End function
	.set _Z17sort_pairs_kernelI22helper_blocked_stripedaLj256ELj8ELj10EEvPKT0_PS1_.num_vgpr, 60
	.set _Z17sort_pairs_kernelI22helper_blocked_stripedaLj256ELj8ELj10EEvPKT0_PS1_.num_agpr, 0
	.set _Z17sort_pairs_kernelI22helper_blocked_stripedaLj256ELj8ELj10EEvPKT0_PS1_.numbered_sgpr, 37
	.set _Z17sort_pairs_kernelI22helper_blocked_stripedaLj256ELj8ELj10EEvPKT0_PS1_.num_named_barrier, 0
	.set _Z17sort_pairs_kernelI22helper_blocked_stripedaLj256ELj8ELj10EEvPKT0_PS1_.private_seg_size, 0
	.set _Z17sort_pairs_kernelI22helper_blocked_stripedaLj256ELj8ELj10EEvPKT0_PS1_.uses_vcc, 1
	.set _Z17sort_pairs_kernelI22helper_blocked_stripedaLj256ELj8ELj10EEvPKT0_PS1_.uses_flat_scratch, 0
	.set _Z17sort_pairs_kernelI22helper_blocked_stripedaLj256ELj8ELj10EEvPKT0_PS1_.has_dyn_sized_stack, 0
	.set _Z17sort_pairs_kernelI22helper_blocked_stripedaLj256ELj8ELj10EEvPKT0_PS1_.has_recursion, 0
	.set _Z17sort_pairs_kernelI22helper_blocked_stripedaLj256ELj8ELj10EEvPKT0_PS1_.has_indirect_call, 0
	.section	.AMDGPU.csdata,"",@progbits
; Kernel info:
; codeLenInByte = 5076
; TotalNumSgprs: 41
; NumVgprs: 60
; ScratchSize: 0
; MemoryBound: 0
; FloatMode: 240
; IeeeMode: 1
; LDSByteSize: 4112 bytes/workgroup (compile time only)
; SGPRBlocks: 5
; VGPRBlocks: 14
; NumSGPRsForWavesPerEU: 41
; NumVGPRsForWavesPerEU: 60
; Occupancy: 4
; WaveLimiterHint : 1
; COMPUTE_PGM_RSRC2:SCRATCH_EN: 0
; COMPUTE_PGM_RSRC2:USER_SGPR: 6
; COMPUTE_PGM_RSRC2:TRAP_HANDLER: 0
; COMPUTE_PGM_RSRC2:TGID_X_EN: 1
; COMPUTE_PGM_RSRC2:TGID_Y_EN: 0
; COMPUTE_PGM_RSRC2:TGID_Z_EN: 0
; COMPUTE_PGM_RSRC2:TIDIG_COMP_CNT: 2
	.section	.text._Z16sort_keys_kernelI22helper_blocked_stripedaLj320ELj1ELj10EEvPKT0_PS1_,"axG",@progbits,_Z16sort_keys_kernelI22helper_blocked_stripedaLj320ELj1ELj10EEvPKT0_PS1_,comdat
	.protected	_Z16sort_keys_kernelI22helper_blocked_stripedaLj320ELj1ELj10EEvPKT0_PS1_ ; -- Begin function _Z16sort_keys_kernelI22helper_blocked_stripedaLj320ELj1ELj10EEvPKT0_PS1_
	.globl	_Z16sort_keys_kernelI22helper_blocked_stripedaLj320ELj1ELj10EEvPKT0_PS1_
	.p2align	8
	.type	_Z16sort_keys_kernelI22helper_blocked_stripedaLj320ELj1ELj10EEvPKT0_PS1_,@function
_Z16sort_keys_kernelI22helper_blocked_stripedaLj320ELj1ELj10EEvPKT0_PS1_: ; @_Z16sort_keys_kernelI22helper_blocked_stripedaLj320ELj1ELj10EEvPKT0_PS1_
; %bb.0:
	s_load_dwordx4 s[28:31], s[4:5], 0x0
	s_load_dword s24, s[4:5], 0x1c
	s_mul_i32 s33, s6, 0x140
	v_mbcnt_lo_u32_b32 v5, -1, 0
	v_mbcnt_hi_u32_b32 v5, -1, v5
	s_waitcnt lgkmcnt(0)
	s_add_u32 s0, s28, s33
	s_addc_u32 s1, s29, 0
	global_load_ubyte v4, v0, s[0:1]
	s_lshr_b32 s25, s24, 16
	s_and_b32 s24, s24, 0xffff
	v_mad_u32_u24 v1, v2, s25, v1
	v_mad_u64_u32 v[1:2], s[24:25], v1, s24, v[0:1]
	v_and_b32_e32 v7, 0x1c0, v0
	v_subrev_co_u32_e64 v13, s[6:7], 1, v5
	v_and_b32_e32 v14, 64, v5
	v_lshrrev_b32_e32 v8, 4, v0
	v_and_b32_e32 v10, 15, v5
	v_min_u32_e32 v12, 0x100, v7
	v_cmp_lt_i32_e64 s[18:19], v13, v14
	v_mul_u32_u24_e32 v9, 3, v0
	v_and_b32_e32 v11, 16, v5
	v_cmp_lt_u32_e64 s[4:5], 31, v5
	v_and_b32_e32 v7, 28, v8
	v_and_b32_e32 v15, 7, v5
	v_cmp_eq_u32_e64 s[8:9], 0, v10
	v_cmp_lt_u32_e64 s[10:11], 1, v10
	v_cmp_lt_u32_e64 s[12:13], 3, v10
	v_cmp_lt_u32_e64 s[14:15], 7, v10
	v_or_b32_e32 v10, 63, v12
	v_cndmask_b32_e64 v5, v13, v5, s[18:19]
	v_lshrrev_b32_e32 v1, 4, v1
	v_mov_b32_e32 v3, 0
	s_mov_b32 s34, 10
	v_lshlrev_b32_e32 v6, 4, v0
	v_cmp_gt_u32_e32 vcc, 5, v0
	v_cmp_lt_u32_e64 s[0:1], 63, v0
	v_cmp_eq_u32_e64 s[2:3], 0, v0
	v_add_u32_e32 v8, v0, v9
	v_cmp_eq_u32_e64 s[16:17], 0, v11
	v_cmp_eq_u32_e64 s[18:19], 0, v15
	v_cmp_lt_u32_e64 s[20:21], 1, v15
	v_cmp_lt_u32_e64 s[22:23], 3, v15
	v_add_u32_e32 v9, -4, v7
	v_cmp_eq_u32_e64 s[24:25], v0, v10
	v_lshlrev_b32_e32 v10, 2, v5
	v_and_b32_e32 v11, 0xffffffc, v1
	v_mov_b32_e32 v12, 20
	s_waitcnt vmcnt(0)
	v_xor_b32_e32 v13, 0xffffff80, v4
	s_branch .LBB272_2
.LBB272_1:                              ;   in Loop: Header=BB272_2 Depth=1
	s_or_b64 exec, exec, s[26:27]
	s_waitcnt lgkmcnt(0)
	v_add_u32_e32 v2, v16, v2
	ds_bpermute_b32 v2, v10, v2
	s_add_i32 s34, s34, -1
	s_cmp_eq_u32 s34, 0
	s_waitcnt lgkmcnt(0)
	v_cndmask_b32_e64 v2, v2, v16, s[6:7]
	v_cndmask_b32_e64 v2, v2, 0, s[2:3]
	v_add_u32_e32 v4, v2, v4
	v_add_u32_e32 v5, v4, v5
	v_add_u32_e32 v1, v5, v1
	ds_write2_b32 v6, v2, v4 offset0:5 offset1:6
	ds_write2_b32 v6, v5, v1 offset0:7 offset1:8
	s_waitcnt lgkmcnt(0)
	s_barrier
	ds_read_b32 v1, v15 offset:20
	s_waitcnt lgkmcnt(0)
	s_barrier
	v_add_u32_e32 v1, v1, v14
	ds_write_b8 v1, v13
	s_waitcnt lgkmcnt(0)
	s_barrier
	ds_read_u8 v13, v0
	s_cbranch_scc1 .LBB272_10
.LBB272_2:                              ; =>This Inner Loop Header: Depth=1
	s_waitcnt lgkmcnt(0)
	v_and_b32_e32 v1, 1, v13
	v_add_co_u32_e64 v2, s[26:27], -1, v1
	v_addc_co_u32_e64 v4, s[26:27], 0, -1, s[26:27]
	v_cmp_ne_u32_e64 s[26:27], 0, v1
	v_xor_b32_e32 v1, s27, v4
	v_lshlrev_b32_e32 v4, 30, v13
	v_xor_b32_e32 v2, s26, v2
	v_cmp_gt_i64_e64 s[26:27], 0, v[3:4]
	v_not_b32_e32 v4, v4
	v_ashrrev_i32_e32 v4, 31, v4
	v_and_b32_e32 v2, exec_lo, v2
	v_xor_b32_e32 v14, s27, v4
	v_xor_b32_e32 v4, s26, v4
	v_and_b32_e32 v2, v2, v4
	v_lshlrev_b32_e32 v4, 29, v13
	v_cmp_gt_i64_e64 s[26:27], 0, v[3:4]
	v_not_b32_e32 v4, v4
	v_and_b32_e32 v1, exec_hi, v1
	v_ashrrev_i32_e32 v4, 31, v4
	v_and_b32_e32 v1, v1, v14
	v_xor_b32_e32 v14, s27, v4
	v_xor_b32_e32 v4, s26, v4
	v_and_b32_e32 v2, v2, v4
	v_lshlrev_b32_e32 v4, 28, v13
	v_cmp_gt_i64_e64 s[26:27], 0, v[3:4]
	v_not_b32_e32 v4, v4
	v_ashrrev_i32_e32 v4, 31, v4
	v_and_b32_e32 v1, v1, v14
	v_xor_b32_e32 v14, s27, v4
	v_xor_b32_e32 v4, s26, v4
	v_and_b32_e32 v2, v2, v4
	v_lshlrev_b32_e32 v4, 27, v13
	v_cmp_gt_i64_e64 s[26:27], 0, v[3:4]
	v_not_b32_e32 v4, v4
	;; [unrolled: 8-line block ×4, first 2 shown]
	v_ashrrev_i32_e32 v4, 31, v4
	v_and_b32_e32 v1, v1, v14
	v_xor_b32_e32 v14, s27, v4
	v_xor_b32_e32 v4, s26, v4
	v_and_b32_e32 v1, v1, v14
	v_and_b32_e32 v14, v2, v4
	v_lshlrev_b32_e32 v4, 24, v13
	v_cmp_gt_i64_e64 s[26:27], 0, v[3:4]
	v_not_b32_e32 v2, v4
	v_ashrrev_i32_e32 v2, 31, v2
	v_xor_b32_e32 v4, s27, v2
	v_xor_b32_e32 v15, s26, v2
	v_and_b32_e32 v2, v1, v4
	v_and_b32_e32 v1, v14, v15
	v_mbcnt_lo_u32_b32 v4, v1, 0
	v_mbcnt_hi_u32_b32 v14, v2, v4
	v_cmp_ne_u64_e64 s[26:27], 0, v[1:2]
	v_mul_u32_u24_sdwa v5, v13, v12 dst_sel:DWORD dst_unused:UNUSED_PAD src0_sel:BYTE_0 src1_sel:DWORD
	v_cmp_eq_u32_e64 s[28:29], 0, v14
	s_and_b64 s[28:29], s[26:27], s[28:29]
	v_add_u32_e32 v15, v11, v5
	ds_write2_b32 v6, v3, v3 offset0:5 offset1:6
	ds_write2_b32 v6, v3, v3 offset0:7 offset1:8
	s_waitcnt lgkmcnt(0)
	s_barrier
	; wave barrier
	s_and_saveexec_b64 s[26:27], s[28:29]
; %bb.3:                                ;   in Loop: Header=BB272_2 Depth=1
	v_bcnt_u32_b32 v1, v1, 0
	v_bcnt_u32_b32 v1, v2, v1
	ds_write_b32 v15, v1 offset:20
; %bb.4:                                ;   in Loop: Header=BB272_2 Depth=1
	s_or_b64 exec, exec, s[26:27]
	; wave barrier
	s_waitcnt lgkmcnt(0)
	s_barrier
	ds_read2_b32 v[4:5], v6 offset0:5 offset1:6
	ds_read2_b32 v[1:2], v6 offset0:7 offset1:8
	s_waitcnt lgkmcnt(1)
	v_add_u32_e32 v16, v5, v4
	s_waitcnt lgkmcnt(0)
	v_add3_u32 v2, v16, v1, v2
	s_nop 1
	v_mov_b32_dpp v16, v2 row_shr:1 row_mask:0xf bank_mask:0xf
	v_cndmask_b32_e64 v16, v16, 0, s[8:9]
	v_add_u32_e32 v2, v16, v2
	s_nop 1
	v_mov_b32_dpp v16, v2 row_shr:2 row_mask:0xf bank_mask:0xf
	v_cndmask_b32_e64 v16, 0, v16, s[10:11]
	v_add_u32_e32 v2, v2, v16
	;; [unrolled: 4-line block ×4, first 2 shown]
	s_nop 1
	v_mov_b32_dpp v16, v2 row_bcast:15 row_mask:0xf bank_mask:0xf
	v_cndmask_b32_e64 v16, v16, 0, s[16:17]
	v_add_u32_e32 v2, v2, v16
	s_nop 1
	v_mov_b32_dpp v16, v2 row_bcast:31 row_mask:0xf bank_mask:0xf
	v_cndmask_b32_e64 v16, 0, v16, s[4:5]
	v_add_u32_e32 v2, v2, v16
	s_and_saveexec_b64 s[26:27], s[24:25]
; %bb.5:                                ;   in Loop: Header=BB272_2 Depth=1
	ds_write_b32 v7, v2
; %bb.6:                                ;   in Loop: Header=BB272_2 Depth=1
	s_or_b64 exec, exec, s[26:27]
	s_waitcnt lgkmcnt(0)
	s_barrier
	s_and_saveexec_b64 s[26:27], vcc
	s_cbranch_execz .LBB272_8
; %bb.7:                                ;   in Loop: Header=BB272_2 Depth=1
	ds_read_b32 v16, v8
	s_waitcnt lgkmcnt(0)
	s_nop 0
	v_mov_b32_dpp v17, v16 row_shr:1 row_mask:0xf bank_mask:0xf
	v_cndmask_b32_e64 v17, v17, 0, s[18:19]
	v_add_u32_e32 v16, v17, v16
	s_nop 1
	v_mov_b32_dpp v17, v16 row_shr:2 row_mask:0xf bank_mask:0xf
	v_cndmask_b32_e64 v17, 0, v17, s[20:21]
	v_add_u32_e32 v16, v16, v17
	;; [unrolled: 4-line block ×3, first 2 shown]
	ds_write_b32 v8, v16
.LBB272_8:                              ;   in Loop: Header=BB272_2 Depth=1
	s_or_b64 exec, exec, s[26:27]
	v_mov_b32_e32 v16, 0
	s_waitcnt lgkmcnt(0)
	s_barrier
	s_and_saveexec_b64 s[26:27], s[0:1]
	s_cbranch_execz .LBB272_1
; %bb.9:                                ;   in Loop: Header=BB272_2 Depth=1
	ds_read_b32 v16, v9
	s_branch .LBB272_1
.LBB272_10:
	s_add_u32 s0, s30, s33
	s_addc_u32 s1, s31, 0
	v_mov_b32_e32 v1, s1
	v_add_co_u32_e32 v0, vcc, s0, v0
	s_waitcnt lgkmcnt(0)
	v_xor_b32_e32 v2, 0x80, v13
	v_addc_co_u32_e32 v1, vcc, 0, v1, vcc
	global_store_byte v[0:1], v2, off
	s_endpgm
	.section	.rodata,"a",@progbits
	.p2align	6, 0x0
	.amdhsa_kernel _Z16sort_keys_kernelI22helper_blocked_stripedaLj320ELj1ELj10EEvPKT0_PS1_
		.amdhsa_group_segment_fixed_size 5152
		.amdhsa_private_segment_fixed_size 0
		.amdhsa_kernarg_size 272
		.amdhsa_user_sgpr_count 6
		.amdhsa_user_sgpr_private_segment_buffer 1
		.amdhsa_user_sgpr_dispatch_ptr 0
		.amdhsa_user_sgpr_queue_ptr 0
		.amdhsa_user_sgpr_kernarg_segment_ptr 1
		.amdhsa_user_sgpr_dispatch_id 0
		.amdhsa_user_sgpr_flat_scratch_init 0
		.amdhsa_user_sgpr_private_segment_size 0
		.amdhsa_uses_dynamic_stack 0
		.amdhsa_system_sgpr_private_segment_wavefront_offset 0
		.amdhsa_system_sgpr_workgroup_id_x 1
		.amdhsa_system_sgpr_workgroup_id_y 0
		.amdhsa_system_sgpr_workgroup_id_z 0
		.amdhsa_system_sgpr_workgroup_info 0
		.amdhsa_system_vgpr_workitem_id 2
		.amdhsa_next_free_vgpr 18
		.amdhsa_next_free_sgpr 35
		.amdhsa_reserve_vcc 1
		.amdhsa_reserve_flat_scratch 0
		.amdhsa_float_round_mode_32 0
		.amdhsa_float_round_mode_16_64 0
		.amdhsa_float_denorm_mode_32 3
		.amdhsa_float_denorm_mode_16_64 3
		.amdhsa_dx10_clamp 1
		.amdhsa_ieee_mode 1
		.amdhsa_fp16_overflow 0
		.amdhsa_exception_fp_ieee_invalid_op 0
		.amdhsa_exception_fp_denorm_src 0
		.amdhsa_exception_fp_ieee_div_zero 0
		.amdhsa_exception_fp_ieee_overflow 0
		.amdhsa_exception_fp_ieee_underflow 0
		.amdhsa_exception_fp_ieee_inexact 0
		.amdhsa_exception_int_div_zero 0
	.end_amdhsa_kernel
	.section	.text._Z16sort_keys_kernelI22helper_blocked_stripedaLj320ELj1ELj10EEvPKT0_PS1_,"axG",@progbits,_Z16sort_keys_kernelI22helper_blocked_stripedaLj320ELj1ELj10EEvPKT0_PS1_,comdat
.Lfunc_end272:
	.size	_Z16sort_keys_kernelI22helper_blocked_stripedaLj320ELj1ELj10EEvPKT0_PS1_, .Lfunc_end272-_Z16sort_keys_kernelI22helper_blocked_stripedaLj320ELj1ELj10EEvPKT0_PS1_
                                        ; -- End function
	.set _Z16sort_keys_kernelI22helper_blocked_stripedaLj320ELj1ELj10EEvPKT0_PS1_.num_vgpr, 18
	.set _Z16sort_keys_kernelI22helper_blocked_stripedaLj320ELj1ELj10EEvPKT0_PS1_.num_agpr, 0
	.set _Z16sort_keys_kernelI22helper_blocked_stripedaLj320ELj1ELj10EEvPKT0_PS1_.numbered_sgpr, 35
	.set _Z16sort_keys_kernelI22helper_blocked_stripedaLj320ELj1ELj10EEvPKT0_PS1_.num_named_barrier, 0
	.set _Z16sort_keys_kernelI22helper_blocked_stripedaLj320ELj1ELj10EEvPKT0_PS1_.private_seg_size, 0
	.set _Z16sort_keys_kernelI22helper_blocked_stripedaLj320ELj1ELj10EEvPKT0_PS1_.uses_vcc, 1
	.set _Z16sort_keys_kernelI22helper_blocked_stripedaLj320ELj1ELj10EEvPKT0_PS1_.uses_flat_scratch, 0
	.set _Z16sort_keys_kernelI22helper_blocked_stripedaLj320ELj1ELj10EEvPKT0_PS1_.has_dyn_sized_stack, 0
	.set _Z16sort_keys_kernelI22helper_blocked_stripedaLj320ELj1ELj10EEvPKT0_PS1_.has_recursion, 0
	.set _Z16sort_keys_kernelI22helper_blocked_stripedaLj320ELj1ELj10EEvPKT0_PS1_.has_indirect_call, 0
	.section	.AMDGPU.csdata,"",@progbits
; Kernel info:
; codeLenInByte = 1244
; TotalNumSgprs: 39
; NumVgprs: 18
; ScratchSize: 0
; MemoryBound: 0
; FloatMode: 240
; IeeeMode: 1
; LDSByteSize: 5152 bytes/workgroup (compile time only)
; SGPRBlocks: 4
; VGPRBlocks: 4
; NumSGPRsForWavesPerEU: 39
; NumVGPRsForWavesPerEU: 18
; Occupancy: 10
; WaveLimiterHint : 0
; COMPUTE_PGM_RSRC2:SCRATCH_EN: 0
; COMPUTE_PGM_RSRC2:USER_SGPR: 6
; COMPUTE_PGM_RSRC2:TRAP_HANDLER: 0
; COMPUTE_PGM_RSRC2:TGID_X_EN: 1
; COMPUTE_PGM_RSRC2:TGID_Y_EN: 0
; COMPUTE_PGM_RSRC2:TGID_Z_EN: 0
; COMPUTE_PGM_RSRC2:TIDIG_COMP_CNT: 2
	.section	.text._Z17sort_pairs_kernelI22helper_blocked_stripedaLj320ELj1ELj10EEvPKT0_PS1_,"axG",@progbits,_Z17sort_pairs_kernelI22helper_blocked_stripedaLj320ELj1ELj10EEvPKT0_PS1_,comdat
	.protected	_Z17sort_pairs_kernelI22helper_blocked_stripedaLj320ELj1ELj10EEvPKT0_PS1_ ; -- Begin function _Z17sort_pairs_kernelI22helper_blocked_stripedaLj320ELj1ELj10EEvPKT0_PS1_
	.globl	_Z17sort_pairs_kernelI22helper_blocked_stripedaLj320ELj1ELj10EEvPKT0_PS1_
	.p2align	8
	.type	_Z17sort_pairs_kernelI22helper_blocked_stripedaLj320ELj1ELj10EEvPKT0_PS1_,@function
_Z17sort_pairs_kernelI22helper_blocked_stripedaLj320ELj1ELj10EEvPKT0_PS1_: ; @_Z17sort_pairs_kernelI22helper_blocked_stripedaLj320ELj1ELj10EEvPKT0_PS1_
; %bb.0:
	s_load_dwordx4 s[28:31], s[4:5], 0x0
	s_load_dword s24, s[4:5], 0x1c
	s_mul_i32 s33, s6, 0x140
	v_mbcnt_lo_u32_b32 v5, -1, 0
	v_mbcnt_hi_u32_b32 v5, -1, v5
	s_waitcnt lgkmcnt(0)
	s_add_u32 s0, s28, s33
	s_addc_u32 s1, s29, 0
	global_load_ubyte v4, v0, s[0:1]
	s_lshr_b32 s25, s24, 16
	s_and_b32 s24, s24, 0xffff
	v_mad_u32_u24 v1, v2, s25, v1
	v_mad_u64_u32 v[1:2], s[24:25], v1, s24, v[0:1]
	v_and_b32_e32 v7, 0x1c0, v0
	v_subrev_co_u32_e64 v13, s[6:7], 1, v5
	v_and_b32_e32 v14, 64, v5
	v_lshrrev_b32_e32 v8, 4, v0
	v_and_b32_e32 v10, 15, v5
	v_min_u32_e32 v12, 0x100, v7
	v_cmp_lt_i32_e64 s[18:19], v13, v14
	v_mul_u32_u24_e32 v9, 3, v0
	v_and_b32_e32 v11, 16, v5
	v_cmp_lt_u32_e64 s[4:5], 31, v5
	v_and_b32_e32 v7, 28, v8
	v_and_b32_e32 v15, 7, v5
	v_cmp_eq_u32_e64 s[8:9], 0, v10
	v_cmp_lt_u32_e64 s[10:11], 1, v10
	v_cmp_lt_u32_e64 s[12:13], 3, v10
	;; [unrolled: 1-line block ×3, first 2 shown]
	v_or_b32_e32 v10, 63, v12
	v_cndmask_b32_e64 v5, v13, v5, s[18:19]
	v_lshrrev_b32_e32 v1, 4, v1
	v_mov_b32_e32 v3, 0
	s_mov_b32 s34, 10
	v_lshlrev_b32_e32 v6, 4, v0
	v_cmp_gt_u32_e32 vcc, 5, v0
	v_cmp_lt_u32_e64 s[0:1], 63, v0
	v_cmp_eq_u32_e64 s[2:3], 0, v0
	v_add_u32_e32 v8, v0, v9
	v_cmp_eq_u32_e64 s[16:17], 0, v11
	v_cmp_eq_u32_e64 s[18:19], 0, v15
	v_cmp_lt_u32_e64 s[20:21], 1, v15
	v_cmp_lt_u32_e64 s[22:23], 3, v15
	v_add_u32_e32 v9, -4, v7
	v_cmp_eq_u32_e64 s[24:25], v0, v10
	v_lshlrev_b32_e32 v10, 2, v5
	v_and_b32_e32 v11, 0xffffffc, v1
	v_mov_b32_e32 v12, 20
	s_waitcnt vmcnt(0)
	v_add_u16_e32 v13, 1, v4
	v_xor_b32_e32 v14, 0xffffff80, v4
	s_branch .LBB273_2
.LBB273_1:                              ;   in Loop: Header=BB273_2 Depth=1
	s_or_b64 exec, exec, s[26:27]
	s_waitcnt lgkmcnt(0)
	v_add_u32_e32 v2, v17, v2
	ds_bpermute_b32 v2, v10, v2
	s_add_i32 s34, s34, -1
	s_cmp_eq_u32 s34, 0
	s_waitcnt lgkmcnt(0)
	v_cndmask_b32_e64 v2, v2, v17, s[6:7]
	v_cndmask_b32_e64 v2, v2, 0, s[2:3]
	v_add_u32_e32 v4, v2, v4
	v_add_u32_e32 v5, v4, v5
	;; [unrolled: 1-line block ×3, first 2 shown]
	ds_write2_b32 v6, v2, v4 offset0:5 offset1:6
	ds_write2_b32 v6, v5, v1 offset0:7 offset1:8
	s_waitcnt lgkmcnt(0)
	s_barrier
	ds_read_b32 v1, v16 offset:20
	s_waitcnt lgkmcnt(0)
	s_barrier
	v_add_u32_e32 v1, v1, v15
	ds_write_b8 v1, v14
	s_waitcnt lgkmcnt(0)
	s_barrier
	ds_read_u8 v14, v0
	s_waitcnt lgkmcnt(0)
	s_barrier
	ds_write_b8 v1, v13
	s_waitcnt lgkmcnt(0)
	s_barrier
	ds_read_u8 v13, v0
	s_cbranch_scc1 .LBB273_10
.LBB273_2:                              ; =>This Inner Loop Header: Depth=1
	v_and_b32_e32 v1, 1, v14
	v_add_co_u32_e64 v2, s[26:27], -1, v1
	v_addc_co_u32_e64 v4, s[26:27], 0, -1, s[26:27]
	v_cmp_ne_u32_e64 s[26:27], 0, v1
	v_xor_b32_e32 v1, s27, v4
	v_lshlrev_b32_e32 v4, 30, v14
	v_xor_b32_e32 v2, s26, v2
	v_cmp_gt_i64_e64 s[26:27], 0, v[3:4]
	v_not_b32_e32 v4, v4
	v_ashrrev_i32_e32 v4, 31, v4
	v_and_b32_e32 v2, exec_lo, v2
	v_xor_b32_e32 v15, s27, v4
	v_xor_b32_e32 v4, s26, v4
	v_and_b32_e32 v2, v2, v4
	v_lshlrev_b32_e32 v4, 29, v14
	v_cmp_gt_i64_e64 s[26:27], 0, v[3:4]
	v_not_b32_e32 v4, v4
	v_and_b32_e32 v1, exec_hi, v1
	v_ashrrev_i32_e32 v4, 31, v4
	v_and_b32_e32 v1, v1, v15
	v_xor_b32_e32 v15, s27, v4
	v_xor_b32_e32 v4, s26, v4
	v_and_b32_e32 v2, v2, v4
	v_lshlrev_b32_e32 v4, 28, v14
	v_cmp_gt_i64_e64 s[26:27], 0, v[3:4]
	v_not_b32_e32 v4, v4
	v_ashrrev_i32_e32 v4, 31, v4
	v_and_b32_e32 v1, v1, v15
	v_xor_b32_e32 v15, s27, v4
	v_xor_b32_e32 v4, s26, v4
	v_and_b32_e32 v2, v2, v4
	v_lshlrev_b32_e32 v4, 27, v14
	v_cmp_gt_i64_e64 s[26:27], 0, v[3:4]
	v_not_b32_e32 v4, v4
	;; [unrolled: 8-line block ×4, first 2 shown]
	v_ashrrev_i32_e32 v4, 31, v4
	v_and_b32_e32 v1, v1, v15
	v_xor_b32_e32 v15, s27, v4
	v_xor_b32_e32 v4, s26, v4
	v_and_b32_e32 v1, v1, v15
	v_and_b32_e32 v15, v2, v4
	v_lshlrev_b32_e32 v4, 24, v14
	v_cmp_gt_i64_e64 s[26:27], 0, v[3:4]
	v_not_b32_e32 v2, v4
	v_ashrrev_i32_e32 v2, 31, v2
	v_xor_b32_e32 v4, s27, v2
	v_xor_b32_e32 v16, s26, v2
	v_and_b32_e32 v2, v1, v4
	v_and_b32_e32 v1, v15, v16
	v_mbcnt_lo_u32_b32 v4, v1, 0
	v_mbcnt_hi_u32_b32 v15, v2, v4
	v_cmp_ne_u64_e64 s[26:27], 0, v[1:2]
	v_mul_u32_u24_sdwa v5, v14, v12 dst_sel:DWORD dst_unused:UNUSED_PAD src0_sel:BYTE_0 src1_sel:DWORD
	v_cmp_eq_u32_e64 s[28:29], 0, v15
	s_and_b64 s[28:29], s[26:27], s[28:29]
	v_add_u32_e32 v16, v11, v5
	ds_write2_b32 v6, v3, v3 offset0:5 offset1:6
	ds_write2_b32 v6, v3, v3 offset0:7 offset1:8
	s_waitcnt lgkmcnt(0)
	s_barrier
	; wave barrier
	s_and_saveexec_b64 s[26:27], s[28:29]
; %bb.3:                                ;   in Loop: Header=BB273_2 Depth=1
	v_bcnt_u32_b32 v1, v1, 0
	v_bcnt_u32_b32 v1, v2, v1
	ds_write_b32 v16, v1 offset:20
; %bb.4:                                ;   in Loop: Header=BB273_2 Depth=1
	s_or_b64 exec, exec, s[26:27]
	; wave barrier
	s_waitcnt lgkmcnt(0)
	s_barrier
	ds_read2_b32 v[4:5], v6 offset0:5 offset1:6
	ds_read2_b32 v[1:2], v6 offset0:7 offset1:8
	s_waitcnt lgkmcnt(1)
	v_add_u32_e32 v17, v5, v4
	s_waitcnt lgkmcnt(0)
	v_add3_u32 v2, v17, v1, v2
	s_nop 1
	v_mov_b32_dpp v17, v2 row_shr:1 row_mask:0xf bank_mask:0xf
	v_cndmask_b32_e64 v17, v17, 0, s[8:9]
	v_add_u32_e32 v2, v17, v2
	s_nop 1
	v_mov_b32_dpp v17, v2 row_shr:2 row_mask:0xf bank_mask:0xf
	v_cndmask_b32_e64 v17, 0, v17, s[10:11]
	v_add_u32_e32 v2, v2, v17
	;; [unrolled: 4-line block ×4, first 2 shown]
	s_nop 1
	v_mov_b32_dpp v17, v2 row_bcast:15 row_mask:0xf bank_mask:0xf
	v_cndmask_b32_e64 v17, v17, 0, s[16:17]
	v_add_u32_e32 v2, v2, v17
	s_nop 1
	v_mov_b32_dpp v17, v2 row_bcast:31 row_mask:0xf bank_mask:0xf
	v_cndmask_b32_e64 v17, 0, v17, s[4:5]
	v_add_u32_e32 v2, v2, v17
	s_and_saveexec_b64 s[26:27], s[24:25]
; %bb.5:                                ;   in Loop: Header=BB273_2 Depth=1
	ds_write_b32 v7, v2
; %bb.6:                                ;   in Loop: Header=BB273_2 Depth=1
	s_or_b64 exec, exec, s[26:27]
	s_waitcnt lgkmcnt(0)
	s_barrier
	s_and_saveexec_b64 s[26:27], vcc
	s_cbranch_execz .LBB273_8
; %bb.7:                                ;   in Loop: Header=BB273_2 Depth=1
	ds_read_b32 v17, v8
	s_waitcnt lgkmcnt(0)
	s_nop 0
	v_mov_b32_dpp v18, v17 row_shr:1 row_mask:0xf bank_mask:0xf
	v_cndmask_b32_e64 v18, v18, 0, s[18:19]
	v_add_u32_e32 v17, v18, v17
	s_nop 1
	v_mov_b32_dpp v18, v17 row_shr:2 row_mask:0xf bank_mask:0xf
	v_cndmask_b32_e64 v18, 0, v18, s[20:21]
	v_add_u32_e32 v17, v17, v18
	;; [unrolled: 4-line block ×3, first 2 shown]
	ds_write_b32 v8, v17
.LBB273_8:                              ;   in Loop: Header=BB273_2 Depth=1
	s_or_b64 exec, exec, s[26:27]
	v_mov_b32_e32 v17, 0
	s_waitcnt lgkmcnt(0)
	s_barrier
	s_and_saveexec_b64 s[26:27], s[0:1]
	s_cbranch_execz .LBB273_1
; %bb.9:                                ;   in Loop: Header=BB273_2 Depth=1
	ds_read_b32 v17, v9
	s_branch .LBB273_1
.LBB273_10:
	s_add_u32 s0, s30, s33
	s_waitcnt lgkmcnt(0)
	v_add_u16_e32 v1, v13, v14
	s_addc_u32 s1, s31, 0
	v_add_u16_e32 v2, 0xff80, v1
	v_mov_b32_e32 v1, s1
	v_add_co_u32_e32 v0, vcc, s0, v0
	v_addc_co_u32_e32 v1, vcc, 0, v1, vcc
	global_store_byte v[0:1], v2, off
	s_endpgm
	.section	.rodata,"a",@progbits
	.p2align	6, 0x0
	.amdhsa_kernel _Z17sort_pairs_kernelI22helper_blocked_stripedaLj320ELj1ELj10EEvPKT0_PS1_
		.amdhsa_group_segment_fixed_size 5152
		.amdhsa_private_segment_fixed_size 0
		.amdhsa_kernarg_size 272
		.amdhsa_user_sgpr_count 6
		.amdhsa_user_sgpr_private_segment_buffer 1
		.amdhsa_user_sgpr_dispatch_ptr 0
		.amdhsa_user_sgpr_queue_ptr 0
		.amdhsa_user_sgpr_kernarg_segment_ptr 1
		.amdhsa_user_sgpr_dispatch_id 0
		.amdhsa_user_sgpr_flat_scratch_init 0
		.amdhsa_user_sgpr_private_segment_size 0
		.amdhsa_uses_dynamic_stack 0
		.amdhsa_system_sgpr_private_segment_wavefront_offset 0
		.amdhsa_system_sgpr_workgroup_id_x 1
		.amdhsa_system_sgpr_workgroup_id_y 0
		.amdhsa_system_sgpr_workgroup_id_z 0
		.amdhsa_system_sgpr_workgroup_info 0
		.amdhsa_system_vgpr_workitem_id 2
		.amdhsa_next_free_vgpr 19
		.amdhsa_next_free_sgpr 35
		.amdhsa_reserve_vcc 1
		.amdhsa_reserve_flat_scratch 0
		.amdhsa_float_round_mode_32 0
		.amdhsa_float_round_mode_16_64 0
		.amdhsa_float_denorm_mode_32 3
		.amdhsa_float_denorm_mode_16_64 3
		.amdhsa_dx10_clamp 1
		.amdhsa_ieee_mode 1
		.amdhsa_fp16_overflow 0
		.amdhsa_exception_fp_ieee_invalid_op 0
		.amdhsa_exception_fp_denorm_src 0
		.amdhsa_exception_fp_ieee_div_zero 0
		.amdhsa_exception_fp_ieee_overflow 0
		.amdhsa_exception_fp_ieee_underflow 0
		.amdhsa_exception_fp_ieee_inexact 0
		.amdhsa_exception_int_div_zero 0
	.end_amdhsa_kernel
	.section	.text._Z17sort_pairs_kernelI22helper_blocked_stripedaLj320ELj1ELj10EEvPKT0_PS1_,"axG",@progbits,_Z17sort_pairs_kernelI22helper_blocked_stripedaLj320ELj1ELj10EEvPKT0_PS1_,comdat
.Lfunc_end273:
	.size	_Z17sort_pairs_kernelI22helper_blocked_stripedaLj320ELj1ELj10EEvPKT0_PS1_, .Lfunc_end273-_Z17sort_pairs_kernelI22helper_blocked_stripedaLj320ELj1ELj10EEvPKT0_PS1_
                                        ; -- End function
	.set _Z17sort_pairs_kernelI22helper_blocked_stripedaLj320ELj1ELj10EEvPKT0_PS1_.num_vgpr, 19
	.set _Z17sort_pairs_kernelI22helper_blocked_stripedaLj320ELj1ELj10EEvPKT0_PS1_.num_agpr, 0
	.set _Z17sort_pairs_kernelI22helper_blocked_stripedaLj320ELj1ELj10EEvPKT0_PS1_.numbered_sgpr, 35
	.set _Z17sort_pairs_kernelI22helper_blocked_stripedaLj320ELj1ELj10EEvPKT0_PS1_.num_named_barrier, 0
	.set _Z17sort_pairs_kernelI22helper_blocked_stripedaLj320ELj1ELj10EEvPKT0_PS1_.private_seg_size, 0
	.set _Z17sort_pairs_kernelI22helper_blocked_stripedaLj320ELj1ELj10EEvPKT0_PS1_.uses_vcc, 1
	.set _Z17sort_pairs_kernelI22helper_blocked_stripedaLj320ELj1ELj10EEvPKT0_PS1_.uses_flat_scratch, 0
	.set _Z17sort_pairs_kernelI22helper_blocked_stripedaLj320ELj1ELj10EEvPKT0_PS1_.has_dyn_sized_stack, 0
	.set _Z17sort_pairs_kernelI22helper_blocked_stripedaLj320ELj1ELj10EEvPKT0_PS1_.has_recursion, 0
	.set _Z17sort_pairs_kernelI22helper_blocked_stripedaLj320ELj1ELj10EEvPKT0_PS1_.has_indirect_call, 0
	.section	.AMDGPU.csdata,"",@progbits
; Kernel info:
; codeLenInByte = 1280
; TotalNumSgprs: 39
; NumVgprs: 19
; ScratchSize: 0
; MemoryBound: 0
; FloatMode: 240
; IeeeMode: 1
; LDSByteSize: 5152 bytes/workgroup (compile time only)
; SGPRBlocks: 4
; VGPRBlocks: 4
; NumSGPRsForWavesPerEU: 39
; NumVGPRsForWavesPerEU: 19
; Occupancy: 10
; WaveLimiterHint : 0
; COMPUTE_PGM_RSRC2:SCRATCH_EN: 0
; COMPUTE_PGM_RSRC2:USER_SGPR: 6
; COMPUTE_PGM_RSRC2:TRAP_HANDLER: 0
; COMPUTE_PGM_RSRC2:TGID_X_EN: 1
; COMPUTE_PGM_RSRC2:TGID_Y_EN: 0
; COMPUTE_PGM_RSRC2:TGID_Z_EN: 0
; COMPUTE_PGM_RSRC2:TIDIG_COMP_CNT: 2
	.section	.text._Z16sort_keys_kernelI22helper_blocked_stripedaLj320ELj3ELj10EEvPKT0_PS1_,"axG",@progbits,_Z16sort_keys_kernelI22helper_blocked_stripedaLj320ELj3ELj10EEvPKT0_PS1_,comdat
	.protected	_Z16sort_keys_kernelI22helper_blocked_stripedaLj320ELj3ELj10EEvPKT0_PS1_ ; -- Begin function _Z16sort_keys_kernelI22helper_blocked_stripedaLj320ELj3ELj10EEvPKT0_PS1_
	.globl	_Z16sort_keys_kernelI22helper_blocked_stripedaLj320ELj3ELj10EEvPKT0_PS1_
	.p2align	8
	.type	_Z16sort_keys_kernelI22helper_blocked_stripedaLj320ELj3ELj10EEvPKT0_PS1_,@function
_Z16sort_keys_kernelI22helper_blocked_stripedaLj320ELj3ELj10EEvPKT0_PS1_: ; @_Z16sort_keys_kernelI22helper_blocked_stripedaLj320ELj3ELj10EEvPKT0_PS1_
; %bb.0:
	s_load_dwordx4 s[28:31], s[4:5], 0x0
	s_load_dword s24, s[4:5], 0x1c
	s_mul_i32 s33, s6, 0x3c0
	v_mul_u32_u24_e32 v6, 3, v0
	v_mbcnt_lo_u32_b32 v7, -1, 0
	s_waitcnt lgkmcnt(0)
	s_add_u32 s0, s28, s33
	s_addc_u32 s1, s29, 0
	global_load_ushort v4, v6, s[0:1]
	global_load_sbyte v5, v6, s[0:1] offset:2
	s_lshr_b32 s25, s24, 16
	s_and_b32 s24, s24, 0xffff
	v_mad_u32_u24 v1, v2, s25, v1
	v_mad_u64_u32 v[1:2], s[24:25], v1, s24, v[0:1]
	v_mbcnt_hi_u32_b32 v10, -1, v7
	v_and_b32_e32 v9, 0x1c0, v0
	v_subrev_co_u32_e64 v15, s[6:7], 1, v10
	v_and_b32_e32 v16, 64, v10
	v_lshrrev_b32_e32 v8, 6, v0
	v_and_b32_e32 v13, 15, v10
	v_and_b32_e32 v14, 16, v10
	v_min_u32_e32 v9, 0x100, v9
	v_cmp_lt_i32_e64 s[18:19], v15, v16
	v_mul_u32_u24_e32 v11, 0xc0, v8
	v_mul_u32_u24_e32 v12, 3, v10
	v_and_b32_e32 v17, 7, v10
	v_cmp_eq_u32_e64 s[8:9], 0, v13
	v_cmp_lt_u32_e64 s[10:11], 1, v13
	v_cmp_lt_u32_e64 s[12:13], 3, v13
	;; [unrolled: 1-line block ×3, first 2 shown]
	v_cmp_eq_u32_e64 s[16:17], 0, v14
	v_or_b32_e32 v13, 63, v9
	v_cndmask_b32_e64 v14, v15, v10, s[18:19]
	v_lshrrev_b32_e32 v1, 4, v1
	s_mov_b32 s34, 10
	v_mov_b32_e32 v3, 0
	v_lshlrev_b32_e32 v7, 4, v0
	v_cmp_gt_u32_e32 vcc, 5, v0
	v_cmp_lt_u32_e64 s[0:1], 63, v0
	v_cmp_eq_u32_e64 s[2:3], 0, v0
	v_cmp_lt_u32_e64 s[4:5], 31, v10
	v_lshlrev_b32_e32 v8, 2, v8
	v_cmp_eq_u32_e64 s[18:19], 0, v17
	v_cmp_lt_u32_e64 s[20:21], 1, v17
	v_cmp_lt_u32_e64 s[22:23], 3, v17
	v_add_u32_e32 v9, v12, v11
	v_add_u32_e32 v10, v10, v11
	v_cmp_eq_u32_e64 s[24:25], v0, v13
	v_lshlrev_b32_e32 v11, 2, v14
	v_and_b32_e32 v12, 0xffffffc, v1
	s_waitcnt vmcnt(1)
	v_lshrrev_b32_e32 v1, 8, v4
	s_branch .LBB274_2
.LBB274_1:                              ;   in Loop: Header=BB274_2 Depth=1
	s_or_b64 exec, exec, s[26:27]
	s_waitcnt lgkmcnt(0)
	v_add_u32_e32 v2, v24, v2
	ds_bpermute_b32 v2, v11, v2
	s_add_i32 s34, s34, -1
	s_cmp_eq_u32 s34, 0
	s_waitcnt lgkmcnt(0)
	v_cndmask_b32_e64 v2, v2, v24, s[6:7]
	v_cndmask_b32_e64 v2, v2, 0, s[2:3]
	v_add_u32_e32 v4, v2, v4
	v_add_u32_e32 v5, v4, v5
	;; [unrolled: 1-line block ×3, first 2 shown]
	ds_write2_b32 v7, v2, v4 offset0:5 offset1:6
	ds_write2_b32 v7, v5, v1 offset0:7 offset1:8
	s_waitcnt lgkmcnt(0)
	s_barrier
	ds_read_b32 v1, v17 offset:20
	ds_read_b32 v2, v20 offset:20
	;; [unrolled: 1-line block ×3, first 2 shown]
	s_waitcnt lgkmcnt(0)
	s_barrier
	v_add_u32_e32 v1, v1, v16
	ds_write_b8 v1, v15
	v_add3_u32 v1, v19, v18, v2
	ds_write_b8 v1, v14
	v_add3_u32 v1, v22, v21, v4
	ds_write_b8 v1, v13
	s_waitcnt lgkmcnt(0)
	s_barrier
	ds_read_u8 v1, v0
	ds_read_u8 v2, v0 offset:320
	ds_read_u8 v5, v0 offset:640
	s_waitcnt lgkmcnt(2)
	v_xor_b32_e32 v4, 0xffffff80, v1
	s_waitcnt lgkmcnt(1)
	v_xor_b32_e32 v1, 0xffffff80, v2
	;; [unrolled: 2-line block ×3, first 2 shown]
	s_cbranch_scc1 .LBB274_14
.LBB274_2:                              ; =>This Inner Loop Header: Depth=1
	v_xor_b32_e32 v2, 0x80, v4
	v_xor_b32_e32 v1, 0x80, v1
	s_waitcnt vmcnt(0)
	v_xor_b32_e32 v4, 0x80, v5
	ds_write_b8 v9, v2
	ds_write_b8 v9, v1 offset:1
	ds_write_b8 v9, v4 offset:2
	; wave barrier
	ds_read_u8 v15, v10
	ds_read_u8 v14, v10 offset:64
	ds_read_u8 v13, v10 offset:128
	v_mov_b32_e32 v1, 20
	s_waitcnt lgkmcnt(2)
	v_mul_u32_u24_sdwa v5, v15, v1 dst_sel:DWORD dst_unused:UNUSED_PAD src0_sel:BYTE_0 src1_sel:DWORD
	v_and_b32_e32 v1, 1, v15
	v_add_co_u32_e64 v2, s[26:27], -1, v1
	v_addc_co_u32_e64 v4, s[26:27], 0, -1, s[26:27]
	v_cmp_ne_u32_e64 s[26:27], 0, v1
	v_xor_b32_e32 v1, s27, v4
	v_lshlrev_b32_e32 v4, 30, v15
	v_xor_b32_e32 v2, s26, v2
	v_cmp_gt_i64_e64 s[26:27], 0, v[3:4]
	v_not_b32_e32 v4, v4
	v_ashrrev_i32_e32 v4, 31, v4
	v_and_b32_e32 v2, exec_lo, v2
	v_xor_b32_e32 v16, s27, v4
	v_xor_b32_e32 v4, s26, v4
	v_and_b32_e32 v2, v2, v4
	v_lshlrev_b32_e32 v4, 29, v15
	v_cmp_gt_i64_e64 s[26:27], 0, v[3:4]
	v_not_b32_e32 v4, v4
	v_and_b32_e32 v1, exec_hi, v1
	v_ashrrev_i32_e32 v4, 31, v4
	v_and_b32_e32 v1, v1, v16
	v_xor_b32_e32 v16, s27, v4
	v_xor_b32_e32 v4, s26, v4
	v_and_b32_e32 v2, v2, v4
	v_lshlrev_b32_e32 v4, 28, v15
	v_cmp_gt_i64_e64 s[26:27], 0, v[3:4]
	v_not_b32_e32 v4, v4
	v_ashrrev_i32_e32 v4, 31, v4
	v_and_b32_e32 v1, v1, v16
	v_xor_b32_e32 v16, s27, v4
	v_xor_b32_e32 v4, s26, v4
	v_and_b32_e32 v2, v2, v4
	v_lshlrev_b32_e32 v4, 27, v15
	v_cmp_gt_i64_e64 s[26:27], 0, v[3:4]
	v_not_b32_e32 v4, v4
	;; [unrolled: 8-line block ×4, first 2 shown]
	v_ashrrev_i32_e32 v4, 31, v4
	v_and_b32_e32 v1, v1, v16
	v_xor_b32_e32 v16, s27, v4
	v_xor_b32_e32 v4, s26, v4
	v_and_b32_e32 v1, v1, v16
	v_and_b32_e32 v16, v2, v4
	v_lshlrev_b32_e32 v4, 24, v15
	v_cmp_gt_i64_e64 s[26:27], 0, v[3:4]
	v_not_b32_e32 v2, v4
	v_ashrrev_i32_e32 v2, 31, v2
	v_xor_b32_e32 v4, s27, v2
	v_xor_b32_e32 v17, s26, v2
	v_and_b32_e32 v2, v1, v4
	v_and_b32_e32 v1, v16, v17
	v_mbcnt_lo_u32_b32 v4, v1, 0
	v_mbcnt_hi_u32_b32 v16, v2, v4
	v_cmp_ne_u64_e64 s[26:27], 0, v[1:2]
	v_cmp_eq_u32_e64 s[28:29], 0, v16
	s_and_b64 s[28:29], s[26:27], s[28:29]
	v_add_u32_e32 v17, v12, v5
	; wave barrier
	; wave barrier
	s_waitcnt lgkmcnt(0)
	s_barrier
	ds_write2_b32 v7, v3, v3 offset0:5 offset1:6
	ds_write2_b32 v7, v3, v3 offset0:7 offset1:8
	s_waitcnt lgkmcnt(0)
	s_barrier
	; wave barrier
	s_and_saveexec_b64 s[26:27], s[28:29]
; %bb.3:                                ;   in Loop: Header=BB274_2 Depth=1
	v_bcnt_u32_b32 v1, v1, 0
	v_bcnt_u32_b32 v1, v2, v1
	ds_write_b32 v17, v1 offset:20
; %bb.4:                                ;   in Loop: Header=BB274_2 Depth=1
	s_or_b64 exec, exec, s[26:27]
	v_and_b32_e32 v1, 0xff, v14
	v_mul_u32_u24_e32 v5, 20, v1
	v_mad_u32_u24 v1, v1, 20, v12
	; wave barrier
	ds_read_b32 v18, v1 offset:20
	v_and_b32_e32 v1, 1, v14
	v_add_co_u32_e64 v2, s[26:27], -1, v1
	v_addc_co_u32_e64 v4, s[26:27], 0, -1, s[26:27]
	v_cmp_ne_u32_e64 s[26:27], 0, v1
	v_xor_b32_e32 v1, s27, v4
	v_lshlrev_b32_e32 v4, 30, v14
	v_xor_b32_e32 v2, s26, v2
	v_cmp_gt_i64_e64 s[26:27], 0, v[3:4]
	v_not_b32_e32 v4, v4
	v_ashrrev_i32_e32 v4, 31, v4
	v_and_b32_e32 v2, exec_lo, v2
	v_xor_b32_e32 v19, s27, v4
	v_xor_b32_e32 v4, s26, v4
	v_and_b32_e32 v2, v2, v4
	v_lshlrev_b32_e32 v4, 29, v14
	v_cmp_gt_i64_e64 s[26:27], 0, v[3:4]
	v_not_b32_e32 v4, v4
	v_and_b32_e32 v1, exec_hi, v1
	v_ashrrev_i32_e32 v4, 31, v4
	v_and_b32_e32 v1, v1, v19
	v_xor_b32_e32 v19, s27, v4
	v_xor_b32_e32 v4, s26, v4
	v_and_b32_e32 v2, v2, v4
	v_lshlrev_b32_e32 v4, 28, v14
	v_cmp_gt_i64_e64 s[26:27], 0, v[3:4]
	v_not_b32_e32 v4, v4
	v_ashrrev_i32_e32 v4, 31, v4
	v_and_b32_e32 v1, v1, v19
	v_xor_b32_e32 v19, s27, v4
	v_xor_b32_e32 v4, s26, v4
	v_and_b32_e32 v2, v2, v4
	v_lshlrev_b32_e32 v4, 27, v14
	v_cmp_gt_i64_e64 s[26:27], 0, v[3:4]
	v_not_b32_e32 v4, v4
	v_ashrrev_i32_e32 v4, 31, v4
	v_and_b32_e32 v1, v1, v19
	v_xor_b32_e32 v19, s27, v4
	v_xor_b32_e32 v4, s26, v4
	v_and_b32_e32 v2, v2, v4
	v_lshlrev_b32_e32 v4, 26, v14
	v_cmp_gt_i64_e64 s[26:27], 0, v[3:4]
	v_not_b32_e32 v4, v4
	v_ashrrev_i32_e32 v4, 31, v4
	v_and_b32_e32 v1, v1, v19
	v_xor_b32_e32 v19, s27, v4
	v_xor_b32_e32 v4, s26, v4
	v_and_b32_e32 v2, v2, v4
	v_lshlrev_b32_e32 v4, 25, v14
	v_cmp_gt_i64_e64 s[26:27], 0, v[3:4]
	v_not_b32_e32 v4, v4
	v_ashrrev_i32_e32 v4, 31, v4
	v_and_b32_e32 v1, v1, v19
	v_xor_b32_e32 v19, s27, v4
	v_xor_b32_e32 v4, s26, v4
	v_and_b32_e32 v1, v1, v19
	v_and_b32_e32 v19, v2, v4
	v_lshlrev_b32_e32 v4, 24, v14
	v_cmp_gt_i64_e64 s[26:27], 0, v[3:4]
	v_not_b32_e32 v2, v4
	v_ashrrev_i32_e32 v2, 31, v2
	v_xor_b32_e32 v4, s27, v2
	v_xor_b32_e32 v20, s26, v2
	v_and_b32_e32 v2, v1, v4
	v_and_b32_e32 v1, v19, v20
	v_mbcnt_lo_u32_b32 v4, v1, 0
	v_mbcnt_hi_u32_b32 v19, v2, v4
	v_cmp_ne_u64_e64 s[26:27], 0, v[1:2]
	v_cmp_eq_u32_e64 s[28:29], 0, v19
	s_and_b64 s[28:29], s[26:27], s[28:29]
	v_add_u32_e32 v20, v12, v5
	; wave barrier
	s_and_saveexec_b64 s[26:27], s[28:29]
	s_cbranch_execz .LBB274_6
; %bb.5:                                ;   in Loop: Header=BB274_2 Depth=1
	v_bcnt_u32_b32 v1, v1, 0
	v_bcnt_u32_b32 v1, v2, v1
	s_waitcnt lgkmcnt(0)
	v_add_u32_e32 v1, v18, v1
	ds_write_b32 v20, v1 offset:20
.LBB274_6:                              ;   in Loop: Header=BB274_2 Depth=1
	s_or_b64 exec, exec, s[26:27]
	v_and_b32_e32 v1, 0xff, v13
	v_mul_u32_u24_e32 v5, 20, v1
	v_mad_u32_u24 v1, v1, 20, v12
	; wave barrier
	ds_read_b32 v21, v1 offset:20
	v_and_b32_e32 v1, 1, v13
	v_add_co_u32_e64 v2, s[26:27], -1, v1
	v_addc_co_u32_e64 v4, s[26:27], 0, -1, s[26:27]
	v_cmp_ne_u32_e64 s[26:27], 0, v1
	v_xor_b32_e32 v1, s27, v4
	v_lshlrev_b32_e32 v4, 30, v13
	v_xor_b32_e32 v2, s26, v2
	v_cmp_gt_i64_e64 s[26:27], 0, v[3:4]
	v_not_b32_e32 v4, v4
	v_ashrrev_i32_e32 v4, 31, v4
	v_and_b32_e32 v2, exec_lo, v2
	v_xor_b32_e32 v22, s27, v4
	v_xor_b32_e32 v4, s26, v4
	v_and_b32_e32 v2, v2, v4
	v_lshlrev_b32_e32 v4, 29, v13
	v_cmp_gt_i64_e64 s[26:27], 0, v[3:4]
	v_not_b32_e32 v4, v4
	v_and_b32_e32 v1, exec_hi, v1
	v_ashrrev_i32_e32 v4, 31, v4
	v_and_b32_e32 v1, v1, v22
	v_xor_b32_e32 v22, s27, v4
	v_xor_b32_e32 v4, s26, v4
	v_and_b32_e32 v2, v2, v4
	v_lshlrev_b32_e32 v4, 28, v13
	v_cmp_gt_i64_e64 s[26:27], 0, v[3:4]
	v_not_b32_e32 v4, v4
	v_ashrrev_i32_e32 v4, 31, v4
	v_and_b32_e32 v1, v1, v22
	v_xor_b32_e32 v22, s27, v4
	v_xor_b32_e32 v4, s26, v4
	v_and_b32_e32 v2, v2, v4
	v_lshlrev_b32_e32 v4, 27, v13
	v_cmp_gt_i64_e64 s[26:27], 0, v[3:4]
	v_not_b32_e32 v4, v4
	v_ashrrev_i32_e32 v4, 31, v4
	v_and_b32_e32 v1, v1, v22
	v_xor_b32_e32 v22, s27, v4
	v_xor_b32_e32 v4, s26, v4
	v_and_b32_e32 v2, v2, v4
	v_lshlrev_b32_e32 v4, 26, v13
	v_cmp_gt_i64_e64 s[26:27], 0, v[3:4]
	v_not_b32_e32 v4, v4
	v_ashrrev_i32_e32 v4, 31, v4
	v_and_b32_e32 v1, v1, v22
	v_xor_b32_e32 v22, s27, v4
	v_xor_b32_e32 v4, s26, v4
	v_and_b32_e32 v2, v2, v4
	v_lshlrev_b32_e32 v4, 25, v13
	v_cmp_gt_i64_e64 s[26:27], 0, v[3:4]
	v_not_b32_e32 v4, v4
	v_ashrrev_i32_e32 v4, 31, v4
	v_and_b32_e32 v1, v1, v22
	v_xor_b32_e32 v22, s27, v4
	v_xor_b32_e32 v4, s26, v4
	v_and_b32_e32 v1, v1, v22
	v_and_b32_e32 v22, v2, v4
	v_lshlrev_b32_e32 v4, 24, v13
	v_cmp_gt_i64_e64 s[26:27], 0, v[3:4]
	v_not_b32_e32 v2, v4
	v_ashrrev_i32_e32 v2, 31, v2
	v_xor_b32_e32 v4, s27, v2
	v_xor_b32_e32 v23, s26, v2
	v_and_b32_e32 v2, v1, v4
	v_and_b32_e32 v1, v22, v23
	v_mbcnt_lo_u32_b32 v4, v1, 0
	v_mbcnt_hi_u32_b32 v22, v2, v4
	v_cmp_ne_u64_e64 s[26:27], 0, v[1:2]
	v_cmp_eq_u32_e64 s[28:29], 0, v22
	s_and_b64 s[28:29], s[26:27], s[28:29]
	v_add_u32_e32 v23, v12, v5
	; wave barrier
	s_and_saveexec_b64 s[26:27], s[28:29]
	s_cbranch_execz .LBB274_8
; %bb.7:                                ;   in Loop: Header=BB274_2 Depth=1
	v_bcnt_u32_b32 v1, v1, 0
	v_bcnt_u32_b32 v1, v2, v1
	s_waitcnt lgkmcnt(0)
	v_add_u32_e32 v1, v21, v1
	ds_write_b32 v23, v1 offset:20
.LBB274_8:                              ;   in Loop: Header=BB274_2 Depth=1
	s_or_b64 exec, exec, s[26:27]
	; wave barrier
	s_waitcnt lgkmcnt(0)
	s_barrier
	ds_read2_b32 v[4:5], v7 offset0:5 offset1:6
	ds_read2_b32 v[1:2], v7 offset0:7 offset1:8
	s_waitcnt lgkmcnt(1)
	v_add_u32_e32 v24, v5, v4
	s_waitcnt lgkmcnt(0)
	v_add3_u32 v2, v24, v1, v2
	s_nop 1
	v_mov_b32_dpp v24, v2 row_shr:1 row_mask:0xf bank_mask:0xf
	v_cndmask_b32_e64 v24, v24, 0, s[8:9]
	v_add_u32_e32 v2, v24, v2
	s_nop 1
	v_mov_b32_dpp v24, v2 row_shr:2 row_mask:0xf bank_mask:0xf
	v_cndmask_b32_e64 v24, 0, v24, s[10:11]
	v_add_u32_e32 v2, v2, v24
	;; [unrolled: 4-line block ×4, first 2 shown]
	s_nop 1
	v_mov_b32_dpp v24, v2 row_bcast:15 row_mask:0xf bank_mask:0xf
	v_cndmask_b32_e64 v24, v24, 0, s[16:17]
	v_add_u32_e32 v2, v2, v24
	s_nop 1
	v_mov_b32_dpp v24, v2 row_bcast:31 row_mask:0xf bank_mask:0xf
	v_cndmask_b32_e64 v24, 0, v24, s[4:5]
	v_add_u32_e32 v2, v2, v24
	s_and_saveexec_b64 s[26:27], s[24:25]
; %bb.9:                                ;   in Loop: Header=BB274_2 Depth=1
	ds_write_b32 v8, v2
; %bb.10:                               ;   in Loop: Header=BB274_2 Depth=1
	s_or_b64 exec, exec, s[26:27]
	s_waitcnt lgkmcnt(0)
	s_barrier
	s_and_saveexec_b64 s[26:27], vcc
	s_cbranch_execz .LBB274_12
; %bb.11:                               ;   in Loop: Header=BB274_2 Depth=1
	v_add_u32_e32 v24, v0, v6
	ds_read_b32 v25, v24
	s_waitcnt lgkmcnt(0)
	s_nop 0
	v_mov_b32_dpp v26, v25 row_shr:1 row_mask:0xf bank_mask:0xf
	v_cndmask_b32_e64 v26, v26, 0, s[18:19]
	v_add_u32_e32 v25, v26, v25
	s_nop 1
	v_mov_b32_dpp v26, v25 row_shr:2 row_mask:0xf bank_mask:0xf
	v_cndmask_b32_e64 v26, 0, v26, s[20:21]
	v_add_u32_e32 v25, v25, v26
	;; [unrolled: 4-line block ×3, first 2 shown]
	ds_write_b32 v24, v25
.LBB274_12:                             ;   in Loop: Header=BB274_2 Depth=1
	s_or_b64 exec, exec, s[26:27]
	v_mov_b32_e32 v24, 0
	s_waitcnt lgkmcnt(0)
	s_barrier
	s_and_saveexec_b64 s[26:27], s[0:1]
	s_cbranch_execz .LBB274_1
; %bb.13:                               ;   in Loop: Header=BB274_2 Depth=1
	v_add_u32_e32 v24, -4, v8
	ds_read_b32 v24, v24
	s_branch .LBB274_1
.LBB274_14:
	s_add_u32 s0, s30, s33
	s_addc_u32 s1, s31, 0
	global_store_byte v0, v4, s[0:1]
	global_store_byte v0, v1, s[0:1] offset:320
	global_store_byte v0, v5, s[0:1] offset:640
	s_endpgm
	.section	.rodata,"a",@progbits
	.p2align	6, 0x0
	.amdhsa_kernel _Z16sort_keys_kernelI22helper_blocked_stripedaLj320ELj3ELj10EEvPKT0_PS1_
		.amdhsa_group_segment_fixed_size 5152
		.amdhsa_private_segment_fixed_size 0
		.amdhsa_kernarg_size 272
		.amdhsa_user_sgpr_count 6
		.amdhsa_user_sgpr_private_segment_buffer 1
		.amdhsa_user_sgpr_dispatch_ptr 0
		.amdhsa_user_sgpr_queue_ptr 0
		.amdhsa_user_sgpr_kernarg_segment_ptr 1
		.amdhsa_user_sgpr_dispatch_id 0
		.amdhsa_user_sgpr_flat_scratch_init 0
		.amdhsa_user_sgpr_private_segment_size 0
		.amdhsa_uses_dynamic_stack 0
		.amdhsa_system_sgpr_private_segment_wavefront_offset 0
		.amdhsa_system_sgpr_workgroup_id_x 1
		.amdhsa_system_sgpr_workgroup_id_y 0
		.amdhsa_system_sgpr_workgroup_id_z 0
		.amdhsa_system_sgpr_workgroup_info 0
		.amdhsa_system_vgpr_workitem_id 2
		.amdhsa_next_free_vgpr 27
		.amdhsa_next_free_sgpr 35
		.amdhsa_reserve_vcc 1
		.amdhsa_reserve_flat_scratch 0
		.amdhsa_float_round_mode_32 0
		.amdhsa_float_round_mode_16_64 0
		.amdhsa_float_denorm_mode_32 3
		.amdhsa_float_denorm_mode_16_64 3
		.amdhsa_dx10_clamp 1
		.amdhsa_ieee_mode 1
		.amdhsa_fp16_overflow 0
		.amdhsa_exception_fp_ieee_invalid_op 0
		.amdhsa_exception_fp_denorm_src 0
		.amdhsa_exception_fp_ieee_div_zero 0
		.amdhsa_exception_fp_ieee_overflow 0
		.amdhsa_exception_fp_ieee_underflow 0
		.amdhsa_exception_fp_ieee_inexact 0
		.amdhsa_exception_int_div_zero 0
	.end_amdhsa_kernel
	.section	.text._Z16sort_keys_kernelI22helper_blocked_stripedaLj320ELj3ELj10EEvPKT0_PS1_,"axG",@progbits,_Z16sort_keys_kernelI22helper_blocked_stripedaLj320ELj3ELj10EEvPKT0_PS1_,comdat
.Lfunc_end274:
	.size	_Z16sort_keys_kernelI22helper_blocked_stripedaLj320ELj3ELj10EEvPKT0_PS1_, .Lfunc_end274-_Z16sort_keys_kernelI22helper_blocked_stripedaLj320ELj3ELj10EEvPKT0_PS1_
                                        ; -- End function
	.set _Z16sort_keys_kernelI22helper_blocked_stripedaLj320ELj3ELj10EEvPKT0_PS1_.num_vgpr, 27
	.set _Z16sort_keys_kernelI22helper_blocked_stripedaLj320ELj3ELj10EEvPKT0_PS1_.num_agpr, 0
	.set _Z16sort_keys_kernelI22helper_blocked_stripedaLj320ELj3ELj10EEvPKT0_PS1_.numbered_sgpr, 35
	.set _Z16sort_keys_kernelI22helper_blocked_stripedaLj320ELj3ELj10EEvPKT0_PS1_.num_named_barrier, 0
	.set _Z16sort_keys_kernelI22helper_blocked_stripedaLj320ELj3ELj10EEvPKT0_PS1_.private_seg_size, 0
	.set _Z16sort_keys_kernelI22helper_blocked_stripedaLj320ELj3ELj10EEvPKT0_PS1_.uses_vcc, 1
	.set _Z16sort_keys_kernelI22helper_blocked_stripedaLj320ELj3ELj10EEvPKT0_PS1_.uses_flat_scratch, 0
	.set _Z16sort_keys_kernelI22helper_blocked_stripedaLj320ELj3ELj10EEvPKT0_PS1_.has_dyn_sized_stack, 0
	.set _Z16sort_keys_kernelI22helper_blocked_stripedaLj320ELj3ELj10EEvPKT0_PS1_.has_recursion, 0
	.set _Z16sort_keys_kernelI22helper_blocked_stripedaLj320ELj3ELj10EEvPKT0_PS1_.has_indirect_call, 0
	.section	.AMDGPU.csdata,"",@progbits
; Kernel info:
; codeLenInByte = 2260
; TotalNumSgprs: 39
; NumVgprs: 27
; ScratchSize: 0
; MemoryBound: 0
; FloatMode: 240
; IeeeMode: 1
; LDSByteSize: 5152 bytes/workgroup (compile time only)
; SGPRBlocks: 4
; VGPRBlocks: 6
; NumSGPRsForWavesPerEU: 39
; NumVGPRsForWavesPerEU: 27
; Occupancy: 9
; WaveLimiterHint : 1
; COMPUTE_PGM_RSRC2:SCRATCH_EN: 0
; COMPUTE_PGM_RSRC2:USER_SGPR: 6
; COMPUTE_PGM_RSRC2:TRAP_HANDLER: 0
; COMPUTE_PGM_RSRC2:TGID_X_EN: 1
; COMPUTE_PGM_RSRC2:TGID_Y_EN: 0
; COMPUTE_PGM_RSRC2:TGID_Z_EN: 0
; COMPUTE_PGM_RSRC2:TIDIG_COMP_CNT: 2
	.section	.text._Z17sort_pairs_kernelI22helper_blocked_stripedaLj320ELj3ELj10EEvPKT0_PS1_,"axG",@progbits,_Z17sort_pairs_kernelI22helper_blocked_stripedaLj320ELj3ELj10EEvPKT0_PS1_,comdat
	.protected	_Z17sort_pairs_kernelI22helper_blocked_stripedaLj320ELj3ELj10EEvPKT0_PS1_ ; -- Begin function _Z17sort_pairs_kernelI22helper_blocked_stripedaLj320ELj3ELj10EEvPKT0_PS1_
	.globl	_Z17sort_pairs_kernelI22helper_blocked_stripedaLj320ELj3ELj10EEvPKT0_PS1_
	.p2align	8
	.type	_Z17sort_pairs_kernelI22helper_blocked_stripedaLj320ELj3ELj10EEvPKT0_PS1_,@function
_Z17sort_pairs_kernelI22helper_blocked_stripedaLj320ELj3ELj10EEvPKT0_PS1_: ; @_Z17sort_pairs_kernelI22helper_blocked_stripedaLj320ELj3ELj10EEvPKT0_PS1_
; %bb.0:
	s_load_dwordx4 s[28:31], s[4:5], 0x0
	s_load_dword s24, s[4:5], 0x1c
	s_mul_i32 s33, s6, 0x3c0
	v_mul_u32_u24_e32 v6, 3, v0
	v_mbcnt_lo_u32_b32 v7, -1, 0
	s_waitcnt lgkmcnt(0)
	s_add_u32 s0, s28, s33
	s_addc_u32 s1, s29, 0
	global_load_ushort v4, v6, s[0:1]
	global_load_sbyte v5, v6, s[0:1] offset:2
	s_lshr_b32 s25, s24, 16
	s_and_b32 s24, s24, 0xffff
	v_mad_u32_u24 v1, v2, s25, v1
	v_mad_u64_u32 v[1:2], s[24:25], v1, s24, v[0:1]
	v_mbcnt_hi_u32_b32 v10, -1, v7
	v_and_b32_e32 v9, 0x1c0, v0
	v_lshrrev_b32_e32 v8, 6, v0
	v_and_b32_e32 v15, 16, v10
	v_min_u32_e32 v9, 0x100, v9
	v_mul_u32_u24_e32 v11, 0xc0, v8
	v_mul_u32_u24_e32 v12, 3, v10
	v_cmp_eq_u32_e64 s[16:17], 0, v15
	v_or_b32_e32 v15, 63, v9
	v_lshrrev_b32_e32 v1, 4, v1
	v_and_b32_e32 v14, 15, v10
	v_subrev_co_u32_e64 v16, s[6:7], 1, v10
	v_and_b32_e32 v17, 64, v10
	v_add_u32_e32 v9, v12, v11
	v_cmp_eq_u32_e64 s[24:25], v0, v15
	v_and_b32_e32 v12, 0xffffffc, v1
	v_cmp_eq_u32_e64 s[8:9], 0, v14
	v_cmp_lt_u32_e64 s[10:11], 1, v14
	v_cmp_lt_u32_e64 s[12:13], 3, v14
	;; [unrolled: 1-line block ×3, first 2 shown]
	v_and_b32_e32 v14, 7, v10
	v_cmp_lt_i32_e64 s[18:19], v16, v17
	v_mov_b32_e32 v13, 8
	v_cndmask_b32_e64 v16, v16, v10, s[18:19]
	v_cmp_eq_u32_e64 s[18:19], 0, v14
	v_cmp_lt_u32_e64 s[20:21], 1, v14
	v_cmp_lt_u32_e64 s[22:23], 3, v14
	s_mov_b32 s34, 10
	v_mov_b32_e32 v3, 0
	s_mov_b32 s35, 0xc0c0004
	v_lshlrev_b32_e32 v7, 4, v0
	v_cmp_gt_u32_e32 vcc, 5, v0
	v_cmp_lt_u32_e64 s[0:1], 63, v0
	v_cmp_eq_u32_e64 s[2:3], 0, v0
	v_cmp_lt_u32_e64 s[4:5], 31, v10
	v_lshlrev_b32_e32 v8, 2, v8
	v_add_u32_e32 v10, v10, v11
	v_lshlrev_b32_e32 v11, 2, v16
	s_waitcnt vmcnt(1)
	v_lshrrev_b32_e32 v2, 8, v4
	v_add_u16_e32 v1, 1, v4
	v_lshlrev_b16_e32 v15, 8, v2
	v_or_b32_sdwa v1, v15, v1 dst_sel:DWORD dst_unused:UNUSED_PAD src0_sel:DWORD src1_sel:BYTE_0
	s_waitcnt vmcnt(0)
	v_add_u16_e32 v14, 1, v5
	v_add_u16_e32 v1, 0x100, v1
	v_and_b32_e32 v14, 0xff, v14
	v_lshrrev_b32_sdwa v13, v13, v1 dst_sel:BYTE_1 dst_unused:UNUSED_PAD src0_sel:DWORD src1_sel:DWORD
	v_lshlrev_b32_e32 v14, 16, v14
	v_or_b32_sdwa v1, v1, v13 dst_sel:DWORD dst_unused:UNUSED_PAD src0_sel:BYTE_0 src1_sel:DWORD
	v_or_b32_sdwa v1, v1, v14 dst_sel:DWORD dst_unused:UNUSED_PAD src0_sel:WORD_0 src1_sel:DWORD
	v_mov_b32_e32 v13, 20
	s_branch .LBB275_2
.LBB275_1:                              ;   in Loop: Header=BB275_2 Depth=1
	s_or_b64 exec, exec, s[26:27]
	s_waitcnt lgkmcnt(0)
	v_add_u32_e32 v2, v28, v2
	ds_bpermute_b32 v2, v11, v2
	s_add_i32 s34, s34, -1
	s_cmp_eq_u32 s34, 0
	s_waitcnt lgkmcnt(0)
	v_cndmask_b32_e64 v2, v2, v28, s[6:7]
	v_cndmask_b32_e64 v2, v2, 0, s[2:3]
	v_add_u32_e32 v4, v2, v4
	v_add_u32_e32 v5, v4, v5
	;; [unrolled: 1-line block ×3, first 2 shown]
	ds_write2_b32 v7, v2, v4 offset0:5 offset1:6
	ds_write2_b32 v7, v5, v1 offset0:7 offset1:8
	s_waitcnt lgkmcnt(0)
	s_barrier
	ds_read_b32 v1, v21 offset:20
	ds_read_b32 v2, v24 offset:20
	;; [unrolled: 1-line block ×3, first 2 shown]
	s_waitcnt lgkmcnt(0)
	s_barrier
	v_add_u32_e32 v1, v1, v20
	v_add3_u32 v2, v23, v22, v2
	v_add3_u32 v4, v26, v25, v4
	ds_write_b8 v1, v16
	ds_write_b8 v2, v15
	ds_write_b8 v4, v14
	s_waitcnt lgkmcnt(0)
	s_barrier
	ds_read_u8 v5, v0
	ds_read_u8 v20, v0 offset:320
	ds_read_u8 v21, v0 offset:640
	s_waitcnt lgkmcnt(0)
	s_barrier
	ds_write_b8 v1, v17
	ds_write_b8 v2, v18
	;; [unrolled: 1-line block ×3, first 2 shown]
	s_waitcnt lgkmcnt(0)
	s_barrier
	ds_read_u8 v14, v0
	ds_read_u8 v15, v0 offset:320
	ds_read_u8 v16, v0 offset:640
	v_xor_b32_e32 v4, 0xffffff80, v5
	v_xor_b32_e32 v5, 0xffffff80, v21
	s_waitcnt lgkmcnt(1)
	v_perm_b32 v1, v14, v15, s35
	s_waitcnt lgkmcnt(0)
	v_lshlrev_b32_e32 v2, 16, v16
	v_or_b32_e32 v1, v1, v2
	v_xor_b32_e32 v2, 0xffffff80, v20
	s_cbranch_scc1 .LBB275_14
.LBB275_2:                              ; =>This Inner Loop Header: Depth=1
	v_xor_b32_e32 v4, 0x80, v4
	v_xor_b32_e32 v2, 0x80, v2
	;; [unrolled: 1-line block ×3, first 2 shown]
	ds_write_b8 v9, v4
	ds_write_b8 v9, v2 offset:1
	ds_write_b8 v9, v5 offset:2
	; wave barrier
	ds_read_u8 v16, v10
	ds_read_u8 v15, v10 offset:64
	ds_read_u8 v14, v10 offset:128
	v_lshrrev_b32_e32 v2, 8, v1
	; wave barrier
	ds_write_b8 v9, v1
	ds_write_b8 v9, v2 offset:1
	ds_write_b8_d16_hi v9, v1 offset:2
	s_waitcnt lgkmcnt(5)
	v_and_b32_e32 v1, 1, v16
	v_add_co_u32_e64 v2, s[26:27], -1, v1
	v_addc_co_u32_e64 v4, s[26:27], 0, -1, s[26:27]
	v_cmp_ne_u32_e64 s[26:27], 0, v1
	v_xor_b32_e32 v1, s27, v4
	v_lshlrev_b32_e32 v4, 30, v16
	v_xor_b32_e32 v2, s26, v2
	v_cmp_gt_i64_e64 s[26:27], 0, v[3:4]
	v_not_b32_e32 v4, v4
	v_ashrrev_i32_e32 v4, 31, v4
	v_and_b32_e32 v2, exec_lo, v2
	v_xor_b32_e32 v20, s27, v4
	v_xor_b32_e32 v4, s26, v4
	v_and_b32_e32 v2, v2, v4
	v_lshlrev_b32_e32 v4, 29, v16
	v_cmp_gt_i64_e64 s[26:27], 0, v[3:4]
	v_not_b32_e32 v4, v4
	v_and_b32_e32 v1, exec_hi, v1
	v_ashrrev_i32_e32 v4, 31, v4
	v_and_b32_e32 v1, v1, v20
	v_xor_b32_e32 v20, s27, v4
	v_xor_b32_e32 v4, s26, v4
	v_and_b32_e32 v2, v2, v4
	v_lshlrev_b32_e32 v4, 28, v16
	v_cmp_gt_i64_e64 s[26:27], 0, v[3:4]
	v_not_b32_e32 v4, v4
	v_ashrrev_i32_e32 v4, 31, v4
	v_and_b32_e32 v1, v1, v20
	v_xor_b32_e32 v20, s27, v4
	v_xor_b32_e32 v4, s26, v4
	v_and_b32_e32 v2, v2, v4
	v_lshlrev_b32_e32 v4, 27, v16
	v_cmp_gt_i64_e64 s[26:27], 0, v[3:4]
	v_not_b32_e32 v4, v4
	;; [unrolled: 8-line block ×4, first 2 shown]
	v_ashrrev_i32_e32 v4, 31, v4
	v_and_b32_e32 v1, v1, v20
	v_xor_b32_e32 v20, s27, v4
	v_xor_b32_e32 v4, s26, v4
	v_and_b32_e32 v1, v1, v20
	v_and_b32_e32 v20, v2, v4
	v_lshlrev_b32_e32 v4, 24, v16
	v_cmp_gt_i64_e64 s[26:27], 0, v[3:4]
	v_not_b32_e32 v2, v4
	v_ashrrev_i32_e32 v2, 31, v2
	; wave barrier
	ds_read_u8 v17, v10
	ds_read_u8 v18, v10 offset:64
	ds_read_u8 v19, v10 offset:128
	v_xor_b32_e32 v4, s27, v2
	v_xor_b32_e32 v21, s26, v2
	v_and_b32_e32 v2, v1, v4
	v_and_b32_e32 v1, v20, v21
	v_mbcnt_lo_u32_b32 v4, v1, 0
	v_mbcnt_hi_u32_b32 v20, v2, v4
	v_cmp_ne_u64_e64 s[26:27], 0, v[1:2]
	v_mul_u32_u24_sdwa v5, v16, v13 dst_sel:DWORD dst_unused:UNUSED_PAD src0_sel:BYTE_0 src1_sel:DWORD
	v_cmp_eq_u32_e64 s[28:29], 0, v20
	s_and_b64 s[28:29], s[26:27], s[28:29]
	v_add_u32_e32 v21, v12, v5
	s_waitcnt lgkmcnt(0)
	s_barrier
	ds_write2_b32 v7, v3, v3 offset0:5 offset1:6
	ds_write2_b32 v7, v3, v3 offset0:7 offset1:8
	s_waitcnt lgkmcnt(0)
	s_barrier
	; wave barrier
	s_and_saveexec_b64 s[26:27], s[28:29]
; %bb.3:                                ;   in Loop: Header=BB275_2 Depth=1
	v_bcnt_u32_b32 v1, v1, 0
	v_bcnt_u32_b32 v1, v2, v1
	ds_write_b32 v21, v1 offset:20
; %bb.4:                                ;   in Loop: Header=BB275_2 Depth=1
	s_or_b64 exec, exec, s[26:27]
	v_and_b32_e32 v1, 0xff, v15
	v_mul_u32_u24_e32 v5, 20, v1
	v_mad_u32_u24 v1, v1, 20, v12
	; wave barrier
	ds_read_b32 v22, v1 offset:20
	v_and_b32_e32 v1, 1, v15
	v_add_co_u32_e64 v2, s[26:27], -1, v1
	v_addc_co_u32_e64 v4, s[26:27], 0, -1, s[26:27]
	v_cmp_ne_u32_e64 s[26:27], 0, v1
	v_xor_b32_e32 v1, s27, v4
	v_lshlrev_b32_e32 v4, 30, v15
	v_xor_b32_e32 v2, s26, v2
	v_cmp_gt_i64_e64 s[26:27], 0, v[3:4]
	v_not_b32_e32 v4, v4
	v_ashrrev_i32_e32 v4, 31, v4
	v_and_b32_e32 v2, exec_lo, v2
	v_xor_b32_e32 v23, s27, v4
	v_xor_b32_e32 v4, s26, v4
	v_and_b32_e32 v2, v2, v4
	v_lshlrev_b32_e32 v4, 29, v15
	v_cmp_gt_i64_e64 s[26:27], 0, v[3:4]
	v_not_b32_e32 v4, v4
	v_and_b32_e32 v1, exec_hi, v1
	v_ashrrev_i32_e32 v4, 31, v4
	v_and_b32_e32 v1, v1, v23
	v_xor_b32_e32 v23, s27, v4
	v_xor_b32_e32 v4, s26, v4
	v_and_b32_e32 v2, v2, v4
	v_lshlrev_b32_e32 v4, 28, v15
	v_cmp_gt_i64_e64 s[26:27], 0, v[3:4]
	v_not_b32_e32 v4, v4
	v_ashrrev_i32_e32 v4, 31, v4
	v_and_b32_e32 v1, v1, v23
	v_xor_b32_e32 v23, s27, v4
	v_xor_b32_e32 v4, s26, v4
	v_and_b32_e32 v2, v2, v4
	v_lshlrev_b32_e32 v4, 27, v15
	v_cmp_gt_i64_e64 s[26:27], 0, v[3:4]
	v_not_b32_e32 v4, v4
	;; [unrolled: 8-line block ×4, first 2 shown]
	v_ashrrev_i32_e32 v4, 31, v4
	v_and_b32_e32 v1, v1, v23
	v_xor_b32_e32 v23, s27, v4
	v_xor_b32_e32 v4, s26, v4
	v_and_b32_e32 v1, v1, v23
	v_and_b32_e32 v23, v2, v4
	v_lshlrev_b32_e32 v4, 24, v15
	v_cmp_gt_i64_e64 s[26:27], 0, v[3:4]
	v_not_b32_e32 v2, v4
	v_ashrrev_i32_e32 v2, 31, v2
	v_xor_b32_e32 v4, s27, v2
	v_xor_b32_e32 v24, s26, v2
	v_and_b32_e32 v2, v1, v4
	v_and_b32_e32 v1, v23, v24
	v_mbcnt_lo_u32_b32 v4, v1, 0
	v_mbcnt_hi_u32_b32 v23, v2, v4
	v_cmp_ne_u64_e64 s[26:27], 0, v[1:2]
	v_cmp_eq_u32_e64 s[28:29], 0, v23
	s_and_b64 s[28:29], s[26:27], s[28:29]
	v_add_u32_e32 v24, v12, v5
	; wave barrier
	s_and_saveexec_b64 s[26:27], s[28:29]
	s_cbranch_execz .LBB275_6
; %bb.5:                                ;   in Loop: Header=BB275_2 Depth=1
	v_bcnt_u32_b32 v1, v1, 0
	v_bcnt_u32_b32 v1, v2, v1
	s_waitcnt lgkmcnt(0)
	v_add_u32_e32 v1, v22, v1
	ds_write_b32 v24, v1 offset:20
.LBB275_6:                              ;   in Loop: Header=BB275_2 Depth=1
	s_or_b64 exec, exec, s[26:27]
	v_and_b32_e32 v1, 0xff, v14
	v_mul_u32_u24_e32 v5, 20, v1
	v_mad_u32_u24 v1, v1, 20, v12
	; wave barrier
	ds_read_b32 v25, v1 offset:20
	v_and_b32_e32 v1, 1, v14
	v_add_co_u32_e64 v2, s[26:27], -1, v1
	v_addc_co_u32_e64 v4, s[26:27], 0, -1, s[26:27]
	v_cmp_ne_u32_e64 s[26:27], 0, v1
	v_xor_b32_e32 v1, s27, v4
	v_lshlrev_b32_e32 v4, 30, v14
	v_xor_b32_e32 v2, s26, v2
	v_cmp_gt_i64_e64 s[26:27], 0, v[3:4]
	v_not_b32_e32 v4, v4
	v_ashrrev_i32_e32 v4, 31, v4
	v_and_b32_e32 v2, exec_lo, v2
	v_xor_b32_e32 v26, s27, v4
	v_xor_b32_e32 v4, s26, v4
	v_and_b32_e32 v2, v2, v4
	v_lshlrev_b32_e32 v4, 29, v14
	v_cmp_gt_i64_e64 s[26:27], 0, v[3:4]
	v_not_b32_e32 v4, v4
	v_and_b32_e32 v1, exec_hi, v1
	v_ashrrev_i32_e32 v4, 31, v4
	v_and_b32_e32 v1, v1, v26
	v_xor_b32_e32 v26, s27, v4
	v_xor_b32_e32 v4, s26, v4
	v_and_b32_e32 v2, v2, v4
	v_lshlrev_b32_e32 v4, 28, v14
	v_cmp_gt_i64_e64 s[26:27], 0, v[3:4]
	v_not_b32_e32 v4, v4
	v_ashrrev_i32_e32 v4, 31, v4
	v_and_b32_e32 v1, v1, v26
	v_xor_b32_e32 v26, s27, v4
	v_xor_b32_e32 v4, s26, v4
	v_and_b32_e32 v2, v2, v4
	v_lshlrev_b32_e32 v4, 27, v14
	v_cmp_gt_i64_e64 s[26:27], 0, v[3:4]
	v_not_b32_e32 v4, v4
	;; [unrolled: 8-line block ×4, first 2 shown]
	v_ashrrev_i32_e32 v4, 31, v4
	v_and_b32_e32 v1, v1, v26
	v_xor_b32_e32 v26, s27, v4
	v_xor_b32_e32 v4, s26, v4
	v_and_b32_e32 v1, v1, v26
	v_and_b32_e32 v26, v2, v4
	v_lshlrev_b32_e32 v4, 24, v14
	v_cmp_gt_i64_e64 s[26:27], 0, v[3:4]
	v_not_b32_e32 v2, v4
	v_ashrrev_i32_e32 v2, 31, v2
	v_xor_b32_e32 v4, s27, v2
	v_xor_b32_e32 v27, s26, v2
	v_and_b32_e32 v2, v1, v4
	v_and_b32_e32 v1, v26, v27
	v_mbcnt_lo_u32_b32 v4, v1, 0
	v_mbcnt_hi_u32_b32 v26, v2, v4
	v_cmp_ne_u64_e64 s[26:27], 0, v[1:2]
	v_cmp_eq_u32_e64 s[28:29], 0, v26
	s_and_b64 s[28:29], s[26:27], s[28:29]
	v_add_u32_e32 v27, v12, v5
	; wave barrier
	s_and_saveexec_b64 s[26:27], s[28:29]
	s_cbranch_execz .LBB275_8
; %bb.7:                                ;   in Loop: Header=BB275_2 Depth=1
	v_bcnt_u32_b32 v1, v1, 0
	v_bcnt_u32_b32 v1, v2, v1
	s_waitcnt lgkmcnt(0)
	v_add_u32_e32 v1, v25, v1
	ds_write_b32 v27, v1 offset:20
.LBB275_8:                              ;   in Loop: Header=BB275_2 Depth=1
	s_or_b64 exec, exec, s[26:27]
	; wave barrier
	s_waitcnt lgkmcnt(0)
	s_barrier
	ds_read2_b32 v[4:5], v7 offset0:5 offset1:6
	ds_read2_b32 v[1:2], v7 offset0:7 offset1:8
	s_waitcnt lgkmcnt(1)
	v_add_u32_e32 v28, v5, v4
	s_waitcnt lgkmcnt(0)
	v_add3_u32 v2, v28, v1, v2
	s_nop 1
	v_mov_b32_dpp v28, v2 row_shr:1 row_mask:0xf bank_mask:0xf
	v_cndmask_b32_e64 v28, v28, 0, s[8:9]
	v_add_u32_e32 v2, v28, v2
	s_nop 1
	v_mov_b32_dpp v28, v2 row_shr:2 row_mask:0xf bank_mask:0xf
	v_cndmask_b32_e64 v28, 0, v28, s[10:11]
	v_add_u32_e32 v2, v2, v28
	;; [unrolled: 4-line block ×4, first 2 shown]
	s_nop 1
	v_mov_b32_dpp v28, v2 row_bcast:15 row_mask:0xf bank_mask:0xf
	v_cndmask_b32_e64 v28, v28, 0, s[16:17]
	v_add_u32_e32 v2, v2, v28
	s_nop 1
	v_mov_b32_dpp v28, v2 row_bcast:31 row_mask:0xf bank_mask:0xf
	v_cndmask_b32_e64 v28, 0, v28, s[4:5]
	v_add_u32_e32 v2, v2, v28
	s_and_saveexec_b64 s[26:27], s[24:25]
; %bb.9:                                ;   in Loop: Header=BB275_2 Depth=1
	ds_write_b32 v8, v2
; %bb.10:                               ;   in Loop: Header=BB275_2 Depth=1
	s_or_b64 exec, exec, s[26:27]
	s_waitcnt lgkmcnt(0)
	s_barrier
	s_and_saveexec_b64 s[26:27], vcc
	s_cbranch_execz .LBB275_12
; %bb.11:                               ;   in Loop: Header=BB275_2 Depth=1
	v_add_u32_e32 v28, v0, v6
	ds_read_b32 v29, v28
	s_waitcnt lgkmcnt(0)
	s_nop 0
	v_mov_b32_dpp v30, v29 row_shr:1 row_mask:0xf bank_mask:0xf
	v_cndmask_b32_e64 v30, v30, 0, s[18:19]
	v_add_u32_e32 v29, v30, v29
	s_nop 1
	v_mov_b32_dpp v30, v29 row_shr:2 row_mask:0xf bank_mask:0xf
	v_cndmask_b32_e64 v30, 0, v30, s[20:21]
	v_add_u32_e32 v29, v29, v30
	;; [unrolled: 4-line block ×3, first 2 shown]
	ds_write_b32 v28, v29
.LBB275_12:                             ;   in Loop: Header=BB275_2 Depth=1
	s_or_b64 exec, exec, s[26:27]
	v_mov_b32_e32 v28, 0
	s_waitcnt lgkmcnt(0)
	s_barrier
	s_and_saveexec_b64 s[26:27], s[0:1]
	s_cbranch_execz .LBB275_1
; %bb.13:                               ;   in Loop: Header=BB275_2 Depth=1
	v_add_u32_e32 v28, -4, v8
	ds_read_b32 v28, v28
	s_branch .LBB275_1
.LBB275_14:
	s_add_u32 s0, s30, s33
	v_add_u16_e32 v1, v4, v14
	s_addc_u32 s1, s31, 0
	v_add_u16_e32 v2, v2, v15
	v_add_u16_e32 v3, v5, v16
	global_store_byte v0, v1, s[0:1]
	global_store_byte v0, v2, s[0:1] offset:320
	global_store_byte v0, v3, s[0:1] offset:640
	s_endpgm
	.section	.rodata,"a",@progbits
	.p2align	6, 0x0
	.amdhsa_kernel _Z17sort_pairs_kernelI22helper_blocked_stripedaLj320ELj3ELj10EEvPKT0_PS1_
		.amdhsa_group_segment_fixed_size 5152
		.amdhsa_private_segment_fixed_size 0
		.amdhsa_kernarg_size 272
		.amdhsa_user_sgpr_count 6
		.amdhsa_user_sgpr_private_segment_buffer 1
		.amdhsa_user_sgpr_dispatch_ptr 0
		.amdhsa_user_sgpr_queue_ptr 0
		.amdhsa_user_sgpr_kernarg_segment_ptr 1
		.amdhsa_user_sgpr_dispatch_id 0
		.amdhsa_user_sgpr_flat_scratch_init 0
		.amdhsa_user_sgpr_private_segment_size 0
		.amdhsa_uses_dynamic_stack 0
		.amdhsa_system_sgpr_private_segment_wavefront_offset 0
		.amdhsa_system_sgpr_workgroup_id_x 1
		.amdhsa_system_sgpr_workgroup_id_y 0
		.amdhsa_system_sgpr_workgroup_id_z 0
		.amdhsa_system_sgpr_workgroup_info 0
		.amdhsa_system_vgpr_workitem_id 2
		.amdhsa_next_free_vgpr 31
		.amdhsa_next_free_sgpr 36
		.amdhsa_reserve_vcc 1
		.amdhsa_reserve_flat_scratch 0
		.amdhsa_float_round_mode_32 0
		.amdhsa_float_round_mode_16_64 0
		.amdhsa_float_denorm_mode_32 3
		.amdhsa_float_denorm_mode_16_64 3
		.amdhsa_dx10_clamp 1
		.amdhsa_ieee_mode 1
		.amdhsa_fp16_overflow 0
		.amdhsa_exception_fp_ieee_invalid_op 0
		.amdhsa_exception_fp_denorm_src 0
		.amdhsa_exception_fp_ieee_div_zero 0
		.amdhsa_exception_fp_ieee_overflow 0
		.amdhsa_exception_fp_ieee_underflow 0
		.amdhsa_exception_fp_ieee_inexact 0
		.amdhsa_exception_int_div_zero 0
	.end_amdhsa_kernel
	.section	.text._Z17sort_pairs_kernelI22helper_blocked_stripedaLj320ELj3ELj10EEvPKT0_PS1_,"axG",@progbits,_Z17sort_pairs_kernelI22helper_blocked_stripedaLj320ELj3ELj10EEvPKT0_PS1_,comdat
.Lfunc_end275:
	.size	_Z17sort_pairs_kernelI22helper_blocked_stripedaLj320ELj3ELj10EEvPKT0_PS1_, .Lfunc_end275-_Z17sort_pairs_kernelI22helper_blocked_stripedaLj320ELj3ELj10EEvPKT0_PS1_
                                        ; -- End function
	.set _Z17sort_pairs_kernelI22helper_blocked_stripedaLj320ELj3ELj10EEvPKT0_PS1_.num_vgpr, 31
	.set _Z17sort_pairs_kernelI22helper_blocked_stripedaLj320ELj3ELj10EEvPKT0_PS1_.num_agpr, 0
	.set _Z17sort_pairs_kernelI22helper_blocked_stripedaLj320ELj3ELj10EEvPKT0_PS1_.numbered_sgpr, 36
	.set _Z17sort_pairs_kernelI22helper_blocked_stripedaLj320ELj3ELj10EEvPKT0_PS1_.num_named_barrier, 0
	.set _Z17sort_pairs_kernelI22helper_blocked_stripedaLj320ELj3ELj10EEvPKT0_PS1_.private_seg_size, 0
	.set _Z17sort_pairs_kernelI22helper_blocked_stripedaLj320ELj3ELj10EEvPKT0_PS1_.uses_vcc, 1
	.set _Z17sort_pairs_kernelI22helper_blocked_stripedaLj320ELj3ELj10EEvPKT0_PS1_.uses_flat_scratch, 0
	.set _Z17sort_pairs_kernelI22helper_blocked_stripedaLj320ELj3ELj10EEvPKT0_PS1_.has_dyn_sized_stack, 0
	.set _Z17sort_pairs_kernelI22helper_blocked_stripedaLj320ELj3ELj10EEvPKT0_PS1_.has_recursion, 0
	.set _Z17sort_pairs_kernelI22helper_blocked_stripedaLj320ELj3ELj10EEvPKT0_PS1_.has_indirect_call, 0
	.section	.AMDGPU.csdata,"",@progbits
; Kernel info:
; codeLenInByte = 2476
; TotalNumSgprs: 40
; NumVgprs: 31
; ScratchSize: 0
; MemoryBound: 0
; FloatMode: 240
; IeeeMode: 1
; LDSByteSize: 5152 bytes/workgroup (compile time only)
; SGPRBlocks: 4
; VGPRBlocks: 7
; NumSGPRsForWavesPerEU: 40
; NumVGPRsForWavesPerEU: 31
; Occupancy: 8
; WaveLimiterHint : 1
; COMPUTE_PGM_RSRC2:SCRATCH_EN: 0
; COMPUTE_PGM_RSRC2:USER_SGPR: 6
; COMPUTE_PGM_RSRC2:TRAP_HANDLER: 0
; COMPUTE_PGM_RSRC2:TGID_X_EN: 1
; COMPUTE_PGM_RSRC2:TGID_Y_EN: 0
; COMPUTE_PGM_RSRC2:TGID_Z_EN: 0
; COMPUTE_PGM_RSRC2:TIDIG_COMP_CNT: 2
	.section	.text._Z16sort_keys_kernelI22helper_blocked_stripedaLj320ELj4ELj10EEvPKT0_PS1_,"axG",@progbits,_Z16sort_keys_kernelI22helper_blocked_stripedaLj320ELj4ELj10EEvPKT0_PS1_,comdat
	.protected	_Z16sort_keys_kernelI22helper_blocked_stripedaLj320ELj4ELj10EEvPKT0_PS1_ ; -- Begin function _Z16sort_keys_kernelI22helper_blocked_stripedaLj320ELj4ELj10EEvPKT0_PS1_
	.globl	_Z16sort_keys_kernelI22helper_blocked_stripedaLj320ELj4ELj10EEvPKT0_PS1_
	.p2align	8
	.type	_Z16sort_keys_kernelI22helper_blocked_stripedaLj320ELj4ELj10EEvPKT0_PS1_,@function
_Z16sort_keys_kernelI22helper_blocked_stripedaLj320ELj4ELj10EEvPKT0_PS1_: ; @_Z16sort_keys_kernelI22helper_blocked_stripedaLj320ELj4ELj10EEvPKT0_PS1_
; %bb.0:
	s_load_dwordx4 s[40:43], s[4:5], 0x0
	s_load_dword s36, s[4:5], 0x1c
	s_mul_i32 s33, s6, 0x500
	v_lshlrev_b32_e32 v3, 2, v0
	v_mbcnt_lo_u32_b32 v5, -1, 0
	s_waitcnt lgkmcnt(0)
	s_add_u32 s0, s40, s33
	s_addc_u32 s1, s41, 0
	global_load_dword v4, v3, s[0:1]
	s_lshr_b32 s37, s36, 16
	s_and_b32 s36, s36, 0xffff
	v_mad_u32_u24 v1, v2, s37, v1
	v_mad_u64_u32 v[1:2], s[36:37], v1, s36, v[0:1]
	v_mbcnt_hi_u32_b32 v5, -1, v5
	v_and_b32_e32 v7, 0x1c0, v0
	v_lshrrev_b32_e32 v10, 2, v5
	v_and_b32_e32 v11, 3, v5
	v_and_b32_e32 v12, 64, v5
	v_subrev_co_u32_e64 v16, s[6:7], 1, v5
	v_lshrrev_b32_e32 v8, 4, v0
	v_and_b32_e32 v13, 15, v5
	v_and_b32_e32 v14, 16, v5
	v_min_u32_e32 v15, 0x100, v7
	v_cmp_eq_u32_e64 s[8:9], 3, v11
	v_cmp_eq_u32_e64 s[10:11], 2, v11
	;; [unrolled: 1-line block ×4, first 2 shown]
	v_or_b32_e32 v11, v10, v12
	v_add_u32_e32 v18, 48, v10
	v_cmp_lt_i32_e64 s[26:27], v16, v12
	v_mul_u32_u24_e32 v9, 3, v0
	v_cmp_lt_u32_e64 s[4:5], 31, v5
	v_and_b32_e32 v7, 28, v8
	v_and_b32_e32 v17, 7, v5
	v_cmp_eq_u32_e64 s[16:17], 0, v13
	v_cmp_lt_u32_e64 s[18:19], 1, v13
	v_cmp_lt_u32_e64 s[20:21], 3, v13
	;; [unrolled: 1-line block ×3, first 2 shown]
	v_cmp_eq_u32_e64 s[24:25], 0, v14
	v_or_b32_e32 v13, 63, v15
	v_cndmask_b32_e64 v5, v16, v5, s[26:27]
	v_lshlrev_b32_e32 v10, 2, v11
	v_and_or_b32 v14, v18, 63, v12
	v_lshrrev_b32_e32 v1, 4, v1
	s_mov_b32 s40, 0xffff
	s_mov_b32 s41, 10
	s_movk_i32 s44, 0xff
	s_mov_b32 s45, 0x3020104
	s_mov_b32 s46, 0xffff0000
	;; [unrolled: 1-line block ×3, first 2 shown]
	v_mov_b32_e32 v3, 0
	v_lshlrev_b32_e32 v6, 4, v0
	v_cmp_gt_u32_e32 vcc, 5, v0
	v_cmp_lt_u32_e64 s[0:1], 63, v0
	v_cmp_eq_u32_e64 s[2:3], 0, v0
	v_add_u32_e32 v8, v0, v9
	v_cmp_eq_u32_e64 s[26:27], 0, v17
	v_cmp_lt_u32_e64 s[28:29], 1, v17
	v_cmp_lt_u32_e64 s[30:31], 3, v17
	v_add_u32_e32 v9, -4, v7
	v_cmp_eq_u32_e64 s[34:35], v0, v13
	v_lshlrev_b32_e32 v11, 2, v5
	v_add_u32_e32 v12, 64, v10
	v_or_b32_e32 v13, 0x80, v10
	v_lshlrev_b32_e32 v14, 2, v14
	v_and_b32_e32 v15, 0xffffffc, v1
	v_mov_b32_e32 v16, 20
	s_waitcnt vmcnt(0)
	v_lshrrev_b32_e32 v2, 24, v4
	v_lshrrev_b32_e32 v1, 16, v4
	;; [unrolled: 1-line block ×3, first 2 shown]
	s_branch .LBB276_2
.LBB276_1:                              ;   in Loop: Header=BB276_2 Depth=1
	s_or_b64 exec, exec, s[36:37]
	s_waitcnt lgkmcnt(0)
	v_add_u32_e32 v2, v32, v2
	ds_bpermute_b32 v2, v11, v2
	s_add_i32 s41, s41, -1
	s_cmp_eq_u32 s41, 0
	s_waitcnt lgkmcnt(0)
	v_cndmask_b32_e64 v2, v2, v32, s[6:7]
	v_cndmask_b32_e64 v2, v2, 0, s[2:3]
	v_add_u32_e32 v4, v2, v4
	v_add_u32_e32 v5, v4, v5
	;; [unrolled: 1-line block ×3, first 2 shown]
	ds_write2_b32 v6, v2, v4 offset0:5 offset1:6
	ds_write2_b32 v6, v5, v1 offset0:7 offset1:8
	s_waitcnt lgkmcnt(0)
	s_barrier
	ds_read_b32 v1, v19 offset:20
	ds_read_b32 v2, v23 offset:20
	;; [unrolled: 1-line block ×4, first 2 shown]
	s_waitcnt lgkmcnt(0)
	v_add_u32_e32 v1, v1, v18
	s_barrier
	ds_write_b8 v1, v17
	v_add3_u32 v1, v22, v21, v2
	ds_write_b8 v1, v20
	v_add3_u32 v1, v26, v25, v4
	;; [unrolled: 2-line block ×3, first 2 shown]
	ds_write_b8 v1, v28
	s_waitcnt lgkmcnt(0)
	s_barrier
	ds_read_u8 v1, v0
	ds_read_u8 v2, v0 offset:320
	ds_read_u8 v17, v0 offset:640
	;; [unrolled: 1-line block ×3, first 2 shown]
	s_waitcnt lgkmcnt(3)
	v_xor_b32_e32 v4, 0xffffff80, v1
	s_waitcnt lgkmcnt(2)
	v_xor_b32_e32 v5, 0xffffff80, v2
	;; [unrolled: 2-line block ×4, first 2 shown]
	s_cbranch_scc1 .LBB276_16
.LBB276_2:                              ; =>This Inner Loop Header: Depth=1
	v_xor_b32_e32 v4, 0x80, v4
	v_xor_b32_e32 v5, 0x80, v5
	v_and_b32_e32 v4, 0xff, v4
	ds_bpermute_b32 v17, v10, v4
	v_xor_b32_e32 v1, 0x80, v1
	v_and_b32_e32 v5, 0xff, v5
	ds_bpermute_b32 v18, v10, v5
	v_and_b32_e32 v1, 0xff, v1
	ds_bpermute_b32 v19, v10, v1
	v_xor_b32_e32 v2, 0x80, v2
	v_and_b32_e32 v2, 0xff, v2
	s_waitcnt lgkmcnt(2)
	v_and_b32_e32 v17, 0xff, v17
	ds_bpermute_b32 v20, v10, v2
	v_cndmask_b32_e64 v17, 0, v17, s[14:15]
	s_waitcnt lgkmcnt(2)
	v_and_b32_e32 v18, 0xff, v18
	v_cndmask_b32_e64 v17, v17, v18, s[12:13]
	s_waitcnt lgkmcnt(1)
	v_and_b32_e32 v18, 0xff, v19
	ds_bpermute_b32 v19, v12, v4
	v_cndmask_b32_e64 v17, v17, v18, s[10:11]
	s_waitcnt lgkmcnt(1)
	v_perm_b32 v18, v20, v17, s45
	v_cndmask_b32_e64 v17, v17, v18, s[8:9]
	ds_bpermute_b32 v18, v12, v5
	s_waitcnt lgkmcnt(1)
	v_lshlrev_b16_e32 v19, 8, v19
	v_or_b32_sdwa v19, v17, v19 dst_sel:DWORD dst_unused:UNUSED_PAD src0_sel:BYTE_0 src1_sel:DWORD
	v_and_b32_e32 v19, 0xffff, v19
	v_cndmask_b32_e64 v17, v17, v19, s[14:15]
	ds_bpermute_b32 v19, v12, v1
	s_waitcnt lgkmcnt(1)
	v_lshlrev_b16_e32 v18, 8, v18
	v_or_b32_sdwa v18, v17, v18 dst_sel:DWORD dst_unused:UNUSED_PAD src0_sel:BYTE_0 src1_sel:DWORD
	v_and_b32_e32 v18, 0xffff, v18
	v_and_or_b32 v18, v17, s46, v18
	v_cndmask_b32_e64 v17, v17, v18, s[12:13]
	s_waitcnt lgkmcnt(0)
	v_lshlrev_b16_e32 v18, 8, v19
	ds_bpermute_b32 v19, v12, v2
	v_or_b32_sdwa v18, v17, v18 dst_sel:DWORD dst_unused:UNUSED_PAD src0_sel:BYTE_0 src1_sel:DWORD
	v_and_b32_e32 v18, 0xffff, v18
	v_and_or_b32 v18, v17, s46, v18
	v_cndmask_b32_e64 v17, v17, v18, s[10:11]
	s_waitcnt lgkmcnt(0)
	v_lshlrev_b16_e32 v18, 8, v19
	ds_bpermute_b32 v19, v13, v4
	v_or_b32_sdwa v18, v17, v18 dst_sel:DWORD dst_unused:UNUSED_PAD src0_sel:BYTE_0 src1_sel:DWORD
	v_and_b32_e32 v18, 0xffff, v18
	v_and_or_b32 v18, v17, s46, v18
	v_cndmask_b32_e64 v17, v17, v18, s[8:9]
	ds_bpermute_b32 v18, v13, v5
	s_waitcnt lgkmcnt(1)
	v_perm_b32 v19, v19, v17, s47
	v_lshlrev_b32_e32 v19, 16, v19
	v_and_or_b32 v19, v17, s40, v19
	v_cndmask_b32_e64 v17, v17, v19, s[14:15]
	ds_bpermute_b32 v19, v13, v1
	s_waitcnt lgkmcnt(1)
	v_perm_b32 v18, v18, v17, s47
	v_lshlrev_b32_e32 v18, 16, v18
	;; [unrolled: 6-line block ×4, first 2 shown]
	v_and_or_b32 v18, v17, s40, v18
	v_cndmask_b32_e64 v17, v17, v18, s[8:9]
	ds_bpermute_b32 v5, v14, v5
	v_and_b32_sdwa v18, v17, s44 dst_sel:DWORD dst_unused:UNUSED_PAD src0_sel:WORD_1 src1_sel:DWORD
	s_waitcnt lgkmcnt(1)
	v_lshlrev_b16_e32 v4, 8, v4
	v_or_b32_sdwa v4, v18, v4 dst_sel:WORD_1 dst_unused:UNUSED_PAD src0_sel:DWORD src1_sel:DWORD
	v_and_or_b32 v4, v17, s40, v4
	v_cndmask_b32_e64 v4, v17, v4, s[14:15]
	ds_bpermute_b32 v1, v14, v1
	v_and_b32_sdwa v17, v4, s44 dst_sel:DWORD dst_unused:UNUSED_PAD src0_sel:WORD_1 src1_sel:DWORD
	s_waitcnt lgkmcnt(1)
	v_lshlrev_b16_e32 v5, 8, v5
	v_or_b32_sdwa v5, v17, v5 dst_sel:WORD_1 dst_unused:UNUSED_PAD src0_sel:DWORD src1_sel:DWORD
	;; [unrolled: 7-line block ×3, first 2 shown]
	v_and_or_b32 v1, v4, s40, v1
	v_cndmask_b32_e64 v1, v4, v1, s[10:11]
	v_and_b32_sdwa v4, v1, s44 dst_sel:DWORD dst_unused:UNUSED_PAD src0_sel:WORD_1 src1_sel:DWORD
	s_waitcnt lgkmcnt(0)
	v_lshlrev_b16_e32 v2, 8, v2
	v_or_b32_sdwa v2, v4, v2 dst_sel:WORD_1 dst_unused:UNUSED_PAD src0_sel:DWORD src1_sel:DWORD
	v_and_or_b32 v2, v1, s40, v2
	v_cndmask_b32_e64 v17, v1, v2, s[8:9]
	v_and_b32_e32 v1, 1, v17
	v_add_co_u32_e64 v2, s[36:37], -1, v1
	v_addc_co_u32_e64 v4, s[36:37], 0, -1, s[36:37]
	v_cmp_ne_u32_e64 s[36:37], 0, v1
	v_xor_b32_e32 v1, s37, v4
	v_lshlrev_b32_e32 v4, 30, v17
	v_xor_b32_e32 v2, s36, v2
	v_cmp_gt_i64_e64 s[36:37], 0, v[3:4]
	v_not_b32_e32 v4, v4
	v_ashrrev_i32_e32 v4, 31, v4
	v_and_b32_e32 v2, exec_lo, v2
	v_xor_b32_e32 v18, s37, v4
	v_xor_b32_e32 v4, s36, v4
	v_and_b32_e32 v2, v2, v4
	v_lshlrev_b32_e32 v4, 29, v17
	v_cmp_gt_i64_e64 s[36:37], 0, v[3:4]
	v_not_b32_e32 v4, v4
	v_and_b32_e32 v1, exec_hi, v1
	v_ashrrev_i32_e32 v4, 31, v4
	v_and_b32_e32 v1, v1, v18
	v_xor_b32_e32 v18, s37, v4
	v_xor_b32_e32 v4, s36, v4
	v_and_b32_e32 v2, v2, v4
	v_lshlrev_b32_e32 v4, 28, v17
	v_cmp_gt_i64_e64 s[36:37], 0, v[3:4]
	v_not_b32_e32 v4, v4
	v_ashrrev_i32_e32 v4, 31, v4
	v_and_b32_e32 v1, v1, v18
	v_xor_b32_e32 v18, s37, v4
	v_xor_b32_e32 v4, s36, v4
	v_and_b32_e32 v2, v2, v4
	v_lshlrev_b32_e32 v4, 27, v17
	v_cmp_gt_i64_e64 s[36:37], 0, v[3:4]
	v_not_b32_e32 v4, v4
	;; [unrolled: 8-line block ×4, first 2 shown]
	v_ashrrev_i32_e32 v4, 31, v4
	v_and_b32_e32 v1, v1, v18
	v_xor_b32_e32 v18, s37, v4
	v_xor_b32_e32 v4, s36, v4
	v_and_b32_e32 v1, v1, v18
	v_and_b32_e32 v18, v2, v4
	v_lshlrev_b32_e32 v4, 24, v17
	v_cmp_gt_i64_e64 s[36:37], 0, v[3:4]
	v_not_b32_e32 v2, v4
	v_ashrrev_i32_e32 v2, 31, v2
	v_xor_b32_e32 v4, s37, v2
	v_xor_b32_e32 v19, s36, v2
	v_and_b32_e32 v2, v1, v4
	v_and_b32_e32 v1, v18, v19
	v_mbcnt_lo_u32_b32 v4, v1, 0
	v_mbcnt_hi_u32_b32 v18, v2, v4
	v_cmp_ne_u64_e64 s[36:37], 0, v[1:2]
	v_mul_u32_u24_sdwa v5, v17, v16 dst_sel:DWORD dst_unused:UNUSED_PAD src0_sel:BYTE_0 src1_sel:DWORD
	v_cmp_eq_u32_e64 s[38:39], 0, v18
	s_and_b64 s[38:39], s[38:39], s[36:37]
	v_add_u32_e32 v19, v15, v5
	s_barrier
	ds_write2_b32 v6, v3, v3 offset0:5 offset1:6
	ds_write2_b32 v6, v3, v3 offset0:7 offset1:8
	s_waitcnt lgkmcnt(0)
	s_barrier
	; wave barrier
	s_and_saveexec_b64 s[36:37], s[38:39]
; %bb.3:                                ;   in Loop: Header=BB276_2 Depth=1
	v_bcnt_u32_b32 v1, v1, 0
	v_bcnt_u32_b32 v1, v2, v1
	ds_write_b32 v19, v1 offset:20
; %bb.4:                                ;   in Loop: Header=BB276_2 Depth=1
	s_or_b64 exec, exec, s[36:37]
	v_bfe_u32 v1, v17, 8, 8
	v_mul_u32_u24_e32 v5, 20, v1
	v_mad_u32_u24 v1, v1, 20, v15
	; wave barrier
	ds_read_b32 v21, v1 offset:20
	v_bfe_u32 v1, v17, 8, 1
	v_add_co_u32_e64 v2, s[36:37], -1, v1
	v_addc_co_u32_e64 v4, s[36:37], 0, -1, s[36:37]
	v_lshrrev_b32_e32 v20, 8, v17
	v_cmp_ne_u32_e64 s[36:37], 0, v1
	v_xor_b32_e32 v1, s37, v4
	v_lshlrev_b32_e32 v4, 30, v20
	v_xor_b32_e32 v2, s36, v2
	v_cmp_gt_i64_e64 s[36:37], 0, v[3:4]
	v_not_b32_e32 v4, v4
	v_ashrrev_i32_e32 v4, 31, v4
	v_and_b32_e32 v2, exec_lo, v2
	v_xor_b32_e32 v22, s37, v4
	v_xor_b32_e32 v4, s36, v4
	v_and_b32_e32 v2, v2, v4
	v_lshlrev_b32_e32 v4, 29, v20
	v_cmp_gt_i64_e64 s[36:37], 0, v[3:4]
	v_not_b32_e32 v4, v4
	v_and_b32_e32 v1, exec_hi, v1
	v_ashrrev_i32_e32 v4, 31, v4
	v_and_b32_e32 v1, v1, v22
	v_xor_b32_e32 v22, s37, v4
	v_xor_b32_e32 v4, s36, v4
	v_and_b32_e32 v2, v2, v4
	v_lshlrev_b32_e32 v4, 28, v20
	v_cmp_gt_i64_e64 s[36:37], 0, v[3:4]
	v_not_b32_e32 v4, v4
	v_ashrrev_i32_e32 v4, 31, v4
	v_and_b32_e32 v1, v1, v22
	v_xor_b32_e32 v22, s37, v4
	v_xor_b32_e32 v4, s36, v4
	v_and_b32_e32 v2, v2, v4
	v_lshlrev_b32_e32 v4, 27, v20
	v_cmp_gt_i64_e64 s[36:37], 0, v[3:4]
	v_not_b32_e32 v4, v4
	;; [unrolled: 8-line block ×4, first 2 shown]
	v_ashrrev_i32_e32 v4, 31, v4
	v_and_b32_e32 v1, v1, v22
	v_xor_b32_e32 v22, s37, v4
	v_xor_b32_e32 v4, s36, v4
	v_and_b32_e32 v1, v1, v22
	v_and_b32_e32 v22, v2, v4
	v_lshlrev_b32_e32 v4, 24, v20
	v_cmp_gt_i64_e64 s[36:37], 0, v[3:4]
	v_not_b32_e32 v2, v4
	v_ashrrev_i32_e32 v2, 31, v2
	v_xor_b32_e32 v4, s37, v2
	v_xor_b32_e32 v23, s36, v2
	v_and_b32_e32 v2, v1, v4
	v_and_b32_e32 v1, v22, v23
	v_mbcnt_lo_u32_b32 v4, v1, 0
	v_mbcnt_hi_u32_b32 v22, v2, v4
	v_cmp_ne_u64_e64 s[36:37], 0, v[1:2]
	v_cmp_eq_u32_e64 s[38:39], 0, v22
	s_and_b64 s[38:39], s[36:37], s[38:39]
	v_add_u32_e32 v23, v15, v5
	; wave barrier
	s_and_saveexec_b64 s[36:37], s[38:39]
	s_cbranch_execz .LBB276_6
; %bb.5:                                ;   in Loop: Header=BB276_2 Depth=1
	v_bcnt_u32_b32 v1, v1, 0
	v_bcnt_u32_b32 v1, v2, v1
	s_waitcnt lgkmcnt(0)
	v_add_u32_e32 v1, v21, v1
	ds_write_b32 v23, v1 offset:20
.LBB276_6:                              ;   in Loop: Header=BB276_2 Depth=1
	s_or_b64 exec, exec, s[36:37]
	v_bfe_u32 v1, v17, 16, 8
	v_mul_u32_u24_e32 v5, 20, v1
	v_mad_u32_u24 v1, v1, 20, v15
	; wave barrier
	ds_read_b32 v25, v1 offset:20
	v_bfe_u32 v1, v17, 16, 1
	v_add_co_u32_e64 v2, s[36:37], -1, v1
	v_addc_co_u32_e64 v4, s[36:37], 0, -1, s[36:37]
	v_lshrrev_b32_e32 v24, 16, v17
	v_cmp_ne_u32_e64 s[36:37], 0, v1
	v_xor_b32_e32 v1, s37, v4
	v_lshlrev_b32_e32 v4, 30, v24
	v_xor_b32_e32 v2, s36, v2
	v_cmp_gt_i64_e64 s[36:37], 0, v[3:4]
	v_not_b32_e32 v4, v4
	v_ashrrev_i32_e32 v4, 31, v4
	v_and_b32_e32 v2, exec_lo, v2
	v_xor_b32_e32 v26, s37, v4
	v_xor_b32_e32 v4, s36, v4
	v_and_b32_e32 v2, v2, v4
	v_lshlrev_b32_e32 v4, 29, v24
	v_cmp_gt_i64_e64 s[36:37], 0, v[3:4]
	v_not_b32_e32 v4, v4
	v_and_b32_e32 v1, exec_hi, v1
	v_ashrrev_i32_e32 v4, 31, v4
	v_and_b32_e32 v1, v1, v26
	v_xor_b32_e32 v26, s37, v4
	v_xor_b32_e32 v4, s36, v4
	v_and_b32_e32 v2, v2, v4
	v_lshlrev_b32_e32 v4, 28, v24
	v_cmp_gt_i64_e64 s[36:37], 0, v[3:4]
	v_not_b32_e32 v4, v4
	v_ashrrev_i32_e32 v4, 31, v4
	v_and_b32_e32 v1, v1, v26
	v_xor_b32_e32 v26, s37, v4
	v_xor_b32_e32 v4, s36, v4
	v_and_b32_e32 v2, v2, v4
	v_lshlrev_b32_e32 v4, 27, v24
	v_cmp_gt_i64_e64 s[36:37], 0, v[3:4]
	v_not_b32_e32 v4, v4
	;; [unrolled: 8-line block ×4, first 2 shown]
	v_ashrrev_i32_e32 v4, 31, v4
	v_and_b32_e32 v1, v1, v26
	v_xor_b32_e32 v26, s37, v4
	v_xor_b32_e32 v4, s36, v4
	v_and_b32_e32 v1, v1, v26
	v_and_b32_e32 v26, v2, v4
	v_lshlrev_b32_e32 v4, 24, v24
	v_cmp_gt_i64_e64 s[36:37], 0, v[3:4]
	v_not_b32_e32 v2, v4
	v_ashrrev_i32_e32 v2, 31, v2
	v_xor_b32_e32 v4, s37, v2
	v_xor_b32_e32 v27, s36, v2
	v_and_b32_e32 v2, v1, v4
	v_and_b32_e32 v1, v26, v27
	v_mbcnt_lo_u32_b32 v4, v1, 0
	v_mbcnt_hi_u32_b32 v26, v2, v4
	v_cmp_ne_u64_e64 s[36:37], 0, v[1:2]
	v_cmp_eq_u32_e64 s[38:39], 0, v26
	s_and_b64 s[38:39], s[36:37], s[38:39]
	v_add_u32_e32 v27, v15, v5
	; wave barrier
	s_and_saveexec_b64 s[36:37], s[38:39]
	s_cbranch_execz .LBB276_8
; %bb.7:                                ;   in Loop: Header=BB276_2 Depth=1
	v_bcnt_u32_b32 v1, v1, 0
	v_bcnt_u32_b32 v1, v2, v1
	s_waitcnt lgkmcnt(0)
	v_add_u32_e32 v1, v25, v1
	ds_write_b32 v27, v1 offset:20
.LBB276_8:                              ;   in Loop: Header=BB276_2 Depth=1
	s_or_b64 exec, exec, s[36:37]
	v_lshrrev_b32_e32 v28, 24, v17
	v_mad_u32_u24 v1, v28, 20, v15
	; wave barrier
	ds_read_b32 v29, v1 offset:20
	v_bfe_u32 v1, v17, 24, 1
	v_add_co_u32_e64 v2, s[36:37], -1, v1
	v_addc_co_u32_e64 v4, s[36:37], 0, -1, s[36:37]
	v_cmp_ne_u32_e64 s[36:37], 0, v1
	v_xor_b32_e32 v1, s37, v4
	v_lshlrev_b32_e32 v4, 30, v28
	v_xor_b32_e32 v2, s36, v2
	v_cmp_gt_i64_e64 s[36:37], 0, v[3:4]
	v_not_b32_e32 v4, v4
	v_ashrrev_i32_e32 v4, 31, v4
	v_and_b32_e32 v2, exec_lo, v2
	v_xor_b32_e32 v30, s37, v4
	v_xor_b32_e32 v4, s36, v4
	v_and_b32_e32 v2, v2, v4
	v_lshlrev_b32_e32 v4, 29, v28
	v_cmp_gt_i64_e64 s[36:37], 0, v[3:4]
	v_not_b32_e32 v4, v4
	v_and_b32_e32 v1, exec_hi, v1
	v_ashrrev_i32_e32 v4, 31, v4
	v_and_b32_e32 v1, v1, v30
	v_xor_b32_e32 v30, s37, v4
	v_xor_b32_e32 v4, s36, v4
	v_and_b32_e32 v2, v2, v4
	v_lshlrev_b32_e32 v4, 28, v28
	v_cmp_gt_i64_e64 s[36:37], 0, v[3:4]
	v_not_b32_e32 v4, v4
	v_ashrrev_i32_e32 v4, 31, v4
	v_and_b32_e32 v1, v1, v30
	v_xor_b32_e32 v30, s37, v4
	v_xor_b32_e32 v4, s36, v4
	v_and_b32_e32 v2, v2, v4
	v_lshlrev_b32_e32 v4, 27, v28
	v_cmp_gt_i64_e64 s[36:37], 0, v[3:4]
	v_not_b32_e32 v4, v4
	;; [unrolled: 8-line block ×4, first 2 shown]
	v_ashrrev_i32_e32 v4, 31, v4
	v_and_b32_e32 v1, v1, v30
	v_xor_b32_e32 v30, s37, v4
	v_xor_b32_e32 v4, s36, v4
	v_and_b32_e32 v1, v1, v30
	v_and_b32_e32 v30, v2, v4
	;; [unrolled: 1-line block ×3, first 2 shown]
	v_cmp_gt_i64_e64 s[36:37], 0, v[3:4]
	v_not_b32_e32 v2, v4
	v_ashrrev_i32_e32 v2, 31, v2
	v_xor_b32_e32 v4, s37, v2
	v_xor_b32_e32 v31, s36, v2
	v_and_b32_e32 v2, v1, v4
	v_and_b32_e32 v1, v30, v31
	v_mbcnt_lo_u32_b32 v4, v1, 0
	v_mbcnt_hi_u32_b32 v30, v2, v4
	v_cmp_ne_u64_e64 s[36:37], 0, v[1:2]
	v_mul_u32_u24_e32 v5, 20, v28
	v_cmp_eq_u32_e64 s[38:39], 0, v30
	s_and_b64 s[38:39], s[36:37], s[38:39]
	v_add_u32_e32 v31, v15, v5
	; wave barrier
	s_and_saveexec_b64 s[36:37], s[38:39]
	s_cbranch_execz .LBB276_10
; %bb.9:                                ;   in Loop: Header=BB276_2 Depth=1
	v_bcnt_u32_b32 v1, v1, 0
	v_bcnt_u32_b32 v1, v2, v1
	s_waitcnt lgkmcnt(0)
	v_add_u32_e32 v1, v29, v1
	ds_write_b32 v31, v1 offset:20
.LBB276_10:                             ;   in Loop: Header=BB276_2 Depth=1
	s_or_b64 exec, exec, s[36:37]
	; wave barrier
	s_waitcnt lgkmcnt(0)
	s_barrier
	ds_read2_b32 v[4:5], v6 offset0:5 offset1:6
	ds_read2_b32 v[1:2], v6 offset0:7 offset1:8
	s_waitcnt lgkmcnt(1)
	v_add_u32_e32 v32, v5, v4
	s_waitcnt lgkmcnt(0)
	v_add3_u32 v2, v32, v1, v2
	s_nop 1
	v_mov_b32_dpp v32, v2 row_shr:1 row_mask:0xf bank_mask:0xf
	v_cndmask_b32_e64 v32, v32, 0, s[16:17]
	v_add_u32_e32 v2, v32, v2
	s_nop 1
	v_mov_b32_dpp v32, v2 row_shr:2 row_mask:0xf bank_mask:0xf
	v_cndmask_b32_e64 v32, 0, v32, s[18:19]
	v_add_u32_e32 v2, v2, v32
	s_nop 1
	v_mov_b32_dpp v32, v2 row_shr:4 row_mask:0xf bank_mask:0xf
	v_cndmask_b32_e64 v32, 0, v32, s[20:21]
	v_add_u32_e32 v2, v2, v32
	s_nop 1
	v_mov_b32_dpp v32, v2 row_shr:8 row_mask:0xf bank_mask:0xf
	v_cndmask_b32_e64 v32, 0, v32, s[22:23]
	v_add_u32_e32 v2, v2, v32
	s_nop 1
	v_mov_b32_dpp v32, v2 row_bcast:15 row_mask:0xf bank_mask:0xf
	v_cndmask_b32_e64 v32, v32, 0, s[24:25]
	v_add_u32_e32 v2, v2, v32
	s_nop 1
	v_mov_b32_dpp v32, v2 row_bcast:31 row_mask:0xf bank_mask:0xf
	v_cndmask_b32_e64 v32, 0, v32, s[4:5]
	v_add_u32_e32 v2, v2, v32
	s_and_saveexec_b64 s[36:37], s[34:35]
; %bb.11:                               ;   in Loop: Header=BB276_2 Depth=1
	ds_write_b32 v7, v2
; %bb.12:                               ;   in Loop: Header=BB276_2 Depth=1
	s_or_b64 exec, exec, s[36:37]
	s_waitcnt lgkmcnt(0)
	s_barrier
	s_and_saveexec_b64 s[36:37], vcc
	s_cbranch_execz .LBB276_14
; %bb.13:                               ;   in Loop: Header=BB276_2 Depth=1
	ds_read_b32 v32, v8
	s_waitcnt lgkmcnt(0)
	s_nop 0
	v_mov_b32_dpp v33, v32 row_shr:1 row_mask:0xf bank_mask:0xf
	v_cndmask_b32_e64 v33, v33, 0, s[26:27]
	v_add_u32_e32 v32, v33, v32
	s_nop 1
	v_mov_b32_dpp v33, v32 row_shr:2 row_mask:0xf bank_mask:0xf
	v_cndmask_b32_e64 v33, 0, v33, s[28:29]
	v_add_u32_e32 v32, v32, v33
	;; [unrolled: 4-line block ×3, first 2 shown]
	ds_write_b32 v8, v32
.LBB276_14:                             ;   in Loop: Header=BB276_2 Depth=1
	s_or_b64 exec, exec, s[36:37]
	v_mov_b32_e32 v32, 0
	s_waitcnt lgkmcnt(0)
	s_barrier
	s_and_saveexec_b64 s[36:37], s[0:1]
	s_cbranch_execz .LBB276_1
; %bb.15:                               ;   in Loop: Header=BB276_2 Depth=1
	ds_read_b32 v32, v9
	s_branch .LBB276_1
.LBB276_16:
	s_add_u32 s0, s42, s33
	s_addc_u32 s1, s43, 0
	global_store_byte v0, v4, s[0:1]
	global_store_byte v0, v5, s[0:1] offset:320
	global_store_byte v0, v1, s[0:1] offset:640
	global_store_byte v0, v2, s[0:1] offset:960
	s_endpgm
	.section	.rodata,"a",@progbits
	.p2align	6, 0x0
	.amdhsa_kernel _Z16sort_keys_kernelI22helper_blocked_stripedaLj320ELj4ELj10EEvPKT0_PS1_
		.amdhsa_group_segment_fixed_size 5152
		.amdhsa_private_segment_fixed_size 0
		.amdhsa_kernarg_size 272
		.amdhsa_user_sgpr_count 6
		.amdhsa_user_sgpr_private_segment_buffer 1
		.amdhsa_user_sgpr_dispatch_ptr 0
		.amdhsa_user_sgpr_queue_ptr 0
		.amdhsa_user_sgpr_kernarg_segment_ptr 1
		.amdhsa_user_sgpr_dispatch_id 0
		.amdhsa_user_sgpr_flat_scratch_init 0
		.amdhsa_user_sgpr_private_segment_size 0
		.amdhsa_uses_dynamic_stack 0
		.amdhsa_system_sgpr_private_segment_wavefront_offset 0
		.amdhsa_system_sgpr_workgroup_id_x 1
		.amdhsa_system_sgpr_workgroup_id_y 0
		.amdhsa_system_sgpr_workgroup_id_z 0
		.amdhsa_system_sgpr_workgroup_info 0
		.amdhsa_system_vgpr_workitem_id 2
		.amdhsa_next_free_vgpr 34
		.amdhsa_next_free_sgpr 48
		.amdhsa_reserve_vcc 1
		.amdhsa_reserve_flat_scratch 0
		.amdhsa_float_round_mode_32 0
		.amdhsa_float_round_mode_16_64 0
		.amdhsa_float_denorm_mode_32 3
		.amdhsa_float_denorm_mode_16_64 3
		.amdhsa_dx10_clamp 1
		.amdhsa_ieee_mode 1
		.amdhsa_fp16_overflow 0
		.amdhsa_exception_fp_ieee_invalid_op 0
		.amdhsa_exception_fp_denorm_src 0
		.amdhsa_exception_fp_ieee_div_zero 0
		.amdhsa_exception_fp_ieee_overflow 0
		.amdhsa_exception_fp_ieee_underflow 0
		.amdhsa_exception_fp_ieee_inexact 0
		.amdhsa_exception_int_div_zero 0
	.end_amdhsa_kernel
	.section	.text._Z16sort_keys_kernelI22helper_blocked_stripedaLj320ELj4ELj10EEvPKT0_PS1_,"axG",@progbits,_Z16sort_keys_kernelI22helper_blocked_stripedaLj320ELj4ELj10EEvPKT0_PS1_,comdat
.Lfunc_end276:
	.size	_Z16sort_keys_kernelI22helper_blocked_stripedaLj320ELj4ELj10EEvPKT0_PS1_, .Lfunc_end276-_Z16sort_keys_kernelI22helper_blocked_stripedaLj320ELj4ELj10EEvPKT0_PS1_
                                        ; -- End function
	.set _Z16sort_keys_kernelI22helper_blocked_stripedaLj320ELj4ELj10EEvPKT0_PS1_.num_vgpr, 34
	.set _Z16sort_keys_kernelI22helper_blocked_stripedaLj320ELj4ELj10EEvPKT0_PS1_.num_agpr, 0
	.set _Z16sort_keys_kernelI22helper_blocked_stripedaLj320ELj4ELj10EEvPKT0_PS1_.numbered_sgpr, 48
	.set _Z16sort_keys_kernelI22helper_blocked_stripedaLj320ELj4ELj10EEvPKT0_PS1_.num_named_barrier, 0
	.set _Z16sort_keys_kernelI22helper_blocked_stripedaLj320ELj4ELj10EEvPKT0_PS1_.private_seg_size, 0
	.set _Z16sort_keys_kernelI22helper_blocked_stripedaLj320ELj4ELj10EEvPKT0_PS1_.uses_vcc, 1
	.set _Z16sort_keys_kernelI22helper_blocked_stripedaLj320ELj4ELj10EEvPKT0_PS1_.uses_flat_scratch, 0
	.set _Z16sort_keys_kernelI22helper_blocked_stripedaLj320ELj4ELj10EEvPKT0_PS1_.has_dyn_sized_stack, 0
	.set _Z16sort_keys_kernelI22helper_blocked_stripedaLj320ELj4ELj10EEvPKT0_PS1_.has_recursion, 0
	.set _Z16sort_keys_kernelI22helper_blocked_stripedaLj320ELj4ELj10EEvPKT0_PS1_.has_indirect_call, 0
	.section	.AMDGPU.csdata,"",@progbits
; Kernel info:
; codeLenInByte = 3464
; TotalNumSgprs: 52
; NumVgprs: 34
; ScratchSize: 0
; MemoryBound: 0
; FloatMode: 240
; IeeeMode: 1
; LDSByteSize: 5152 bytes/workgroup (compile time only)
; SGPRBlocks: 6
; VGPRBlocks: 8
; NumSGPRsForWavesPerEU: 52
; NumVGPRsForWavesPerEU: 34
; Occupancy: 7
; WaveLimiterHint : 1
; COMPUTE_PGM_RSRC2:SCRATCH_EN: 0
; COMPUTE_PGM_RSRC2:USER_SGPR: 6
; COMPUTE_PGM_RSRC2:TRAP_HANDLER: 0
; COMPUTE_PGM_RSRC2:TGID_X_EN: 1
; COMPUTE_PGM_RSRC2:TGID_Y_EN: 0
; COMPUTE_PGM_RSRC2:TGID_Z_EN: 0
; COMPUTE_PGM_RSRC2:TIDIG_COMP_CNT: 2
	.section	.text._Z17sort_pairs_kernelI22helper_blocked_stripedaLj320ELj4ELj10EEvPKT0_PS1_,"axG",@progbits,_Z17sort_pairs_kernelI22helper_blocked_stripedaLj320ELj4ELj10EEvPKT0_PS1_,comdat
	.protected	_Z17sort_pairs_kernelI22helper_blocked_stripedaLj320ELj4ELj10EEvPKT0_PS1_ ; -- Begin function _Z17sort_pairs_kernelI22helper_blocked_stripedaLj320ELj4ELj10EEvPKT0_PS1_
	.globl	_Z17sort_pairs_kernelI22helper_blocked_stripedaLj320ELj4ELj10EEvPKT0_PS1_
	.p2align	8
	.type	_Z17sort_pairs_kernelI22helper_blocked_stripedaLj320ELj4ELj10EEvPKT0_PS1_,@function
_Z17sort_pairs_kernelI22helper_blocked_stripedaLj320ELj4ELj10EEvPKT0_PS1_: ; @_Z17sort_pairs_kernelI22helper_blocked_stripedaLj320ELj4ELj10EEvPKT0_PS1_
; %bb.0:
	s_load_dwordx4 s[40:43], s[4:5], 0x0
	s_load_dword s36, s[4:5], 0x1c
	s_mul_i32 s33, s6, 0x500
	v_lshlrev_b32_e32 v3, 2, v0
	v_mbcnt_lo_u32_b32 v5, -1, 0
	s_waitcnt lgkmcnt(0)
	s_add_u32 s0, s40, s33
	s_addc_u32 s1, s41, 0
	global_load_dword v4, v3, s[0:1]
	s_lshr_b32 s37, s36, 16
	s_and_b32 s36, s36, 0xffff
	v_mad_u32_u24 v1, v2, s37, v1
	v_mad_u64_u32 v[1:2], s[36:37], v1, s36, v[0:1]
	v_mbcnt_hi_u32_b32 v5, -1, v5
	v_and_b32_e32 v7, 0x1c0, v0
	v_and_b32_e32 v12, 64, v5
	v_subrev_co_u32_e64 v16, s[8:9], 1, v5
	v_lshrrev_b32_e32 v10, 2, v5
	v_and_b32_e32 v13, 15, v5
	v_min_u32_e32 v15, 0x100, v7
	v_cmp_lt_i32_e64 s[26:27], v16, v12
	v_lshrrev_b32_e32 v1, 4, v1
	v_and_b32_e32 v11, 3, v5
	v_and_b32_e32 v14, 16, v5
	v_cmp_lt_u32_e64 s[6:7], 31, v5
	v_and_b32_e32 v17, 7, v5
	v_add_u32_e32 v18, 48, v10
	v_cmp_eq_u32_e64 s[16:17], 0, v13
	v_cmp_lt_u32_e64 s[18:19], 1, v13
	v_cmp_lt_u32_e64 s[20:21], 3, v13
	;; [unrolled: 1-line block ×3, first 2 shown]
	v_or_b32_e32 v13, 63, v15
	v_cndmask_b32_e64 v5, v16, v5, s[26:27]
	v_and_b32_e32 v15, 0xffffffc, v1
	v_cmp_eq_u32_e64 s[24:25], 0, v14
	v_and_or_b32 v14, v18, 63, v12
	s_movk_i32 s38, 0x100
	v_lshrrev_b32_e32 v8, 4, v0
	v_cmp_eq_u32_e64 s[10:11], 3, v11
	v_cmp_eq_u32_e64 s[12:13], 2, v11
	;; [unrolled: 1-line block ×3, first 2 shown]
	v_cmp_eq_u32_e32 vcc, 0, v11
	v_or_b32_e32 v11, v10, v12
	v_mul_u32_u24_e32 v9, 3, v0
	v_and_b32_e32 v7, 28, v8
	v_lshlrev_b32_e32 v10, 2, v11
	s_movk_i32 s40, 0xff
	s_mov_b32 s41, 0xffff
	s_mov_b32 s44, 10
	;; [unrolled: 1-line block ×5, first 2 shown]
	v_mov_b32_e32 v3, 0
	s_mov_b32 s48, 0x7060004
	s_mov_b32 s49, 0xc0c0006
	;; [unrolled: 1-line block ×3, first 2 shown]
	v_lshlrev_b32_e32 v6, 4, v0
	v_cmp_gt_u32_e64 s[0:1], 5, v0
	v_cmp_lt_u32_e64 s[2:3], 63, v0
	v_cmp_eq_u32_e64 s[4:5], 0, v0
	v_add_u32_e32 v8, v0, v9
	v_cmp_eq_u32_e64 s[26:27], 0, v17
	v_cmp_lt_u32_e64 s[28:29], 1, v17
	v_cmp_lt_u32_e64 s[30:31], 3, v17
	v_add_u32_e32 v9, -4, v7
	v_cmp_eq_u32_e64 s[34:35], v0, v13
	v_lshlrev_b32_e32 v11, 2, v5
	v_add_u32_e32 v12, 64, v10
	v_or_b32_e32 v13, 0x80, v10
	v_lshlrev_b32_e32 v14, 2, v14
	s_waitcnt vmcnt(0)
	v_lshrrev_b32_e32 v2, 16, v4
	v_and_b32_e32 v1, 0xffffff00, v4
	v_add_u16_e32 v16, 1, v4
	v_or_b32_sdwa v1, v1, v16 dst_sel:DWORD dst_unused:UNUSED_PAD src0_sel:DWORD src1_sel:BYTE_0
	v_and_b32_e32 v16, 0xffffff00, v2
	v_add_u16_e32 v18, 1, v2
	v_or_b32_sdwa v16, v16, v18 dst_sel:DWORD dst_unused:UNUSED_PAD src0_sel:DWORD src1_sel:BYTE_0
	v_add_u16_e32 v1, 0x100, v1
	v_add_u16_sdwa v16, v16, s38 dst_sel:WORD_1 dst_unused:UNUSED_PAD src0_sel:DWORD src1_sel:DWORD
	v_lshrrev_b32_e32 v5, 24, v4
	v_lshrrev_b32_e32 v17, 8, v4
	v_or_b32_e32 v1, v1, v16
	v_mov_b32_e32 v16, 20
	s_branch .LBB277_2
.LBB277_1:                              ;   in Loop: Header=BB277_2 Depth=1
	s_or_b64 exec, exec, s[36:37]
	v_cndmask_b32_sdwa v18, v3, v18, vcc dst_sel:DWORD dst_unused:UNUSED_PAD src0_sel:DWORD src1_sel:BYTE_0
	v_and_b32_e32 v19, 0xff, v19
	v_cndmask_b32_e64 v18, v18, v19, s[14:15]
	v_and_b32_e32 v19, 0xff, v36
	v_cndmask_b32_e64 v18, v18, v19, s[12:13]
	v_perm_b32 v19, v37, v18, s45
	v_cndmask_b32_e64 v18, v18, v19, s[10:11]
	v_perm_b32 v19, v18, v32, s48
	v_cndmask_b32_e32 v18, v18, v19, vcc
	v_perm_b32 v19, v18, v33, s48
	v_cndmask_b32_e64 v18, v18, v19, s[14:15]
	v_perm_b32 v19, v18, v34, s48
	v_cndmask_b32_e64 v18, v18, v19, s[12:13]
	;; [unrolled: 2-line block ×3, first 2 shown]
	v_perm_b32 v19, v31, v18, s47
	v_lshlrev_b32_e32 v19, 16, v19
	v_and_or_b32 v19, v18, s41, v19
	v_cndmask_b32_e32 v18, v18, v19, vcc
	v_perm_b32 v19, v28, v18, s47
	v_lshlrev_b32_e32 v19, 16, v19
	v_and_or_b32 v19, v18, s41, v19
	v_cndmask_b32_e64 v18, v18, v19, s[14:15]
	v_perm_b32 v19, v29, v18, s47
	v_lshlrev_b32_e32 v19, 16, v19
	v_and_or_b32 v19, v18, s41, v19
	v_cndmask_b32_e64 v18, v18, v19, s[12:13]
	;; [unrolled: 4-line block ×3, first 2 shown]
	v_perm_b32 v19, v18, v25, s49
	s_waitcnt lgkmcnt(0)
	v_add_u32_e32 v5, v48, v5
	v_lshlrev_b32_e32 v19, 16, v19
	ds_bpermute_b32 v5, v11, v5
	v_and_or_b32 v19, v18, s41, v19
	v_cndmask_b32_e32 v18, v18, v19, vcc
	v_perm_b32 v19, v18, v22, s49
	v_lshlrev_b32_e32 v19, 16, v19
	v_and_or_b32 v19, v18, s41, v19
	s_waitcnt lgkmcnt(0)
	v_cndmask_b32_e64 v5, v5, v48, s[8:9]
	v_cndmask_b32_e64 v18, v18, v19, s[14:15]
	v_cndmask_b32_e64 v5, v5, 0, s[4:5]
	v_perm_b32 v19, v18, v23, s49
	v_add_u32_e32 v1, v5, v1
	v_lshlrev_b32_e32 v19, 16, v19
	v_add_u32_e32 v2, v1, v2
	v_and_or_b32 v19, v18, s41, v19
	v_add_u32_e32 v4, v2, v4
	v_cndmask_b32_e64 v18, v18, v19, s[12:13]
	ds_write2_b32 v6, v5, v1 offset0:5 offset1:6
	ds_write2_b32 v6, v2, v4 offset0:7 offset1:8
	s_waitcnt lgkmcnt(0)
	s_barrier
	ds_read_b32 v1, v21 offset:20
	ds_read_b32 v2, v39 offset:20
	;; [unrolled: 1-line block ×4, first 2 shown]
	v_perm_b32 v19, v18, v24, s49
	v_lshlrev_b32_e32 v19, 16, v19
	v_and_or_b32 v19, v18, s41, v19
	v_cndmask_b32_e64 v18, v18, v19, s[10:11]
	v_lshrrev_b32_e32 v19, 8, v18
	s_waitcnt lgkmcnt(3)
	v_add_u32_e32 v1, v1, v20
	s_waitcnt lgkmcnt(2)
	v_add3_u32 v2, v38, v27, v2
	s_waitcnt lgkmcnt(1)
	v_add3_u32 v4, v42, v41, v4
	;; [unrolled: 2-line block ×3, first 2 shown]
	v_lshrrev_b32_e32 v22, 24, v18
	s_barrier
	ds_write_b8 v1, v17
	ds_write_b8 v2, v26
	;; [unrolled: 1-line block ×4, first 2 shown]
	s_waitcnt lgkmcnt(0)
	s_barrier
	ds_read_u8 v17, v0
	ds_read_u8 v23, v0 offset:320
	ds_read_u8 v24, v0 offset:640
	;; [unrolled: 1-line block ×3, first 2 shown]
	s_waitcnt lgkmcnt(0)
	s_barrier
	ds_write_b8 v1, v18
	ds_write_b8 v2, v19
	ds_write_b8_d16_hi v4, v18
	ds_write_b8 v5, v22
	s_waitcnt lgkmcnt(0)
	s_barrier
	ds_read_u8 v18, v0
	ds_read_u8 v19, v0 offset:320
	ds_read_u8 v20, v0 offset:640
	;; [unrolled: 1-line block ×3, first 2 shown]
	s_add_i32 s44, s44, -1
	v_xor_b32_e32 v4, 0xffffff80, v17
	s_waitcnt lgkmcnt(2)
	v_perm_b32 v1, v18, v19, s50
	v_xor_b32_e32 v17, 0xffffff80, v23
	s_waitcnt lgkmcnt(0)
	v_perm_b32 v2, v20, v21, s50
	v_lshl_or_b32 v1, v2, 16, v1
	v_xor_b32_e32 v2, 0xffffff80, v24
	s_cmp_eq_u32 s44, 0
	v_xor_b32_e32 v5, 0xffffff80, v25
	s_cbranch_scc1 .LBB277_16
.LBB277_2:                              ; =>This Inner Loop Header: Depth=1
	v_xor_b32_e32 v4, 0x80, v4
	v_xor_b32_e32 v17, 0x80, v17
	v_and_b32_e32 v4, 0xff, v4
	ds_bpermute_b32 v18, v10, v4
	v_xor_b32_e32 v2, 0x80, v2
	v_and_b32_e32 v17, 0xff, v17
	ds_bpermute_b32 v19, v10, v17
	v_and_b32_e32 v2, 0xff, v2
	ds_bpermute_b32 v20, v10, v2
	v_xor_b32_e32 v5, 0x80, v5
	v_and_b32_e32 v5, 0xff, v5
	s_waitcnt lgkmcnt(2)
	v_and_b32_e32 v18, 0xff, v18
	ds_bpermute_b32 v21, v10, v5
	v_cndmask_b32_e32 v18, 0, v18, vcc
	s_waitcnt lgkmcnt(2)
	v_and_b32_e32 v19, 0xff, v19
	v_cndmask_b32_e64 v18, v18, v19, s[14:15]
	s_waitcnt lgkmcnt(1)
	v_and_b32_e32 v19, 0xff, v20
	ds_bpermute_b32 v20, v12, v4
	v_cndmask_b32_e64 v18, v18, v19, s[12:13]
	s_waitcnt lgkmcnt(1)
	v_perm_b32 v19, v21, v18, s45
	v_cndmask_b32_e64 v18, v18, v19, s[10:11]
	ds_bpermute_b32 v19, v12, v17
	s_waitcnt lgkmcnt(1)
	v_lshlrev_b16_e32 v20, 8, v20
	v_or_b32_sdwa v20, v18, v20 dst_sel:DWORD dst_unused:UNUSED_PAD src0_sel:BYTE_0 src1_sel:DWORD
	v_and_b32_e32 v20, 0xffff, v20
	v_cndmask_b32_e32 v18, v18, v20, vcc
	ds_bpermute_b32 v20, v12, v2
	s_waitcnt lgkmcnt(1)
	v_lshlrev_b16_e32 v19, 8, v19
	v_or_b32_sdwa v19, v18, v19 dst_sel:DWORD dst_unused:UNUSED_PAD src0_sel:BYTE_0 src1_sel:DWORD
	v_and_b32_e32 v19, 0xffff, v19
	v_and_or_b32 v19, v18, s46, v19
	v_cndmask_b32_e64 v18, v18, v19, s[14:15]
	s_waitcnt lgkmcnt(0)
	v_lshlrev_b16_e32 v19, 8, v20
	ds_bpermute_b32 v20, v12, v5
	v_or_b32_sdwa v19, v18, v19 dst_sel:DWORD dst_unused:UNUSED_PAD src0_sel:BYTE_0 src1_sel:DWORD
	v_and_b32_e32 v19, 0xffff, v19
	v_and_or_b32 v19, v18, s46, v19
	v_cndmask_b32_e64 v18, v18, v19, s[12:13]
	s_waitcnt lgkmcnt(0)
	v_lshlrev_b16_e32 v19, 8, v20
	ds_bpermute_b32 v20, v13, v4
	v_or_b32_sdwa v19, v18, v19 dst_sel:DWORD dst_unused:UNUSED_PAD src0_sel:BYTE_0 src1_sel:DWORD
	v_and_b32_e32 v19, 0xffff, v19
	v_and_or_b32 v19, v18, s46, v19
	v_cndmask_b32_e64 v18, v18, v19, s[10:11]
	ds_bpermute_b32 v19, v13, v17
	s_waitcnt lgkmcnt(1)
	v_perm_b32 v20, v20, v18, s47
	v_lshlrev_b32_e32 v20, 16, v20
	v_and_or_b32 v20, v18, s41, v20
	v_cndmask_b32_e32 v18, v18, v20, vcc
	ds_bpermute_b32 v20, v13, v2
	s_waitcnt lgkmcnt(1)
	v_perm_b32 v19, v19, v18, s47
	v_lshlrev_b32_e32 v19, 16, v19
	v_and_or_b32 v19, v18, s41, v19
	v_cndmask_b32_e64 v18, v18, v19, s[14:15]
	ds_bpermute_b32 v19, v13, v5
	s_waitcnt lgkmcnt(1)
	v_perm_b32 v20, v20, v18, s47
	v_lshlrev_b32_e32 v20, 16, v20
	v_and_or_b32 v20, v18, s41, v20
	v_cndmask_b32_e64 v18, v18, v20, s[12:13]
	;; [unrolled: 6-line block ×3, first 2 shown]
	ds_bpermute_b32 v17, v14, v17
	v_and_b32_sdwa v19, v18, s40 dst_sel:DWORD dst_unused:UNUSED_PAD src0_sel:WORD_1 src1_sel:DWORD
	s_waitcnt lgkmcnt(1)
	v_lshlrev_b16_e32 v4, 8, v4
	v_or_b32_sdwa v4, v19, v4 dst_sel:WORD_1 dst_unused:UNUSED_PAD src0_sel:DWORD src1_sel:DWORD
	v_and_or_b32 v4, v18, s41, v4
	v_cndmask_b32_e32 v4, v18, v4, vcc
	ds_bpermute_b32 v2, v14, v2
	v_and_b32_sdwa v18, v4, s40 dst_sel:DWORD dst_unused:UNUSED_PAD src0_sel:WORD_1 src1_sel:DWORD
	s_waitcnt lgkmcnt(1)
	v_lshlrev_b16_e32 v17, 8, v17
	v_or_b32_sdwa v17, v18, v17 dst_sel:WORD_1 dst_unused:UNUSED_PAD src0_sel:DWORD src1_sel:DWORD
	v_and_or_b32 v17, v4, s41, v17
	v_cndmask_b32_e64 v4, v4, v17, s[14:15]
	ds_bpermute_b32 v5, v14, v5
	v_and_b32_sdwa v17, v4, s40 dst_sel:DWORD dst_unused:UNUSED_PAD src0_sel:WORD_1 src1_sel:DWORD
	s_waitcnt lgkmcnt(1)
	v_lshlrev_b16_e32 v2, 8, v2
	v_or_b32_sdwa v2, v17, v2 dst_sel:WORD_1 dst_unused:UNUSED_PAD src0_sel:DWORD src1_sel:DWORD
	v_and_or_b32 v2, v4, s41, v2
	v_cndmask_b32_e64 v2, v4, v2, s[12:13]
	v_and_b32_sdwa v4, v2, s40 dst_sel:DWORD dst_unused:UNUSED_PAD src0_sel:WORD_1 src1_sel:DWORD
	s_waitcnt lgkmcnt(0)
	v_lshlrev_b16_e32 v5, 8, v5
	v_or_b32_sdwa v4, v4, v5 dst_sel:WORD_1 dst_unused:UNUSED_PAD src0_sel:DWORD src1_sel:DWORD
	v_and_or_b32 v4, v2, s41, v4
	v_cndmask_b32_e64 v17, v2, v4, s[10:11]
	v_and_b32_e32 v5, 0xff, v1
	v_bfe_u32 v20, v1, 8, 8
	v_bfe_u32 v21, v1, 16, 8
	v_lshrrev_b32_e32 v24, 24, v1
	v_and_b32_e32 v1, 1, v17
	v_add_co_u32_e64 v2, s[36:37], -1, v1
	v_addc_co_u32_e64 v4, s[36:37], 0, -1, s[36:37]
	v_cmp_ne_u32_e64 s[36:37], 0, v1
	v_xor_b32_e32 v1, s37, v4
	v_lshlrev_b32_e32 v4, 30, v17
	v_xor_b32_e32 v2, s36, v2
	v_cmp_gt_i64_e64 s[36:37], 0, v[3:4]
	v_not_b32_e32 v4, v4
	v_ashrrev_i32_e32 v4, 31, v4
	v_and_b32_e32 v2, exec_lo, v2
	v_xor_b32_e32 v22, s37, v4
	v_xor_b32_e32 v4, s36, v4
	v_and_b32_e32 v2, v2, v4
	v_lshlrev_b32_e32 v4, 29, v17
	v_cmp_gt_i64_e64 s[36:37], 0, v[3:4]
	v_not_b32_e32 v4, v4
	v_and_b32_e32 v1, exec_hi, v1
	v_ashrrev_i32_e32 v4, 31, v4
	v_and_b32_e32 v1, v1, v22
	v_xor_b32_e32 v22, s37, v4
	v_xor_b32_e32 v4, s36, v4
	v_and_b32_e32 v2, v2, v4
	v_lshlrev_b32_e32 v4, 28, v17
	v_cmp_gt_i64_e64 s[36:37], 0, v[3:4]
	v_not_b32_e32 v4, v4
	v_ashrrev_i32_e32 v4, 31, v4
	v_and_b32_e32 v1, v1, v22
	v_xor_b32_e32 v22, s37, v4
	v_xor_b32_e32 v4, s36, v4
	v_and_b32_e32 v2, v2, v4
	v_lshlrev_b32_e32 v4, 27, v17
	v_cmp_gt_i64_e64 s[36:37], 0, v[3:4]
	v_not_b32_e32 v4, v4
	;; [unrolled: 8-line block ×4, first 2 shown]
	v_ashrrev_i32_e32 v4, 31, v4
	v_and_b32_e32 v1, v1, v22
	v_xor_b32_e32 v22, s37, v4
	v_xor_b32_e32 v4, s36, v4
	v_and_b32_e32 v1, v1, v22
	v_and_b32_e32 v22, v2, v4
	v_lshlrev_b32_e32 v4, 24, v17
	v_cmp_gt_i64_e64 s[36:37], 0, v[3:4]
	v_not_b32_e32 v2, v4
	v_ashrrev_i32_e32 v2, 31, v2
	v_xor_b32_e32 v4, s37, v2
	v_xor_b32_e32 v23, s36, v2
	ds_bpermute_b32 v18, v10, v5
	ds_bpermute_b32 v19, v10, v20
	v_and_b32_e32 v2, v1, v4
	v_and_b32_e32 v1, v22, v23
	ds_bpermute_b32 v32, v12, v5
	ds_bpermute_b32 v31, v13, v5
	;; [unrolled: 1-line block ×14, first 2 shown]
	v_mbcnt_lo_u32_b32 v4, v1, 0
	v_mbcnt_hi_u32_b32 v20, v2, v4
	v_cmp_ne_u64_e64 s[36:37], 0, v[1:2]
	v_cmp_eq_u32_e64 s[38:39], 0, v20
	v_mul_u32_u24_sdwa v4, v17, v16 dst_sel:DWORD dst_unused:UNUSED_PAD src0_sel:BYTE_0 src1_sel:DWORD
	s_and_b64 s[38:39], s[36:37], s[38:39]
	v_add_u32_e32 v21, v15, v4
	s_waitcnt lgkmcnt(0)
	s_barrier
	ds_write2_b32 v6, v3, v3 offset0:5 offset1:6
	ds_write2_b32 v6, v3, v3 offset0:7 offset1:8
	s_waitcnt lgkmcnt(0)
	s_barrier
	; wave barrier
	s_and_saveexec_b64 s[36:37], s[38:39]
; %bb.3:                                ;   in Loop: Header=BB277_2 Depth=1
	v_bcnt_u32_b32 v1, v1, 0
	v_bcnt_u32_b32 v1, v2, v1
	ds_write_b32 v21, v1 offset:20
; %bb.4:                                ;   in Loop: Header=BB277_2 Depth=1
	s_or_b64 exec, exec, s[36:37]
	v_bfe_u32 v1, v17, 8, 8
	v_mul_u32_u24_e32 v5, 20, v1
	v_mad_u32_u24 v1, v1, 20, v15
	; wave barrier
	ds_read_b32 v27, v1 offset:20
	v_bfe_u32 v1, v17, 8, 1
	v_add_co_u32_e64 v2, s[36:37], -1, v1
	v_addc_co_u32_e64 v4, s[36:37], 0, -1, s[36:37]
	v_lshrrev_b32_e32 v26, 8, v17
	v_cmp_ne_u32_e64 s[36:37], 0, v1
	v_xor_b32_e32 v1, s37, v4
	v_lshlrev_b32_e32 v4, 30, v26
	v_xor_b32_e32 v2, s36, v2
	v_cmp_gt_i64_e64 s[36:37], 0, v[3:4]
	v_not_b32_e32 v4, v4
	v_ashrrev_i32_e32 v4, 31, v4
	v_and_b32_e32 v2, exec_lo, v2
	v_xor_b32_e32 v38, s37, v4
	v_xor_b32_e32 v4, s36, v4
	v_and_b32_e32 v2, v2, v4
	v_lshlrev_b32_e32 v4, 29, v26
	v_cmp_gt_i64_e64 s[36:37], 0, v[3:4]
	v_not_b32_e32 v4, v4
	v_and_b32_e32 v1, exec_hi, v1
	v_ashrrev_i32_e32 v4, 31, v4
	v_and_b32_e32 v1, v1, v38
	v_xor_b32_e32 v38, s37, v4
	v_xor_b32_e32 v4, s36, v4
	v_and_b32_e32 v2, v2, v4
	v_lshlrev_b32_e32 v4, 28, v26
	v_cmp_gt_i64_e64 s[36:37], 0, v[3:4]
	v_not_b32_e32 v4, v4
	v_ashrrev_i32_e32 v4, 31, v4
	v_and_b32_e32 v1, v1, v38
	v_xor_b32_e32 v38, s37, v4
	v_xor_b32_e32 v4, s36, v4
	v_and_b32_e32 v2, v2, v4
	v_lshlrev_b32_e32 v4, 27, v26
	v_cmp_gt_i64_e64 s[36:37], 0, v[3:4]
	v_not_b32_e32 v4, v4
	;; [unrolled: 8-line block ×4, first 2 shown]
	v_ashrrev_i32_e32 v4, 31, v4
	v_and_b32_e32 v1, v1, v38
	v_xor_b32_e32 v38, s37, v4
	v_xor_b32_e32 v4, s36, v4
	v_and_b32_e32 v1, v1, v38
	v_and_b32_e32 v38, v2, v4
	v_lshlrev_b32_e32 v4, 24, v26
	v_cmp_gt_i64_e64 s[36:37], 0, v[3:4]
	v_not_b32_e32 v2, v4
	v_ashrrev_i32_e32 v2, 31, v2
	v_xor_b32_e32 v4, s37, v2
	v_xor_b32_e32 v39, s36, v2
	v_and_b32_e32 v2, v1, v4
	v_and_b32_e32 v1, v38, v39
	v_mbcnt_lo_u32_b32 v4, v1, 0
	v_mbcnt_hi_u32_b32 v38, v2, v4
	v_cmp_ne_u64_e64 s[36:37], 0, v[1:2]
	v_cmp_eq_u32_e64 s[38:39], 0, v38
	s_and_b64 s[38:39], s[36:37], s[38:39]
	v_add_u32_e32 v39, v15, v5
	; wave barrier
	s_and_saveexec_b64 s[36:37], s[38:39]
	s_cbranch_execz .LBB277_6
; %bb.5:                                ;   in Loop: Header=BB277_2 Depth=1
	v_bcnt_u32_b32 v1, v1, 0
	v_bcnt_u32_b32 v1, v2, v1
	s_waitcnt lgkmcnt(0)
	v_add_u32_e32 v1, v27, v1
	ds_write_b32 v39, v1 offset:20
.LBB277_6:                              ;   in Loop: Header=BB277_2 Depth=1
	s_or_b64 exec, exec, s[36:37]
	v_bfe_u32 v1, v17, 16, 8
	v_mul_u32_u24_e32 v5, 20, v1
	v_mad_u32_u24 v1, v1, 20, v15
	; wave barrier
	ds_read_b32 v41, v1 offset:20
	v_bfe_u32 v1, v17, 16, 1
	v_add_co_u32_e64 v2, s[36:37], -1, v1
	v_addc_co_u32_e64 v4, s[36:37], 0, -1, s[36:37]
	v_lshrrev_b32_e32 v40, 16, v17
	v_cmp_ne_u32_e64 s[36:37], 0, v1
	v_xor_b32_e32 v1, s37, v4
	v_lshlrev_b32_e32 v4, 30, v40
	v_xor_b32_e32 v2, s36, v2
	v_cmp_gt_i64_e64 s[36:37], 0, v[3:4]
	v_not_b32_e32 v4, v4
	v_ashrrev_i32_e32 v4, 31, v4
	v_and_b32_e32 v2, exec_lo, v2
	v_xor_b32_e32 v42, s37, v4
	v_xor_b32_e32 v4, s36, v4
	v_and_b32_e32 v2, v2, v4
	v_lshlrev_b32_e32 v4, 29, v40
	v_cmp_gt_i64_e64 s[36:37], 0, v[3:4]
	v_not_b32_e32 v4, v4
	v_and_b32_e32 v1, exec_hi, v1
	v_ashrrev_i32_e32 v4, 31, v4
	v_and_b32_e32 v1, v1, v42
	v_xor_b32_e32 v42, s37, v4
	v_xor_b32_e32 v4, s36, v4
	v_and_b32_e32 v2, v2, v4
	v_lshlrev_b32_e32 v4, 28, v40
	v_cmp_gt_i64_e64 s[36:37], 0, v[3:4]
	v_not_b32_e32 v4, v4
	v_ashrrev_i32_e32 v4, 31, v4
	v_and_b32_e32 v1, v1, v42
	v_xor_b32_e32 v42, s37, v4
	v_xor_b32_e32 v4, s36, v4
	v_and_b32_e32 v2, v2, v4
	v_lshlrev_b32_e32 v4, 27, v40
	v_cmp_gt_i64_e64 s[36:37], 0, v[3:4]
	v_not_b32_e32 v4, v4
	v_ashrrev_i32_e32 v4, 31, v4
	v_and_b32_e32 v1, v1, v42
	v_xor_b32_e32 v42, s37, v4
	v_xor_b32_e32 v4, s36, v4
	v_and_b32_e32 v2, v2, v4
	v_lshlrev_b32_e32 v4, 26, v40
	v_cmp_gt_i64_e64 s[36:37], 0, v[3:4]
	v_not_b32_e32 v4, v4
	v_ashrrev_i32_e32 v4, 31, v4
	v_and_b32_e32 v1, v1, v42
	v_xor_b32_e32 v42, s37, v4
	v_xor_b32_e32 v4, s36, v4
	v_and_b32_e32 v2, v2, v4
	v_lshlrev_b32_e32 v4, 25, v40
	v_cmp_gt_i64_e64 s[36:37], 0, v[3:4]
	v_not_b32_e32 v4, v4
	v_ashrrev_i32_e32 v4, 31, v4
	v_and_b32_e32 v1, v1, v42
	v_xor_b32_e32 v42, s37, v4
	v_xor_b32_e32 v4, s36, v4
	v_and_b32_e32 v1, v1, v42
	v_and_b32_e32 v42, v2, v4
	v_lshlrev_b32_e32 v4, 24, v40
	v_cmp_gt_i64_e64 s[36:37], 0, v[3:4]
	v_not_b32_e32 v2, v4
	v_ashrrev_i32_e32 v2, 31, v2
	v_xor_b32_e32 v4, s37, v2
	v_xor_b32_e32 v43, s36, v2
	v_and_b32_e32 v2, v1, v4
	v_and_b32_e32 v1, v42, v43
	v_mbcnt_lo_u32_b32 v4, v1, 0
	v_mbcnt_hi_u32_b32 v42, v2, v4
	v_cmp_ne_u64_e64 s[36:37], 0, v[1:2]
	v_cmp_eq_u32_e64 s[38:39], 0, v42
	s_and_b64 s[38:39], s[36:37], s[38:39]
	v_add_u32_e32 v43, v15, v5
	; wave barrier
	s_and_saveexec_b64 s[36:37], s[38:39]
	s_cbranch_execz .LBB277_8
; %bb.7:                                ;   in Loop: Header=BB277_2 Depth=1
	v_bcnt_u32_b32 v1, v1, 0
	v_bcnt_u32_b32 v1, v2, v1
	s_waitcnt lgkmcnt(0)
	v_add_u32_e32 v1, v41, v1
	ds_write_b32 v43, v1 offset:20
.LBB277_8:                              ;   in Loop: Header=BB277_2 Depth=1
	s_or_b64 exec, exec, s[36:37]
	v_lshrrev_b32_e32 v44, 24, v17
	v_mad_u32_u24 v1, v44, 20, v15
	; wave barrier
	ds_read_b32 v45, v1 offset:20
	v_bfe_u32 v1, v17, 24, 1
	v_add_co_u32_e64 v2, s[36:37], -1, v1
	v_addc_co_u32_e64 v4, s[36:37], 0, -1, s[36:37]
	v_cmp_ne_u32_e64 s[36:37], 0, v1
	v_xor_b32_e32 v1, s37, v4
	v_lshlrev_b32_e32 v4, 30, v44
	v_xor_b32_e32 v2, s36, v2
	v_cmp_gt_i64_e64 s[36:37], 0, v[3:4]
	v_not_b32_e32 v4, v4
	v_ashrrev_i32_e32 v4, 31, v4
	v_and_b32_e32 v2, exec_lo, v2
	v_xor_b32_e32 v46, s37, v4
	v_xor_b32_e32 v4, s36, v4
	v_and_b32_e32 v2, v2, v4
	v_lshlrev_b32_e32 v4, 29, v44
	v_cmp_gt_i64_e64 s[36:37], 0, v[3:4]
	v_not_b32_e32 v4, v4
	v_and_b32_e32 v1, exec_hi, v1
	v_ashrrev_i32_e32 v4, 31, v4
	v_and_b32_e32 v1, v1, v46
	v_xor_b32_e32 v46, s37, v4
	v_xor_b32_e32 v4, s36, v4
	v_and_b32_e32 v2, v2, v4
	v_lshlrev_b32_e32 v4, 28, v44
	v_cmp_gt_i64_e64 s[36:37], 0, v[3:4]
	v_not_b32_e32 v4, v4
	v_ashrrev_i32_e32 v4, 31, v4
	v_and_b32_e32 v1, v1, v46
	v_xor_b32_e32 v46, s37, v4
	v_xor_b32_e32 v4, s36, v4
	v_and_b32_e32 v2, v2, v4
	v_lshlrev_b32_e32 v4, 27, v44
	v_cmp_gt_i64_e64 s[36:37], 0, v[3:4]
	v_not_b32_e32 v4, v4
	;; [unrolled: 8-line block ×4, first 2 shown]
	v_ashrrev_i32_e32 v4, 31, v4
	v_and_b32_e32 v1, v1, v46
	v_xor_b32_e32 v46, s37, v4
	v_xor_b32_e32 v4, s36, v4
	v_and_b32_e32 v1, v1, v46
	v_and_b32_e32 v46, v2, v4
	;; [unrolled: 1-line block ×3, first 2 shown]
	v_cmp_gt_i64_e64 s[36:37], 0, v[3:4]
	v_not_b32_e32 v2, v4
	v_ashrrev_i32_e32 v2, 31, v2
	v_xor_b32_e32 v4, s37, v2
	v_xor_b32_e32 v47, s36, v2
	v_and_b32_e32 v2, v1, v4
	v_and_b32_e32 v1, v46, v47
	v_mbcnt_lo_u32_b32 v4, v1, 0
	v_mbcnt_hi_u32_b32 v46, v2, v4
	v_cmp_ne_u64_e64 s[36:37], 0, v[1:2]
	v_mul_u32_u24_e32 v5, 20, v44
	v_cmp_eq_u32_e64 s[38:39], 0, v46
	s_and_b64 s[38:39], s[36:37], s[38:39]
	v_add_u32_e32 v47, v15, v5
	; wave barrier
	s_and_saveexec_b64 s[36:37], s[38:39]
	s_cbranch_execz .LBB277_10
; %bb.9:                                ;   in Loop: Header=BB277_2 Depth=1
	v_bcnt_u32_b32 v1, v1, 0
	v_bcnt_u32_b32 v1, v2, v1
	s_waitcnt lgkmcnt(0)
	v_add_u32_e32 v1, v45, v1
	ds_write_b32 v47, v1 offset:20
.LBB277_10:                             ;   in Loop: Header=BB277_2 Depth=1
	s_or_b64 exec, exec, s[36:37]
	; wave barrier
	s_waitcnt lgkmcnt(0)
	s_barrier
	ds_read2_b32 v[1:2], v6 offset0:5 offset1:6
	ds_read2_b32 v[4:5], v6 offset0:7 offset1:8
	s_waitcnt lgkmcnt(1)
	v_add_u32_e32 v48, v2, v1
	s_waitcnt lgkmcnt(0)
	v_add3_u32 v5, v48, v4, v5
	s_nop 1
	v_mov_b32_dpp v48, v5 row_shr:1 row_mask:0xf bank_mask:0xf
	v_cndmask_b32_e64 v48, v48, 0, s[16:17]
	v_add_u32_e32 v5, v48, v5
	s_nop 1
	v_mov_b32_dpp v48, v5 row_shr:2 row_mask:0xf bank_mask:0xf
	v_cndmask_b32_e64 v48, 0, v48, s[18:19]
	v_add_u32_e32 v5, v5, v48
	;; [unrolled: 4-line block ×4, first 2 shown]
	s_nop 1
	v_mov_b32_dpp v48, v5 row_bcast:15 row_mask:0xf bank_mask:0xf
	v_cndmask_b32_e64 v48, v48, 0, s[24:25]
	v_add_u32_e32 v5, v5, v48
	s_nop 1
	v_mov_b32_dpp v48, v5 row_bcast:31 row_mask:0xf bank_mask:0xf
	v_cndmask_b32_e64 v48, 0, v48, s[6:7]
	v_add_u32_e32 v5, v5, v48
	s_and_saveexec_b64 s[36:37], s[34:35]
; %bb.11:                               ;   in Loop: Header=BB277_2 Depth=1
	ds_write_b32 v7, v5
; %bb.12:                               ;   in Loop: Header=BB277_2 Depth=1
	s_or_b64 exec, exec, s[36:37]
	s_waitcnt lgkmcnt(0)
	s_barrier
	s_and_saveexec_b64 s[36:37], s[0:1]
	s_cbranch_execz .LBB277_14
; %bb.13:                               ;   in Loop: Header=BB277_2 Depth=1
	ds_read_b32 v48, v8
	s_waitcnt lgkmcnt(0)
	s_nop 0
	v_mov_b32_dpp v49, v48 row_shr:1 row_mask:0xf bank_mask:0xf
	v_cndmask_b32_e64 v49, v49, 0, s[26:27]
	v_add_u32_e32 v48, v49, v48
	s_nop 1
	v_mov_b32_dpp v49, v48 row_shr:2 row_mask:0xf bank_mask:0xf
	v_cndmask_b32_e64 v49, 0, v49, s[28:29]
	v_add_u32_e32 v48, v48, v49
	;; [unrolled: 4-line block ×3, first 2 shown]
	ds_write_b32 v8, v48
.LBB277_14:                             ;   in Loop: Header=BB277_2 Depth=1
	s_or_b64 exec, exec, s[36:37]
	v_mov_b32_e32 v48, 0
	s_waitcnt lgkmcnt(0)
	s_barrier
	s_and_saveexec_b64 s[36:37], s[2:3]
	s_cbranch_execz .LBB277_1
; %bb.15:                               ;   in Loop: Header=BB277_2 Depth=1
	ds_read_b32 v48, v9
	s_branch .LBB277_1
.LBB277_16:
	s_add_u32 s0, s42, s33
	v_add_u16_e32 v1, v4, v18
	s_addc_u32 s1, s43, 0
	v_add_u16_e32 v3, v17, v19
	v_add_u16_e32 v2, v2, v20
	;; [unrolled: 1-line block ×3, first 2 shown]
	global_store_byte v0, v1, s[0:1]
	global_store_byte v0, v3, s[0:1] offset:320
	global_store_byte v0, v2, s[0:1] offset:640
	;; [unrolled: 1-line block ×3, first 2 shown]
	s_endpgm
	.section	.rodata,"a",@progbits
	.p2align	6, 0x0
	.amdhsa_kernel _Z17sort_pairs_kernelI22helper_blocked_stripedaLj320ELj4ELj10EEvPKT0_PS1_
		.amdhsa_group_segment_fixed_size 5152
		.amdhsa_private_segment_fixed_size 0
		.amdhsa_kernarg_size 272
		.amdhsa_user_sgpr_count 6
		.amdhsa_user_sgpr_private_segment_buffer 1
		.amdhsa_user_sgpr_dispatch_ptr 0
		.amdhsa_user_sgpr_queue_ptr 0
		.amdhsa_user_sgpr_kernarg_segment_ptr 1
		.amdhsa_user_sgpr_dispatch_id 0
		.amdhsa_user_sgpr_flat_scratch_init 0
		.amdhsa_user_sgpr_private_segment_size 0
		.amdhsa_uses_dynamic_stack 0
		.amdhsa_system_sgpr_private_segment_wavefront_offset 0
		.amdhsa_system_sgpr_workgroup_id_x 1
		.amdhsa_system_sgpr_workgroup_id_y 0
		.amdhsa_system_sgpr_workgroup_id_z 0
		.amdhsa_system_sgpr_workgroup_info 0
		.amdhsa_system_vgpr_workitem_id 2
		.amdhsa_next_free_vgpr 50
		.amdhsa_next_free_sgpr 51
		.amdhsa_reserve_vcc 1
		.amdhsa_reserve_flat_scratch 0
		.amdhsa_float_round_mode_32 0
		.amdhsa_float_round_mode_16_64 0
		.amdhsa_float_denorm_mode_32 3
		.amdhsa_float_denorm_mode_16_64 3
		.amdhsa_dx10_clamp 1
		.amdhsa_ieee_mode 1
		.amdhsa_fp16_overflow 0
		.amdhsa_exception_fp_ieee_invalid_op 0
		.amdhsa_exception_fp_denorm_src 0
		.amdhsa_exception_fp_ieee_div_zero 0
		.amdhsa_exception_fp_ieee_overflow 0
		.amdhsa_exception_fp_ieee_underflow 0
		.amdhsa_exception_fp_ieee_inexact 0
		.amdhsa_exception_int_div_zero 0
	.end_amdhsa_kernel
	.section	.text._Z17sort_pairs_kernelI22helper_blocked_stripedaLj320ELj4ELj10EEvPKT0_PS1_,"axG",@progbits,_Z17sort_pairs_kernelI22helper_blocked_stripedaLj320ELj4ELj10EEvPKT0_PS1_,comdat
.Lfunc_end277:
	.size	_Z17sort_pairs_kernelI22helper_blocked_stripedaLj320ELj4ELj10EEvPKT0_PS1_, .Lfunc_end277-_Z17sort_pairs_kernelI22helper_blocked_stripedaLj320ELj4ELj10EEvPKT0_PS1_
                                        ; -- End function
	.set _Z17sort_pairs_kernelI22helper_blocked_stripedaLj320ELj4ELj10EEvPKT0_PS1_.num_vgpr, 50
	.set _Z17sort_pairs_kernelI22helper_blocked_stripedaLj320ELj4ELj10EEvPKT0_PS1_.num_agpr, 0
	.set _Z17sort_pairs_kernelI22helper_blocked_stripedaLj320ELj4ELj10EEvPKT0_PS1_.numbered_sgpr, 51
	.set _Z17sort_pairs_kernelI22helper_blocked_stripedaLj320ELj4ELj10EEvPKT0_PS1_.num_named_barrier, 0
	.set _Z17sort_pairs_kernelI22helper_blocked_stripedaLj320ELj4ELj10EEvPKT0_PS1_.private_seg_size, 0
	.set _Z17sort_pairs_kernelI22helper_blocked_stripedaLj320ELj4ELj10EEvPKT0_PS1_.uses_vcc, 1
	.set _Z17sort_pairs_kernelI22helper_blocked_stripedaLj320ELj4ELj10EEvPKT0_PS1_.uses_flat_scratch, 0
	.set _Z17sort_pairs_kernelI22helper_blocked_stripedaLj320ELj4ELj10EEvPKT0_PS1_.has_dyn_sized_stack, 0
	.set _Z17sort_pairs_kernelI22helper_blocked_stripedaLj320ELj4ELj10EEvPKT0_PS1_.has_recursion, 0
	.set _Z17sort_pairs_kernelI22helper_blocked_stripedaLj320ELj4ELj10EEvPKT0_PS1_.has_indirect_call, 0
	.section	.AMDGPU.csdata,"",@progbits
; Kernel info:
; codeLenInByte = 4160
; TotalNumSgprs: 55
; NumVgprs: 50
; ScratchSize: 0
; MemoryBound: 0
; FloatMode: 240
; IeeeMode: 1
; LDSByteSize: 5152 bytes/workgroup (compile time only)
; SGPRBlocks: 6
; VGPRBlocks: 12
; NumSGPRsForWavesPerEU: 55
; NumVGPRsForWavesPerEU: 50
; Occupancy: 4
; WaveLimiterHint : 1
; COMPUTE_PGM_RSRC2:SCRATCH_EN: 0
; COMPUTE_PGM_RSRC2:USER_SGPR: 6
; COMPUTE_PGM_RSRC2:TRAP_HANDLER: 0
; COMPUTE_PGM_RSRC2:TGID_X_EN: 1
; COMPUTE_PGM_RSRC2:TGID_Y_EN: 0
; COMPUTE_PGM_RSRC2:TGID_Z_EN: 0
; COMPUTE_PGM_RSRC2:TIDIG_COMP_CNT: 2
	.section	.text._Z16sort_keys_kernelI22helper_blocked_stripedaLj320ELj8ELj10EEvPKT0_PS1_,"axG",@progbits,_Z16sort_keys_kernelI22helper_blocked_stripedaLj320ELj8ELj10EEvPKT0_PS1_,comdat
	.protected	_Z16sort_keys_kernelI22helper_blocked_stripedaLj320ELj8ELj10EEvPKT0_PS1_ ; -- Begin function _Z16sort_keys_kernelI22helper_blocked_stripedaLj320ELj8ELj10EEvPKT0_PS1_
	.globl	_Z16sort_keys_kernelI22helper_blocked_stripedaLj320ELj8ELj10EEvPKT0_PS1_
	.p2align	8
	.type	_Z16sort_keys_kernelI22helper_blocked_stripedaLj320ELj8ELj10EEvPKT0_PS1_,@function
_Z16sort_keys_kernelI22helper_blocked_stripedaLj320ELj8ELj10EEvPKT0_PS1_: ; @_Z16sort_keys_kernelI22helper_blocked_stripedaLj320ELj8ELj10EEvPKT0_PS1_
; %bb.0:
	s_load_dwordx4 s[28:31], s[4:5], 0x0
	s_load_dword s2, s[4:5], 0x1c
	s_mul_i32 s33, s6, 0xa00
	v_lshlrev_b32_e32 v5, 3, v0
	v_mbcnt_lo_u32_b32 v6, -1, 0
	s_waitcnt lgkmcnt(0)
	s_add_u32 s0, s28, s33
	s_addc_u32 s1, s29, 0
	global_load_dwordx2 v[3:4], v5, s[0:1]
	s_lshr_b32 s0, s2, 16
	s_and_b32 s1, s2, 0xffff
	v_mad_u32_u24 v1, v2, s0, v1
	v_mad_u64_u32 v[1:2], s[0:1], v1, s1, v[0:1]
	v_mbcnt_hi_u32_b32 v11, -1, v6
	v_and_b32_e32 v9, 0x1c0, v0
	v_lshrrev_b32_e32 v1, 4, v1
	v_and_b32_e32 v8, 0xffffffc, v1
	v_and_b32_e32 v1, 15, v11
	v_cmp_eq_u32_e32 vcc, 0, v1
	v_cmp_lt_u32_e64 s[0:1], 1, v1
	v_cmp_lt_u32_e64 s[2:3], 3, v1
	;; [unrolled: 1-line block ×3, first 2 shown]
	v_and_b32_e32 v1, 16, v11
	v_cmp_eq_u32_e64 s[6:7], 0, v1
	v_min_u32_e32 v1, 0x100, v9
	v_or_b32_e32 v1, 63, v1
	v_and_b32_e32 v2, 0xe00, v5
	v_cmp_eq_u32_e64 s[10:11], v0, v1
	v_subrev_co_u32_e64 v1, s[16:17], 1, v11
	v_and_b32_e32 v5, 64, v11
	v_cmp_lt_i32_e64 s[18:19], v1, v5
	v_cndmask_b32_e64 v1, v1, v11, s[18:19]
	v_add_lshl_u32 v6, v11, v9, 3
	v_lshlrev_b32_e32 v9, 2, v1
	v_lshrrev_b32_e32 v1, 4, v0
	v_and_b32_e32 v10, 28, v1
	v_mul_u32_u24_e32 v5, 3, v0
	v_and_b32_e32 v1, 7, v11
	v_lshlrev_b32_e32 v7, 4, v0
	v_cmp_lt_u32_e64 s[8:9], 31, v11
	v_cmp_gt_u32_e64 s[12:13], 5, v0
	v_cmp_lt_u32_e64 s[14:15], 63, v0
	v_cmp_eq_u32_e64 s[18:19], 0, v0
	v_cmp_eq_u32_e64 s[20:21], 0, v1
	v_cmp_lt_u32_e64 s[22:23], 1, v1
	v_cmp_lt_u32_e64 s[24:25], 3, v1
	s_mov_b32 s34, 10
	s_movk_i32 s35, 0xff00
	s_movk_i32 s36, 0x80
	;; [unrolled: 1-line block ×3, first 2 shown]
	v_add_u32_e32 v11, v11, v2
	v_mov_b32_e32 v1, 0
	v_add_u32_e32 v12, v0, v5
	v_mov_b32_e32 v13, 20
	s_branch .LBB278_2
.LBB278_1:                              ;   in Loop: Header=BB278_2 Depth=1
	s_or_b64 exec, exec, s[26:27]
	s_waitcnt lgkmcnt(0)
	v_add_u32_e32 v3, v45, v3
	ds_bpermute_b32 v3, v9, v3
	s_add_i32 s34, s34, -1
	s_cmp_eq_u32 s34, 0
	s_waitcnt lgkmcnt(0)
	v_cndmask_b32_e64 v3, v3, v45, s[16:17]
	v_cndmask_b32_e64 v3, v3, 0, s[18:19]
	v_add_u32_e32 v4, v3, v4
	v_add_u32_e32 v5, v4, v5
	;; [unrolled: 1-line block ×3, first 2 shown]
	ds_write2_b32 v7, v3, v4 offset0:5 offset1:6
	ds_write2_b32 v7, v5, v2 offset0:7 offset1:8
	s_waitcnt lgkmcnt(0)
	s_barrier
	ds_read_b32 v2, v23 offset:20
	ds_read_b32 v3, v26 offset:20
	;; [unrolled: 1-line block ×8, first 2 shown]
	s_waitcnt lgkmcnt(7)
	v_add_u32_e32 v2, v2, v22
	s_waitcnt lgkmcnt(0)
	s_barrier
	ds_write_b8 v2, v21
	v_add3_u32 v2, v25, v24, v3
	ds_write_b8 v2, v20
	v_add3_u32 v2, v28, v27, v4
	;; [unrolled: 2-line block ×7, first 2 shown]
	ds_write_b8 v2, v14
	s_waitcnt lgkmcnt(0)
	s_barrier
	ds_read_u8 v2, v0
	ds_read_u8 v3, v0 offset:320
	ds_read_u8 v4, v0 offset:640
	;; [unrolled: 1-line block ×7, first 2 shown]
	s_waitcnt lgkmcnt(6)
	v_xor_b32_e32 v5, 0xffffff80, v3
	s_waitcnt lgkmcnt(4)
	v_xor_b32_e32 v15, 0xffffff80, v15
	v_xor_b32_e32 v2, 0xffffff80, v2
	;; [unrolled: 1-line block ×3, first 2 shown]
	v_lshlrev_b16_e32 v3, 8, v5
	v_lshlrev_b16_e32 v4, 8, v15
	s_waitcnt lgkmcnt(2)
	v_xor_b32_e32 v17, 0xffffff80, v17
	s_waitcnt lgkmcnt(0)
	v_xor_b32_e32 v19, 0xffffff80, v19
	v_or_b32_sdwa v3, v2, v3 dst_sel:DWORD dst_unused:UNUSED_PAD src0_sel:BYTE_0 src1_sel:DWORD
	v_or_b32_sdwa v4, v14, v4 dst_sel:WORD_1 dst_unused:UNUSED_PAD src0_sel:BYTE_0 src1_sel:DWORD
	v_xor_b32_e32 v16, 0xffffff80, v16
	v_xor_b32_e32 v18, 0xffffff80, v18
	v_or_b32_sdwa v3, v3, v4 dst_sel:DWORD dst_unused:UNUSED_PAD src0_sel:WORD_0 src1_sel:DWORD
	v_lshlrev_b16_e32 v4, 8, v17
	v_lshlrev_b16_e32 v20, 8, v19
	v_or_b32_sdwa v4, v16, v4 dst_sel:DWORD dst_unused:UNUSED_PAD src0_sel:BYTE_0 src1_sel:DWORD
	v_or_b32_sdwa v20, v18, v20 dst_sel:WORD_1 dst_unused:UNUSED_PAD src0_sel:BYTE_0 src1_sel:DWORD
	v_or_b32_sdwa v4, v4, v20 dst_sel:DWORD dst_unused:UNUSED_PAD src0_sel:WORD_0 src1_sel:DWORD
	s_cbranch_scc1 .LBB278_24
.LBB278_2:                              ; =>This Inner Loop Header: Depth=1
	s_waitcnt vmcnt(0)
	v_and_b32_e32 v2, 0xffffff00, v3
	v_xor_b32_e32 v5, 0x80, v3
	v_or_b32_sdwa v2, v5, v2 dst_sel:DWORD dst_unused:UNUSED_PAD src0_sel:BYTE_0 src1_sel:DWORD
	v_and_b32_sdwa v5, v3, s35 dst_sel:DWORD dst_unused:UNUSED_PAD src0_sel:WORD_1 src1_sel:DWORD
	v_xor_b32_sdwa v3, v3, s36 dst_sel:DWORD dst_unused:UNUSED_PAD src0_sel:WORD_1 src1_sel:DWORD
	v_or_b32_sdwa v3, v3, v5 dst_sel:DWORD dst_unused:UNUSED_PAD src0_sel:BYTE_0 src1_sel:DWORD
	v_add_u16_e32 v2, 0x8000, v2
	v_add_u16_sdwa v3, v3, s37 dst_sel:WORD_1 dst_unused:UNUSED_PAD src0_sel:DWORD src1_sel:DWORD
	v_or_b32_e32 v2, v2, v3
	v_and_b32_e32 v3, 0xffffff00, v4
	v_xor_b32_e32 v5, 0x80, v4
	v_or_b32_sdwa v3, v5, v3 dst_sel:DWORD dst_unused:UNUSED_PAD src0_sel:BYTE_0 src1_sel:DWORD
	v_and_b32_sdwa v5, v4, s35 dst_sel:DWORD dst_unused:UNUSED_PAD src0_sel:WORD_1 src1_sel:DWORD
	v_xor_b32_sdwa v4, v4, s36 dst_sel:DWORD dst_unused:UNUSED_PAD src0_sel:WORD_1 src1_sel:DWORD
	v_or_b32_sdwa v4, v4, v5 dst_sel:DWORD dst_unused:UNUSED_PAD src0_sel:BYTE_0 src1_sel:DWORD
	v_add_u16_e32 v3, 0x8000, v3
	v_add_u16_sdwa v4, v4, s37 dst_sel:WORD_1 dst_unused:UNUSED_PAD src0_sel:DWORD src1_sel:DWORD
	v_or_b32_e32 v3, v3, v4
	ds_write_b64 v6, v[2:3]
	; wave barrier
	ds_read_u8 v21, v11
	ds_read_u8 v20, v11 offset:64
	ds_read_u8 v19, v11 offset:128
	;; [unrolled: 1-line block ×7, first 2 shown]
	s_waitcnt lgkmcnt(7)
	v_and_b32_e32 v2, 1, v21
	v_add_co_u32_e64 v3, s[26:27], -1, v2
	v_addc_co_u32_e64 v5, s[26:27], 0, -1, s[26:27]
	v_cmp_ne_u32_e64 s[26:27], 0, v2
	v_xor_b32_e32 v2, s27, v5
	v_and_b32_e32 v5, exec_hi, v2
	v_lshlrev_b32_e32 v2, 30, v21
	v_xor_b32_e32 v3, s26, v3
	v_cmp_gt_i64_e64 s[26:27], 0, v[1:2]
	v_not_b32_e32 v2, v2
	v_ashrrev_i32_e32 v2, 31, v2
	v_and_b32_e32 v3, exec_lo, v3
	v_xor_b32_e32 v22, s27, v2
	v_xor_b32_e32 v2, s26, v2
	v_and_b32_e32 v3, v3, v2
	v_lshlrev_b32_e32 v2, 29, v21
	v_cmp_gt_i64_e64 s[26:27], 0, v[1:2]
	v_not_b32_e32 v2, v2
	v_ashrrev_i32_e32 v2, 31, v2
	v_and_b32_e32 v5, v5, v22
	v_xor_b32_e32 v22, s27, v2
	v_xor_b32_e32 v2, s26, v2
	v_and_b32_e32 v3, v3, v2
	v_lshlrev_b32_e32 v2, 28, v21
	v_cmp_gt_i64_e64 s[26:27], 0, v[1:2]
	v_not_b32_e32 v2, v2
	v_ashrrev_i32_e32 v2, 31, v2
	v_and_b32_e32 v5, v5, v22
	;; [unrolled: 8-line block ×5, first 2 shown]
	v_xor_b32_e32 v22, s27, v2
	v_xor_b32_e32 v2, s26, v2
	v_and_b32_e32 v5, v5, v22
	v_and_b32_e32 v22, v3, v2
	v_lshlrev_b32_e32 v2, 24, v21
	v_cmp_gt_i64_e64 s[26:27], 0, v[1:2]
	v_not_b32_e32 v2, v2
	v_ashrrev_i32_e32 v2, 31, v2
	v_xor_b32_e32 v3, s27, v2
	v_xor_b32_e32 v2, s26, v2
	v_and_b32_e32 v2, v22, v2
	v_and_b32_e32 v3, v5, v3
	v_mbcnt_lo_u32_b32 v5, v2, 0
	v_mbcnt_hi_u32_b32 v22, v3, v5
	v_cmp_ne_u64_e64 s[26:27], 0, v[2:3]
	v_mul_u32_u24_sdwa v4, v21, v13 dst_sel:DWORD dst_unused:UNUSED_PAD src0_sel:BYTE_0 src1_sel:DWORD
	v_cmp_eq_u32_e64 s[28:29], 0, v22
	s_and_b64 s[28:29], s[26:27], s[28:29]
	v_add_u32_e32 v23, v8, v4
	; wave barrier
	; wave barrier
	s_waitcnt lgkmcnt(0)
	s_barrier
	ds_write2_b32 v7, v1, v1 offset0:5 offset1:6
	ds_write2_b32 v7, v1, v1 offset0:7 offset1:8
	s_waitcnt lgkmcnt(0)
	s_barrier
	; wave barrier
	s_and_saveexec_b64 s[26:27], s[28:29]
; %bb.3:                                ;   in Loop: Header=BB278_2 Depth=1
	v_bcnt_u32_b32 v2, v2, 0
	v_bcnt_u32_b32 v2, v3, v2
	ds_write_b32 v23, v2 offset:20
; %bb.4:                                ;   in Loop: Header=BB278_2 Depth=1
	s_or_b64 exec, exec, s[26:27]
	v_and_b32_e32 v2, 0xff, v20
	v_mul_u32_u24_e32 v4, 20, v2
	v_mad_u32_u24 v2, v2, 20, v8
	; wave barrier
	ds_read_b32 v24, v2 offset:20
	v_and_b32_e32 v2, 1, v20
	v_add_co_u32_e64 v3, s[26:27], -1, v2
	v_addc_co_u32_e64 v5, s[26:27], 0, -1, s[26:27]
	v_cmp_ne_u32_e64 s[26:27], 0, v2
	v_xor_b32_e32 v2, s27, v5
	v_and_b32_e32 v5, exec_hi, v2
	v_lshlrev_b32_e32 v2, 30, v20
	v_xor_b32_e32 v3, s26, v3
	v_cmp_gt_i64_e64 s[26:27], 0, v[1:2]
	v_not_b32_e32 v2, v2
	v_ashrrev_i32_e32 v2, 31, v2
	v_and_b32_e32 v3, exec_lo, v3
	v_xor_b32_e32 v25, s27, v2
	v_xor_b32_e32 v2, s26, v2
	v_and_b32_e32 v3, v3, v2
	v_lshlrev_b32_e32 v2, 29, v20
	v_cmp_gt_i64_e64 s[26:27], 0, v[1:2]
	v_not_b32_e32 v2, v2
	v_ashrrev_i32_e32 v2, 31, v2
	v_and_b32_e32 v5, v5, v25
	v_xor_b32_e32 v25, s27, v2
	v_xor_b32_e32 v2, s26, v2
	v_and_b32_e32 v3, v3, v2
	v_lshlrev_b32_e32 v2, 28, v20
	v_cmp_gt_i64_e64 s[26:27], 0, v[1:2]
	v_not_b32_e32 v2, v2
	v_ashrrev_i32_e32 v2, 31, v2
	v_and_b32_e32 v5, v5, v25
	;; [unrolled: 8-line block ×5, first 2 shown]
	v_xor_b32_e32 v25, s27, v2
	v_xor_b32_e32 v2, s26, v2
	v_and_b32_e32 v5, v5, v25
	v_and_b32_e32 v25, v3, v2
	v_lshlrev_b32_e32 v2, 24, v20
	v_cmp_gt_i64_e64 s[26:27], 0, v[1:2]
	v_not_b32_e32 v2, v2
	v_ashrrev_i32_e32 v2, 31, v2
	v_xor_b32_e32 v3, s27, v2
	v_xor_b32_e32 v2, s26, v2
	v_and_b32_e32 v2, v25, v2
	v_and_b32_e32 v3, v5, v3
	v_mbcnt_lo_u32_b32 v5, v2, 0
	v_mbcnt_hi_u32_b32 v25, v3, v5
	v_cmp_ne_u64_e64 s[26:27], 0, v[2:3]
	v_cmp_eq_u32_e64 s[28:29], 0, v25
	s_and_b64 s[28:29], s[26:27], s[28:29]
	v_add_u32_e32 v26, v8, v4
	; wave barrier
	s_and_saveexec_b64 s[26:27], s[28:29]
	s_cbranch_execz .LBB278_6
; %bb.5:                                ;   in Loop: Header=BB278_2 Depth=1
	v_bcnt_u32_b32 v2, v2, 0
	v_bcnt_u32_b32 v2, v3, v2
	s_waitcnt lgkmcnt(0)
	v_add_u32_e32 v2, v24, v2
	ds_write_b32 v26, v2 offset:20
.LBB278_6:                              ;   in Loop: Header=BB278_2 Depth=1
	s_or_b64 exec, exec, s[26:27]
	v_and_b32_e32 v2, 0xff, v19
	v_mul_u32_u24_e32 v4, 20, v2
	v_mad_u32_u24 v2, v2, 20, v8
	; wave barrier
	ds_read_b32 v27, v2 offset:20
	v_and_b32_e32 v2, 1, v19
	v_add_co_u32_e64 v3, s[26:27], -1, v2
	v_addc_co_u32_e64 v5, s[26:27], 0, -1, s[26:27]
	v_cmp_ne_u32_e64 s[26:27], 0, v2
	v_xor_b32_e32 v2, s27, v5
	v_and_b32_e32 v5, exec_hi, v2
	v_lshlrev_b32_e32 v2, 30, v19
	v_xor_b32_e32 v3, s26, v3
	v_cmp_gt_i64_e64 s[26:27], 0, v[1:2]
	v_not_b32_e32 v2, v2
	v_ashrrev_i32_e32 v2, 31, v2
	v_and_b32_e32 v3, exec_lo, v3
	v_xor_b32_e32 v28, s27, v2
	v_xor_b32_e32 v2, s26, v2
	v_and_b32_e32 v3, v3, v2
	v_lshlrev_b32_e32 v2, 29, v19
	v_cmp_gt_i64_e64 s[26:27], 0, v[1:2]
	v_not_b32_e32 v2, v2
	v_ashrrev_i32_e32 v2, 31, v2
	v_and_b32_e32 v5, v5, v28
	v_xor_b32_e32 v28, s27, v2
	v_xor_b32_e32 v2, s26, v2
	v_and_b32_e32 v3, v3, v2
	v_lshlrev_b32_e32 v2, 28, v19
	v_cmp_gt_i64_e64 s[26:27], 0, v[1:2]
	v_not_b32_e32 v2, v2
	v_ashrrev_i32_e32 v2, 31, v2
	v_and_b32_e32 v5, v5, v28
	;; [unrolled: 8-line block ×5, first 2 shown]
	v_xor_b32_e32 v28, s27, v2
	v_xor_b32_e32 v2, s26, v2
	v_and_b32_e32 v5, v5, v28
	v_and_b32_e32 v28, v3, v2
	v_lshlrev_b32_e32 v2, 24, v19
	v_cmp_gt_i64_e64 s[26:27], 0, v[1:2]
	v_not_b32_e32 v2, v2
	v_ashrrev_i32_e32 v2, 31, v2
	v_xor_b32_e32 v3, s27, v2
	v_xor_b32_e32 v2, s26, v2
	v_and_b32_e32 v2, v28, v2
	v_and_b32_e32 v3, v5, v3
	v_mbcnt_lo_u32_b32 v5, v2, 0
	v_mbcnt_hi_u32_b32 v28, v3, v5
	v_cmp_ne_u64_e64 s[26:27], 0, v[2:3]
	v_cmp_eq_u32_e64 s[28:29], 0, v28
	s_and_b64 s[28:29], s[26:27], s[28:29]
	v_add_u32_e32 v29, v8, v4
	; wave barrier
	s_and_saveexec_b64 s[26:27], s[28:29]
	s_cbranch_execz .LBB278_8
; %bb.7:                                ;   in Loop: Header=BB278_2 Depth=1
	v_bcnt_u32_b32 v2, v2, 0
	v_bcnt_u32_b32 v2, v3, v2
	s_waitcnt lgkmcnt(0)
	v_add_u32_e32 v2, v27, v2
	ds_write_b32 v29, v2 offset:20
.LBB278_8:                              ;   in Loop: Header=BB278_2 Depth=1
	s_or_b64 exec, exec, s[26:27]
	v_and_b32_e32 v2, 0xff, v18
	v_mul_u32_u24_e32 v4, 20, v2
	v_mad_u32_u24 v2, v2, 20, v8
	; wave barrier
	ds_read_b32 v30, v2 offset:20
	v_and_b32_e32 v2, 1, v18
	v_add_co_u32_e64 v3, s[26:27], -1, v2
	v_addc_co_u32_e64 v5, s[26:27], 0, -1, s[26:27]
	v_cmp_ne_u32_e64 s[26:27], 0, v2
	v_xor_b32_e32 v2, s27, v5
	v_and_b32_e32 v5, exec_hi, v2
	v_lshlrev_b32_e32 v2, 30, v18
	v_xor_b32_e32 v3, s26, v3
	v_cmp_gt_i64_e64 s[26:27], 0, v[1:2]
	v_not_b32_e32 v2, v2
	v_ashrrev_i32_e32 v2, 31, v2
	v_and_b32_e32 v3, exec_lo, v3
	v_xor_b32_e32 v31, s27, v2
	v_xor_b32_e32 v2, s26, v2
	v_and_b32_e32 v3, v3, v2
	v_lshlrev_b32_e32 v2, 29, v18
	v_cmp_gt_i64_e64 s[26:27], 0, v[1:2]
	v_not_b32_e32 v2, v2
	v_ashrrev_i32_e32 v2, 31, v2
	v_and_b32_e32 v5, v5, v31
	v_xor_b32_e32 v31, s27, v2
	v_xor_b32_e32 v2, s26, v2
	v_and_b32_e32 v3, v3, v2
	v_lshlrev_b32_e32 v2, 28, v18
	v_cmp_gt_i64_e64 s[26:27], 0, v[1:2]
	v_not_b32_e32 v2, v2
	v_ashrrev_i32_e32 v2, 31, v2
	v_and_b32_e32 v5, v5, v31
	;; [unrolled: 8-line block ×5, first 2 shown]
	v_xor_b32_e32 v31, s27, v2
	v_xor_b32_e32 v2, s26, v2
	v_and_b32_e32 v5, v5, v31
	v_and_b32_e32 v31, v3, v2
	v_lshlrev_b32_e32 v2, 24, v18
	v_cmp_gt_i64_e64 s[26:27], 0, v[1:2]
	v_not_b32_e32 v2, v2
	v_ashrrev_i32_e32 v2, 31, v2
	v_xor_b32_e32 v3, s27, v2
	v_xor_b32_e32 v2, s26, v2
	v_and_b32_e32 v2, v31, v2
	v_and_b32_e32 v3, v5, v3
	v_mbcnt_lo_u32_b32 v5, v2, 0
	v_mbcnt_hi_u32_b32 v31, v3, v5
	v_cmp_ne_u64_e64 s[26:27], 0, v[2:3]
	v_cmp_eq_u32_e64 s[28:29], 0, v31
	s_and_b64 s[28:29], s[26:27], s[28:29]
	v_add_u32_e32 v32, v8, v4
	; wave barrier
	s_and_saveexec_b64 s[26:27], s[28:29]
	s_cbranch_execz .LBB278_10
; %bb.9:                                ;   in Loop: Header=BB278_2 Depth=1
	v_bcnt_u32_b32 v2, v2, 0
	v_bcnt_u32_b32 v2, v3, v2
	s_waitcnt lgkmcnt(0)
	v_add_u32_e32 v2, v30, v2
	ds_write_b32 v32, v2 offset:20
.LBB278_10:                             ;   in Loop: Header=BB278_2 Depth=1
	s_or_b64 exec, exec, s[26:27]
	v_and_b32_e32 v2, 0xff, v17
	v_mul_u32_u24_e32 v4, 20, v2
	v_mad_u32_u24 v2, v2, 20, v8
	; wave barrier
	ds_read_b32 v33, v2 offset:20
	v_and_b32_e32 v2, 1, v17
	v_add_co_u32_e64 v3, s[26:27], -1, v2
	v_addc_co_u32_e64 v5, s[26:27], 0, -1, s[26:27]
	v_cmp_ne_u32_e64 s[26:27], 0, v2
	v_xor_b32_e32 v2, s27, v5
	v_and_b32_e32 v5, exec_hi, v2
	v_lshlrev_b32_e32 v2, 30, v17
	v_xor_b32_e32 v3, s26, v3
	v_cmp_gt_i64_e64 s[26:27], 0, v[1:2]
	v_not_b32_e32 v2, v2
	v_ashrrev_i32_e32 v2, 31, v2
	v_and_b32_e32 v3, exec_lo, v3
	v_xor_b32_e32 v34, s27, v2
	v_xor_b32_e32 v2, s26, v2
	v_and_b32_e32 v3, v3, v2
	v_lshlrev_b32_e32 v2, 29, v17
	v_cmp_gt_i64_e64 s[26:27], 0, v[1:2]
	v_not_b32_e32 v2, v2
	v_ashrrev_i32_e32 v2, 31, v2
	v_and_b32_e32 v5, v5, v34
	v_xor_b32_e32 v34, s27, v2
	v_xor_b32_e32 v2, s26, v2
	v_and_b32_e32 v3, v3, v2
	v_lshlrev_b32_e32 v2, 28, v17
	v_cmp_gt_i64_e64 s[26:27], 0, v[1:2]
	v_not_b32_e32 v2, v2
	v_ashrrev_i32_e32 v2, 31, v2
	v_and_b32_e32 v5, v5, v34
	;; [unrolled: 8-line block ×5, first 2 shown]
	v_xor_b32_e32 v34, s27, v2
	v_xor_b32_e32 v2, s26, v2
	v_and_b32_e32 v5, v5, v34
	v_and_b32_e32 v34, v3, v2
	v_lshlrev_b32_e32 v2, 24, v17
	v_cmp_gt_i64_e64 s[26:27], 0, v[1:2]
	v_not_b32_e32 v2, v2
	v_ashrrev_i32_e32 v2, 31, v2
	v_xor_b32_e32 v3, s27, v2
	v_xor_b32_e32 v2, s26, v2
	v_and_b32_e32 v2, v34, v2
	v_and_b32_e32 v3, v5, v3
	v_mbcnt_lo_u32_b32 v5, v2, 0
	v_mbcnt_hi_u32_b32 v34, v3, v5
	v_cmp_ne_u64_e64 s[26:27], 0, v[2:3]
	v_cmp_eq_u32_e64 s[28:29], 0, v34
	s_and_b64 s[28:29], s[26:27], s[28:29]
	v_add_u32_e32 v35, v8, v4
	; wave barrier
	s_and_saveexec_b64 s[26:27], s[28:29]
	s_cbranch_execz .LBB278_12
; %bb.11:                               ;   in Loop: Header=BB278_2 Depth=1
	v_bcnt_u32_b32 v2, v2, 0
	v_bcnt_u32_b32 v2, v3, v2
	s_waitcnt lgkmcnt(0)
	v_add_u32_e32 v2, v33, v2
	ds_write_b32 v35, v2 offset:20
.LBB278_12:                             ;   in Loop: Header=BB278_2 Depth=1
	s_or_b64 exec, exec, s[26:27]
	v_and_b32_e32 v2, 0xff, v16
	v_mul_u32_u24_e32 v4, 20, v2
	v_mad_u32_u24 v2, v2, 20, v8
	; wave barrier
	ds_read_b32 v36, v2 offset:20
	v_and_b32_e32 v2, 1, v16
	v_add_co_u32_e64 v3, s[26:27], -1, v2
	v_addc_co_u32_e64 v5, s[26:27], 0, -1, s[26:27]
	v_cmp_ne_u32_e64 s[26:27], 0, v2
	v_xor_b32_e32 v2, s27, v5
	v_and_b32_e32 v5, exec_hi, v2
	v_lshlrev_b32_e32 v2, 30, v16
	v_xor_b32_e32 v3, s26, v3
	v_cmp_gt_i64_e64 s[26:27], 0, v[1:2]
	v_not_b32_e32 v2, v2
	v_ashrrev_i32_e32 v2, 31, v2
	v_and_b32_e32 v3, exec_lo, v3
	v_xor_b32_e32 v37, s27, v2
	v_xor_b32_e32 v2, s26, v2
	v_and_b32_e32 v3, v3, v2
	v_lshlrev_b32_e32 v2, 29, v16
	v_cmp_gt_i64_e64 s[26:27], 0, v[1:2]
	v_not_b32_e32 v2, v2
	v_ashrrev_i32_e32 v2, 31, v2
	v_and_b32_e32 v5, v5, v37
	v_xor_b32_e32 v37, s27, v2
	v_xor_b32_e32 v2, s26, v2
	v_and_b32_e32 v3, v3, v2
	v_lshlrev_b32_e32 v2, 28, v16
	v_cmp_gt_i64_e64 s[26:27], 0, v[1:2]
	v_not_b32_e32 v2, v2
	v_ashrrev_i32_e32 v2, 31, v2
	v_and_b32_e32 v5, v5, v37
	;; [unrolled: 8-line block ×5, first 2 shown]
	v_xor_b32_e32 v37, s27, v2
	v_xor_b32_e32 v2, s26, v2
	v_and_b32_e32 v5, v5, v37
	v_and_b32_e32 v37, v3, v2
	v_lshlrev_b32_e32 v2, 24, v16
	v_cmp_gt_i64_e64 s[26:27], 0, v[1:2]
	v_not_b32_e32 v2, v2
	v_ashrrev_i32_e32 v2, 31, v2
	v_xor_b32_e32 v3, s27, v2
	v_xor_b32_e32 v2, s26, v2
	v_and_b32_e32 v2, v37, v2
	v_and_b32_e32 v3, v5, v3
	v_mbcnt_lo_u32_b32 v5, v2, 0
	v_mbcnt_hi_u32_b32 v37, v3, v5
	v_cmp_ne_u64_e64 s[26:27], 0, v[2:3]
	v_cmp_eq_u32_e64 s[28:29], 0, v37
	s_and_b64 s[28:29], s[26:27], s[28:29]
	v_add_u32_e32 v38, v8, v4
	; wave barrier
	s_and_saveexec_b64 s[26:27], s[28:29]
	s_cbranch_execz .LBB278_14
; %bb.13:                               ;   in Loop: Header=BB278_2 Depth=1
	v_bcnt_u32_b32 v2, v2, 0
	v_bcnt_u32_b32 v2, v3, v2
	s_waitcnt lgkmcnt(0)
	v_add_u32_e32 v2, v36, v2
	ds_write_b32 v38, v2 offset:20
.LBB278_14:                             ;   in Loop: Header=BB278_2 Depth=1
	s_or_b64 exec, exec, s[26:27]
	v_and_b32_e32 v2, 0xff, v15
	v_mul_u32_u24_e32 v4, 20, v2
	v_mad_u32_u24 v2, v2, 20, v8
	; wave barrier
	ds_read_b32 v39, v2 offset:20
	v_and_b32_e32 v2, 1, v15
	v_add_co_u32_e64 v3, s[26:27], -1, v2
	v_addc_co_u32_e64 v5, s[26:27], 0, -1, s[26:27]
	v_cmp_ne_u32_e64 s[26:27], 0, v2
	v_xor_b32_e32 v2, s27, v5
	v_and_b32_e32 v5, exec_hi, v2
	v_lshlrev_b32_e32 v2, 30, v15
	v_xor_b32_e32 v3, s26, v3
	v_cmp_gt_i64_e64 s[26:27], 0, v[1:2]
	v_not_b32_e32 v2, v2
	v_ashrrev_i32_e32 v2, 31, v2
	v_and_b32_e32 v3, exec_lo, v3
	v_xor_b32_e32 v40, s27, v2
	v_xor_b32_e32 v2, s26, v2
	v_and_b32_e32 v3, v3, v2
	v_lshlrev_b32_e32 v2, 29, v15
	v_cmp_gt_i64_e64 s[26:27], 0, v[1:2]
	v_not_b32_e32 v2, v2
	v_ashrrev_i32_e32 v2, 31, v2
	v_and_b32_e32 v5, v5, v40
	v_xor_b32_e32 v40, s27, v2
	v_xor_b32_e32 v2, s26, v2
	v_and_b32_e32 v3, v3, v2
	v_lshlrev_b32_e32 v2, 28, v15
	v_cmp_gt_i64_e64 s[26:27], 0, v[1:2]
	v_not_b32_e32 v2, v2
	v_ashrrev_i32_e32 v2, 31, v2
	v_and_b32_e32 v5, v5, v40
	;; [unrolled: 8-line block ×5, first 2 shown]
	v_xor_b32_e32 v40, s27, v2
	v_xor_b32_e32 v2, s26, v2
	v_and_b32_e32 v5, v5, v40
	v_and_b32_e32 v40, v3, v2
	v_lshlrev_b32_e32 v2, 24, v15
	v_cmp_gt_i64_e64 s[26:27], 0, v[1:2]
	v_not_b32_e32 v2, v2
	v_ashrrev_i32_e32 v2, 31, v2
	v_xor_b32_e32 v3, s27, v2
	v_xor_b32_e32 v2, s26, v2
	v_and_b32_e32 v2, v40, v2
	v_and_b32_e32 v3, v5, v3
	v_mbcnt_lo_u32_b32 v5, v2, 0
	v_mbcnt_hi_u32_b32 v40, v3, v5
	v_cmp_ne_u64_e64 s[26:27], 0, v[2:3]
	v_cmp_eq_u32_e64 s[28:29], 0, v40
	s_and_b64 s[28:29], s[26:27], s[28:29]
	v_add_u32_e32 v42, v8, v4
	; wave barrier
	s_and_saveexec_b64 s[26:27], s[28:29]
	s_cbranch_execz .LBB278_16
; %bb.15:                               ;   in Loop: Header=BB278_2 Depth=1
	v_bcnt_u32_b32 v2, v2, 0
	v_bcnt_u32_b32 v2, v3, v2
	s_waitcnt lgkmcnt(0)
	v_add_u32_e32 v2, v39, v2
	ds_write_b32 v42, v2 offset:20
.LBB278_16:                             ;   in Loop: Header=BB278_2 Depth=1
	s_or_b64 exec, exec, s[26:27]
	v_and_b32_e32 v2, 0xff, v14
	v_mul_u32_u24_e32 v4, 20, v2
	v_mad_u32_u24 v2, v2, 20, v8
	; wave barrier
	ds_read_b32 v41, v2 offset:20
	v_and_b32_e32 v2, 1, v14
	v_add_co_u32_e64 v3, s[26:27], -1, v2
	v_addc_co_u32_e64 v5, s[26:27], 0, -1, s[26:27]
	v_cmp_ne_u32_e64 s[26:27], 0, v2
	v_xor_b32_e32 v2, s27, v5
	v_and_b32_e32 v5, exec_hi, v2
	v_lshlrev_b32_e32 v2, 30, v14
	v_xor_b32_e32 v3, s26, v3
	v_cmp_gt_i64_e64 s[26:27], 0, v[1:2]
	v_not_b32_e32 v2, v2
	v_ashrrev_i32_e32 v2, 31, v2
	v_and_b32_e32 v3, exec_lo, v3
	v_xor_b32_e32 v43, s27, v2
	v_xor_b32_e32 v2, s26, v2
	v_and_b32_e32 v3, v3, v2
	v_lshlrev_b32_e32 v2, 29, v14
	v_cmp_gt_i64_e64 s[26:27], 0, v[1:2]
	v_not_b32_e32 v2, v2
	v_ashrrev_i32_e32 v2, 31, v2
	v_and_b32_e32 v5, v5, v43
	v_xor_b32_e32 v43, s27, v2
	v_xor_b32_e32 v2, s26, v2
	v_and_b32_e32 v3, v3, v2
	v_lshlrev_b32_e32 v2, 28, v14
	v_cmp_gt_i64_e64 s[26:27], 0, v[1:2]
	v_not_b32_e32 v2, v2
	v_ashrrev_i32_e32 v2, 31, v2
	v_and_b32_e32 v5, v5, v43
	;; [unrolled: 8-line block ×5, first 2 shown]
	v_xor_b32_e32 v43, s27, v2
	v_xor_b32_e32 v2, s26, v2
	v_and_b32_e32 v5, v5, v43
	v_and_b32_e32 v43, v3, v2
	v_lshlrev_b32_e32 v2, 24, v14
	v_cmp_gt_i64_e64 s[26:27], 0, v[1:2]
	v_not_b32_e32 v2, v2
	v_ashrrev_i32_e32 v2, 31, v2
	v_xor_b32_e32 v3, s27, v2
	v_xor_b32_e32 v2, s26, v2
	v_and_b32_e32 v2, v43, v2
	v_and_b32_e32 v3, v5, v3
	v_mbcnt_lo_u32_b32 v5, v2, 0
	v_mbcnt_hi_u32_b32 v43, v3, v5
	v_cmp_ne_u64_e64 s[26:27], 0, v[2:3]
	v_cmp_eq_u32_e64 s[28:29], 0, v43
	s_and_b64 s[28:29], s[26:27], s[28:29]
	v_add_u32_e32 v44, v8, v4
	; wave barrier
	s_and_saveexec_b64 s[26:27], s[28:29]
	s_cbranch_execz .LBB278_18
; %bb.17:                               ;   in Loop: Header=BB278_2 Depth=1
	v_bcnt_u32_b32 v2, v2, 0
	v_bcnt_u32_b32 v2, v3, v2
	s_waitcnt lgkmcnt(0)
	v_add_u32_e32 v2, v41, v2
	ds_write_b32 v44, v2 offset:20
.LBB278_18:                             ;   in Loop: Header=BB278_2 Depth=1
	s_or_b64 exec, exec, s[26:27]
	; wave barrier
	s_waitcnt lgkmcnt(0)
	s_barrier
	ds_read2_b32 v[4:5], v7 offset0:5 offset1:6
	ds_read2_b32 v[2:3], v7 offset0:7 offset1:8
	s_waitcnt lgkmcnt(1)
	v_add_u32_e32 v45, v5, v4
	s_waitcnt lgkmcnt(0)
	v_add3_u32 v3, v45, v2, v3
	s_nop 1
	v_mov_b32_dpp v45, v3 row_shr:1 row_mask:0xf bank_mask:0xf
	v_cndmask_b32_e64 v45, v45, 0, vcc
	v_add_u32_e32 v3, v45, v3
	s_nop 1
	v_mov_b32_dpp v45, v3 row_shr:2 row_mask:0xf bank_mask:0xf
	v_cndmask_b32_e64 v45, 0, v45, s[0:1]
	v_add_u32_e32 v3, v3, v45
	s_nop 1
	v_mov_b32_dpp v45, v3 row_shr:4 row_mask:0xf bank_mask:0xf
	v_cndmask_b32_e64 v45, 0, v45, s[2:3]
	;; [unrolled: 4-line block ×3, first 2 shown]
	v_add_u32_e32 v3, v3, v45
	s_nop 1
	v_mov_b32_dpp v45, v3 row_bcast:15 row_mask:0xf bank_mask:0xf
	v_cndmask_b32_e64 v45, v45, 0, s[6:7]
	v_add_u32_e32 v3, v3, v45
	s_nop 1
	v_mov_b32_dpp v45, v3 row_bcast:31 row_mask:0xf bank_mask:0xf
	v_cndmask_b32_e64 v45, 0, v45, s[8:9]
	v_add_u32_e32 v3, v3, v45
	s_and_saveexec_b64 s[26:27], s[10:11]
; %bb.19:                               ;   in Loop: Header=BB278_2 Depth=1
	ds_write_b32 v10, v3
; %bb.20:                               ;   in Loop: Header=BB278_2 Depth=1
	s_or_b64 exec, exec, s[26:27]
	s_waitcnt lgkmcnt(0)
	s_barrier
	s_and_saveexec_b64 s[26:27], s[12:13]
	s_cbranch_execz .LBB278_22
; %bb.21:                               ;   in Loop: Header=BB278_2 Depth=1
	ds_read_b32 v45, v12
	s_waitcnt lgkmcnt(0)
	s_nop 0
	v_mov_b32_dpp v46, v45 row_shr:1 row_mask:0xf bank_mask:0xf
	v_cndmask_b32_e64 v46, v46, 0, s[20:21]
	v_add_u32_e32 v45, v46, v45
	s_nop 1
	v_mov_b32_dpp v46, v45 row_shr:2 row_mask:0xf bank_mask:0xf
	v_cndmask_b32_e64 v46, 0, v46, s[22:23]
	v_add_u32_e32 v45, v45, v46
	;; [unrolled: 4-line block ×3, first 2 shown]
	ds_write_b32 v12, v45
.LBB278_22:                             ;   in Loop: Header=BB278_2 Depth=1
	s_or_b64 exec, exec, s[26:27]
	v_mov_b32_e32 v45, 0
	s_waitcnt lgkmcnt(0)
	s_barrier
	s_and_saveexec_b64 s[26:27], s[14:15]
	s_cbranch_execz .LBB278_1
; %bb.23:                               ;   in Loop: Header=BB278_2 Depth=1
	v_add_u32_e32 v45, -4, v10
	ds_read_b32 v45, v45
	s_branch .LBB278_1
.LBB278_24:
	s_add_u32 s0, s30, s33
	s_addc_u32 s1, s31, 0
	global_store_byte v0, v2, s[0:1]
	global_store_byte v0, v5, s[0:1] offset:320
	global_store_byte v0, v14, s[0:1] offset:640
	;; [unrolled: 1-line block ×7, first 2 shown]
	s_endpgm
	.section	.rodata,"a",@progbits
	.p2align	6, 0x0
	.amdhsa_kernel _Z16sort_keys_kernelI22helper_blocked_stripedaLj320ELj8ELj10EEvPKT0_PS1_
		.amdhsa_group_segment_fixed_size 5152
		.amdhsa_private_segment_fixed_size 0
		.amdhsa_kernarg_size 272
		.amdhsa_user_sgpr_count 6
		.amdhsa_user_sgpr_private_segment_buffer 1
		.amdhsa_user_sgpr_dispatch_ptr 0
		.amdhsa_user_sgpr_queue_ptr 0
		.amdhsa_user_sgpr_kernarg_segment_ptr 1
		.amdhsa_user_sgpr_dispatch_id 0
		.amdhsa_user_sgpr_flat_scratch_init 0
		.amdhsa_user_sgpr_private_segment_size 0
		.amdhsa_uses_dynamic_stack 0
		.amdhsa_system_sgpr_private_segment_wavefront_offset 0
		.amdhsa_system_sgpr_workgroup_id_x 1
		.amdhsa_system_sgpr_workgroup_id_y 0
		.amdhsa_system_sgpr_workgroup_id_z 0
		.amdhsa_system_sgpr_workgroup_info 0
		.amdhsa_system_vgpr_workitem_id 2
		.amdhsa_next_free_vgpr 47
		.amdhsa_next_free_sgpr 38
		.amdhsa_reserve_vcc 1
		.amdhsa_reserve_flat_scratch 0
		.amdhsa_float_round_mode_32 0
		.amdhsa_float_round_mode_16_64 0
		.amdhsa_float_denorm_mode_32 3
		.amdhsa_float_denorm_mode_16_64 3
		.amdhsa_dx10_clamp 1
		.amdhsa_ieee_mode 1
		.amdhsa_fp16_overflow 0
		.amdhsa_exception_fp_ieee_invalid_op 0
		.amdhsa_exception_fp_denorm_src 0
		.amdhsa_exception_fp_ieee_div_zero 0
		.amdhsa_exception_fp_ieee_overflow 0
		.amdhsa_exception_fp_ieee_underflow 0
		.amdhsa_exception_fp_ieee_inexact 0
		.amdhsa_exception_int_div_zero 0
	.end_amdhsa_kernel
	.section	.text._Z16sort_keys_kernelI22helper_blocked_stripedaLj320ELj8ELj10EEvPKT0_PS1_,"axG",@progbits,_Z16sort_keys_kernelI22helper_blocked_stripedaLj320ELj8ELj10EEvPKT0_PS1_,comdat
.Lfunc_end278:
	.size	_Z16sort_keys_kernelI22helper_blocked_stripedaLj320ELj8ELj10EEvPKT0_PS1_, .Lfunc_end278-_Z16sort_keys_kernelI22helper_blocked_stripedaLj320ELj8ELj10EEvPKT0_PS1_
                                        ; -- End function
	.set _Z16sort_keys_kernelI22helper_blocked_stripedaLj320ELj8ELj10EEvPKT0_PS1_.num_vgpr, 47
	.set _Z16sort_keys_kernelI22helper_blocked_stripedaLj320ELj8ELj10EEvPKT0_PS1_.num_agpr, 0
	.set _Z16sort_keys_kernelI22helper_blocked_stripedaLj320ELj8ELj10EEvPKT0_PS1_.numbered_sgpr, 38
	.set _Z16sort_keys_kernelI22helper_blocked_stripedaLj320ELj8ELj10EEvPKT0_PS1_.num_named_barrier, 0
	.set _Z16sort_keys_kernelI22helper_blocked_stripedaLj320ELj8ELj10EEvPKT0_PS1_.private_seg_size, 0
	.set _Z16sort_keys_kernelI22helper_blocked_stripedaLj320ELj8ELj10EEvPKT0_PS1_.uses_vcc, 1
	.set _Z16sort_keys_kernelI22helper_blocked_stripedaLj320ELj8ELj10EEvPKT0_PS1_.uses_flat_scratch, 0
	.set _Z16sort_keys_kernelI22helper_blocked_stripedaLj320ELj8ELj10EEvPKT0_PS1_.has_dyn_sized_stack, 0
	.set _Z16sort_keys_kernelI22helper_blocked_stripedaLj320ELj8ELj10EEvPKT0_PS1_.has_recursion, 0
	.set _Z16sort_keys_kernelI22helper_blocked_stripedaLj320ELj8ELj10EEvPKT0_PS1_.has_indirect_call, 0
	.section	.AMDGPU.csdata,"",@progbits
; Kernel info:
; codeLenInByte = 4748
; TotalNumSgprs: 42
; NumVgprs: 47
; ScratchSize: 0
; MemoryBound: 0
; FloatMode: 240
; IeeeMode: 1
; LDSByteSize: 5152 bytes/workgroup (compile time only)
; SGPRBlocks: 5
; VGPRBlocks: 11
; NumSGPRsForWavesPerEU: 42
; NumVGPRsForWavesPerEU: 47
; Occupancy: 5
; WaveLimiterHint : 1
; COMPUTE_PGM_RSRC2:SCRATCH_EN: 0
; COMPUTE_PGM_RSRC2:USER_SGPR: 6
; COMPUTE_PGM_RSRC2:TRAP_HANDLER: 0
; COMPUTE_PGM_RSRC2:TGID_X_EN: 1
; COMPUTE_PGM_RSRC2:TGID_Y_EN: 0
; COMPUTE_PGM_RSRC2:TGID_Z_EN: 0
; COMPUTE_PGM_RSRC2:TIDIG_COMP_CNT: 2
	.section	.text._Z17sort_pairs_kernelI22helper_blocked_stripedaLj320ELj8ELj10EEvPKT0_PS1_,"axG",@progbits,_Z17sort_pairs_kernelI22helper_blocked_stripedaLj320ELj8ELj10EEvPKT0_PS1_,comdat
	.protected	_Z17sort_pairs_kernelI22helper_blocked_stripedaLj320ELj8ELj10EEvPKT0_PS1_ ; -- Begin function _Z17sort_pairs_kernelI22helper_blocked_stripedaLj320ELj8ELj10EEvPKT0_PS1_
	.globl	_Z17sort_pairs_kernelI22helper_blocked_stripedaLj320ELj8ELj10EEvPKT0_PS1_
	.p2align	8
	.type	_Z17sort_pairs_kernelI22helper_blocked_stripedaLj320ELj8ELj10EEvPKT0_PS1_,@function
_Z17sort_pairs_kernelI22helper_blocked_stripedaLj320ELj8ELj10EEvPKT0_PS1_: ; @_Z17sort_pairs_kernelI22helper_blocked_stripedaLj320ELj8ELj10EEvPKT0_PS1_
; %bb.0:
	s_load_dwordx4 s[28:31], s[4:5], 0x0
	s_load_dword s24, s[4:5], 0x1c
	s_mul_i32 s33, s6, 0xa00
	v_lshlrev_b32_e32 v8, 3, v0
	v_mbcnt_lo_u32_b32 v6, -1, 0
	s_waitcnt lgkmcnt(0)
	s_add_u32 s0, s28, s33
	s_addc_u32 s1, s29, 0
	global_load_dwordx2 v[4:5], v8, s[0:1]
	s_lshr_b32 s25, s24, 16
	s_and_b32 s24, s24, 0xffff
	v_mad_u32_u24 v1, v2, s25, v1
	v_mad_u64_u32 v[1:2], s[24:25], v1, s24, v[0:1]
	v_mbcnt_hi_u32_b32 v11, -1, v6
	v_and_b32_e32 v9, 0x1c0, v0
	v_subrev_co_u32_e64 v18, s[6:7], 1, v11
	v_and_b32_e32 v19, 64, v11
	v_mul_u32_u24_e32 v12, 3, v0
	v_and_b32_e32 v15, 15, v11
	v_min_u32_e32 v17, 0x100, v9
	v_cmp_lt_i32_e64 s[18:19], v18, v19
	s_movk_i32 s34, 0xff00
	v_mov_b32_e32 v14, 1
	v_lshrrev_b32_e32 v10, 4, v0
	v_add_lshl_u32 v7, v11, v9, 3
	v_and_b32_e32 v13, 0xe00, v8
	v_and_b32_e32 v16, 16, v11
	v_add_u32_e32 v9, v0, v12
	v_cmp_eq_u32_e64 s[8:9], 0, v15
	v_cmp_lt_u32_e64 s[10:11], 1, v15
	v_cmp_lt_u32_e64 s[12:13], 3, v15
	;; [unrolled: 1-line block ×3, first 2 shown]
	v_or_b32_e32 v12, 63, v17
	v_cndmask_b32_e64 v15, v18, v11, s[18:19]
	v_lshrrev_b32_e32 v1, 4, v1
	v_cmp_lt_u32_e64 s[4:5], 31, v11
	v_and_b32_e32 v8, 28, v10
	v_and_b32_e32 v10, 7, v11
	v_cmp_eq_u32_e64 s[16:17], 0, v16
	v_add_u32_e32 v11, v11, v13
	v_cmp_eq_u32_e64 s[24:25], v0, v12
	v_lshlrev_b32_e32 v12, 2, v15
	v_and_b32_e32 v13, 0xffffffc, v1
	s_movk_i32 s26, 0x100
	s_mov_b32 s35, 10
	s_movk_i32 s36, 0x80
	s_movk_i32 s37, 0x8000
	v_mov_b32_e32 v3, 0
	s_mov_b32 s38, 0xc0c0004
	v_lshlrev_b32_e32 v6, 4, v0
	v_cmp_gt_u32_e32 vcc, 5, v0
	v_cmp_lt_u32_e64 s[0:1], 63, v0
	v_cmp_eq_u32_e64 s[2:3], 0, v0
	v_cmp_eq_u32_e64 s[18:19], 0, v10
	v_cmp_lt_u32_e64 s[20:21], 1, v10
	v_cmp_lt_u32_e64 s[22:23], 3, v10
	v_add_u32_e32 v10, -4, v8
	s_waitcnt vmcnt(0)
	v_and_b32_e32 v1, 0xffffff00, v4
	v_add_u16_e32 v2, 1, v4
	v_and_b32_sdwa v15, v4, s34 dst_sel:DWORD dst_unused:UNUSED_PAD src0_sel:WORD_1 src1_sel:DWORD
	v_add_u16_sdwa v16, v4, v14 dst_sel:DWORD dst_unused:UNUSED_PAD src0_sel:WORD_1 src1_sel:DWORD
	v_and_b32_e32 v17, 0xffffff00, v5
	v_add_u16_e32 v18, 1, v5
	v_and_b32_sdwa v19, v5, s34 dst_sel:DWORD dst_unused:UNUSED_PAD src0_sel:WORD_1 src1_sel:DWORD
	v_add_u16_sdwa v14, v5, v14 dst_sel:DWORD dst_unused:UNUSED_PAD src0_sel:WORD_1 src1_sel:DWORD
	v_or_b32_sdwa v1, v1, v2 dst_sel:DWORD dst_unused:UNUSED_PAD src0_sel:DWORD src1_sel:BYTE_0
	v_or_b32_sdwa v2, v15, v16 dst_sel:DWORD dst_unused:UNUSED_PAD src0_sel:DWORD src1_sel:BYTE_0
	;; [unrolled: 1-line block ×4, first 2 shown]
	v_add_u16_e32 v1, 0x100, v1
	v_add_u16_sdwa v2, v2, s26 dst_sel:WORD_1 dst_unused:UNUSED_PAD src0_sel:DWORD src1_sel:DWORD
	v_add_u16_e32 v15, 0x100, v15
	v_add_u16_sdwa v14, v14, s26 dst_sel:WORD_1 dst_unused:UNUSED_PAD src0_sel:DWORD src1_sel:DWORD
	v_or_b32_e32 v1, v1, v2
	v_or_b32_e32 v2, v15, v14
	v_mov_b32_e32 v14, 20
	s_branch .LBB279_2
.LBB279_1:                              ;   in Loop: Header=BB279_2 Depth=1
	s_or_b64 exec, exec, s[26:27]
	s_waitcnt lgkmcnt(0)
	v_add_u32_e32 v2, v54, v2
	ds_bpermute_b32 v2, v12, v2
	s_add_i32 s35, s35, -1
	s_cmp_eq_u32 s35, 0
	s_waitcnt lgkmcnt(0)
	v_cndmask_b32_e64 v2, v2, v54, s[6:7]
	v_cndmask_b32_e64 v2, v2, 0, s[2:3]
	v_add_u32_e32 v4, v2, v4
	v_add_u32_e32 v5, v4, v5
	;; [unrolled: 1-line block ×3, first 2 shown]
	ds_write2_b32 v6, v2, v4 offset0:5 offset1:6
	ds_write2_b32 v6, v5, v1 offset0:7 offset1:8
	s_waitcnt lgkmcnt(0)
	s_barrier
	ds_read_b32 v1, v32 offset:20
	ds_read_b32 v2, v35 offset:20
	;; [unrolled: 1-line block ×8, first 2 shown]
	s_waitcnt lgkmcnt(7)
	v_add_u32_e32 v1, v1, v31
	s_waitcnt lgkmcnt(6)
	v_add3_u32 v2, v34, v33, v2
	s_waitcnt lgkmcnt(5)
	v_add3_u32 v4, v37, v36, v4
	;; [unrolled: 2-line block ×3, first 2 shown]
	s_waitcnt lgkmcnt(0)
	s_barrier
	ds_write_b8 v1, v22
	ds_write_b8 v2, v21
	;; [unrolled: 1-line block ×4, first 2 shown]
	v_add3_u32 v19, v43, v42, v32
	ds_write_b8 v19, v18
	v_add3_u32 v18, v46, v45, v35
	ds_write_b8 v18, v17
	;; [unrolled: 2-line block ×4, first 2 shown]
	s_waitcnt lgkmcnt(0)
	s_barrier
	ds_read_u8 v31, v0
	ds_read_u8 v32, v0 offset:320
	ds_read_u8 v33, v0 offset:640
	;; [unrolled: 1-line block ×7, first 2 shown]
	s_waitcnt lgkmcnt(0)
	s_barrier
	ds_write_b8 v1, v23
	ds_write_b8 v2, v24
	;; [unrolled: 1-line block ×8, first 2 shown]
	v_xor_b32_e32 v24, 0xffffff80, v32
	v_xor_b32_e32 v26, 0xffffff80, v34
	s_waitcnt lgkmcnt(0)
	s_barrier
	ds_read_u8 v15, v0
	ds_read_u8 v16, v0 offset:320
	ds_read_u8 v17, v0 offset:640
	;; [unrolled: 1-line block ×7, first 2 shown]
	v_xor_b32_e32 v23, 0xffffff80, v31
	v_xor_b32_e32 v25, 0xffffff80, v33
	v_lshlrev_b16_e32 v1, 8, v24
	v_lshlrev_b16_e32 v2, 8, v26
	v_xor_b32_e32 v28, 0xffffff80, v36
	v_xor_b32_e32 v30, 0xffffff80, v38
	v_or_b32_sdwa v1, v23, v1 dst_sel:DWORD dst_unused:UNUSED_PAD src0_sel:BYTE_0 src1_sel:DWORD
	v_or_b32_sdwa v2, v25, v2 dst_sel:WORD_1 dst_unused:UNUSED_PAD src0_sel:BYTE_0 src1_sel:DWORD
	v_xor_b32_e32 v27, 0xffffff80, v35
	v_xor_b32_e32 v29, 0xffffff80, v37
	v_or_b32_sdwa v4, v1, v2 dst_sel:DWORD dst_unused:UNUSED_PAD src0_sel:WORD_0 src1_sel:DWORD
	v_lshlrev_b16_e32 v1, 8, v28
	v_lshlrev_b16_e32 v2, 8, v30
	v_or_b32_sdwa v1, v27, v1 dst_sel:DWORD dst_unused:UNUSED_PAD src0_sel:BYTE_0 src1_sel:DWORD
	v_or_b32_sdwa v2, v29, v2 dst_sel:WORD_1 dst_unused:UNUSED_PAD src0_sel:BYTE_0 src1_sel:DWORD
	v_or_b32_sdwa v5, v1, v2 dst_sel:DWORD dst_unused:UNUSED_PAD src0_sel:WORD_0 src1_sel:DWORD
	s_waitcnt lgkmcnt(6)
	v_perm_b32 v1, v15, v16, s38
	s_waitcnt lgkmcnt(4)
	v_perm_b32 v2, v17, v18, s38
	v_lshl_or_b32 v1, v2, 16, v1
	s_waitcnt lgkmcnt(2)
	v_perm_b32 v2, v19, v20, s38
	s_waitcnt lgkmcnt(0)
	v_perm_b32 v31, v21, v22, s38
	v_lshl_or_b32 v2, v31, 16, v2
	s_cbranch_scc1 .LBB279_24
.LBB279_2:                              ; =>This Inner Loop Header: Depth=1
	v_and_b32_e32 v15, 0xffffff00, v4
	v_xor_b32_e32 v16, 0x80, v4
	v_or_b32_sdwa v15, v16, v15 dst_sel:DWORD dst_unused:UNUSED_PAD src0_sel:BYTE_0 src1_sel:DWORD
	v_and_b32_sdwa v16, v4, s34 dst_sel:DWORD dst_unused:UNUSED_PAD src0_sel:WORD_1 src1_sel:DWORD
	v_xor_b32_sdwa v4, v4, s36 dst_sel:DWORD dst_unused:UNUSED_PAD src0_sel:WORD_1 src1_sel:DWORD
	v_or_b32_sdwa v4, v4, v16 dst_sel:DWORD dst_unused:UNUSED_PAD src0_sel:BYTE_0 src1_sel:DWORD
	v_add_u16_e32 v15, 0x8000, v15
	v_add_u16_sdwa v4, v4, s37 dst_sel:WORD_1 dst_unused:UNUSED_PAD src0_sel:DWORD src1_sel:DWORD
	v_or_b32_e32 v4, v15, v4
	v_and_b32_e32 v15, 0xffffff00, v5
	v_xor_b32_e32 v16, 0x80, v5
	v_or_b32_sdwa v15, v16, v15 dst_sel:DWORD dst_unused:UNUSED_PAD src0_sel:BYTE_0 src1_sel:DWORD
	v_and_b32_sdwa v16, v5, s34 dst_sel:DWORD dst_unused:UNUSED_PAD src0_sel:WORD_1 src1_sel:DWORD
	v_xor_b32_sdwa v5, v5, s36 dst_sel:DWORD dst_unused:UNUSED_PAD src0_sel:WORD_1 src1_sel:DWORD
	v_or_b32_sdwa v5, v5, v16 dst_sel:DWORD dst_unused:UNUSED_PAD src0_sel:BYTE_0 src1_sel:DWORD
	v_add_u16_e32 v15, 0x8000, v15
	v_add_u16_sdwa v5, v5, s37 dst_sel:WORD_1 dst_unused:UNUSED_PAD src0_sel:DWORD src1_sel:DWORD
	v_or_b32_e32 v5, v15, v5
	ds_write_b64 v7, v[4:5]
	; wave barrier
	ds_read_u8 v22, v11
	ds_read_u8 v21, v11 offset:64
	ds_read_u8 v20, v11 offset:128
	;; [unrolled: 1-line block ×7, first 2 shown]
	; wave barrier
	ds_write_b64 v7, v[1:2]
	s_waitcnt lgkmcnt(8)
	v_and_b32_e32 v1, 1, v22
	v_add_co_u32_e64 v2, s[26:27], -1, v1
	v_addc_co_u32_e64 v4, s[26:27], 0, -1, s[26:27]
	v_cmp_ne_u32_e64 s[26:27], 0, v1
	v_xor_b32_e32 v1, s27, v4
	v_lshlrev_b32_e32 v4, 30, v22
	v_xor_b32_e32 v2, s26, v2
	v_cmp_gt_i64_e64 s[26:27], 0, v[3:4]
	v_not_b32_e32 v4, v4
	v_ashrrev_i32_e32 v4, 31, v4
	v_and_b32_e32 v2, exec_lo, v2
	v_xor_b32_e32 v5, s27, v4
	v_xor_b32_e32 v4, s26, v4
	v_and_b32_e32 v2, v2, v4
	v_lshlrev_b32_e32 v4, 29, v22
	v_cmp_gt_i64_e64 s[26:27], 0, v[3:4]
	v_not_b32_e32 v4, v4
	v_and_b32_e32 v1, exec_hi, v1
	v_ashrrev_i32_e32 v4, 31, v4
	v_and_b32_e32 v1, v1, v5
	v_xor_b32_e32 v5, s27, v4
	v_xor_b32_e32 v4, s26, v4
	v_and_b32_e32 v2, v2, v4
	v_lshlrev_b32_e32 v4, 28, v22
	v_cmp_gt_i64_e64 s[26:27], 0, v[3:4]
	v_not_b32_e32 v4, v4
	v_ashrrev_i32_e32 v4, 31, v4
	v_and_b32_e32 v1, v1, v5
	v_xor_b32_e32 v5, s27, v4
	v_xor_b32_e32 v4, s26, v4
	v_and_b32_e32 v2, v2, v4
	v_lshlrev_b32_e32 v4, 27, v22
	v_cmp_gt_i64_e64 s[26:27], 0, v[3:4]
	v_not_b32_e32 v4, v4
	;; [unrolled: 8-line block ×4, first 2 shown]
	v_ashrrev_i32_e32 v4, 31, v4
	v_and_b32_e32 v1, v1, v5
	v_xor_b32_e32 v5, s27, v4
	v_xor_b32_e32 v4, s26, v4
	v_and_b32_e32 v1, v1, v5
	v_and_b32_e32 v5, v2, v4
	v_lshlrev_b32_e32 v4, 24, v22
	v_cmp_gt_i64_e64 s[26:27], 0, v[3:4]
	v_not_b32_e32 v2, v4
	v_ashrrev_i32_e32 v2, 31, v2
	v_xor_b32_e32 v4, s27, v2
	v_xor_b32_e32 v23, s26, v2
	; wave barrier
	v_and_b32_e32 v2, v1, v4
	v_and_b32_e32 v1, v5, v23
	ds_read_u8 v23, v11
	ds_read_u8 v24, v11 offset:64
	ds_read_u8 v25, v11 offset:128
	;; [unrolled: 1-line block ×7, first 2 shown]
	v_mbcnt_lo_u32_b32 v4, v1, 0
	v_mbcnt_hi_u32_b32 v31, v2, v4
	v_cmp_ne_u64_e64 s[26:27], 0, v[1:2]
	v_cmp_eq_u32_e64 s[28:29], 0, v31
	v_mul_u32_u24_sdwa v4, v22, v14 dst_sel:DWORD dst_unused:UNUSED_PAD src0_sel:BYTE_0 src1_sel:DWORD
	s_and_b64 s[28:29], s[26:27], s[28:29]
	v_add_u32_e32 v32, v13, v4
	s_waitcnt lgkmcnt(0)
	s_barrier
	ds_write2_b32 v6, v3, v3 offset0:5 offset1:6
	ds_write2_b32 v6, v3, v3 offset0:7 offset1:8
	s_waitcnt lgkmcnt(0)
	s_barrier
	; wave barrier
	s_and_saveexec_b64 s[26:27], s[28:29]
; %bb.3:                                ;   in Loop: Header=BB279_2 Depth=1
	v_bcnt_u32_b32 v1, v1, 0
	v_bcnt_u32_b32 v1, v2, v1
	ds_write_b32 v32, v1 offset:20
; %bb.4:                                ;   in Loop: Header=BB279_2 Depth=1
	s_or_b64 exec, exec, s[26:27]
	v_and_b32_e32 v1, 0xff, v21
	v_mul_u32_u24_e32 v5, 20, v1
	v_mad_u32_u24 v1, v1, 20, v13
	; wave barrier
	ds_read_b32 v33, v1 offset:20
	v_and_b32_e32 v1, 1, v21
	v_add_co_u32_e64 v2, s[26:27], -1, v1
	v_addc_co_u32_e64 v4, s[26:27], 0, -1, s[26:27]
	v_cmp_ne_u32_e64 s[26:27], 0, v1
	v_xor_b32_e32 v1, s27, v4
	v_lshlrev_b32_e32 v4, 30, v21
	v_xor_b32_e32 v2, s26, v2
	v_cmp_gt_i64_e64 s[26:27], 0, v[3:4]
	v_not_b32_e32 v4, v4
	v_ashrrev_i32_e32 v4, 31, v4
	v_and_b32_e32 v2, exec_lo, v2
	v_xor_b32_e32 v34, s27, v4
	v_xor_b32_e32 v4, s26, v4
	v_and_b32_e32 v2, v2, v4
	v_lshlrev_b32_e32 v4, 29, v21
	v_cmp_gt_i64_e64 s[26:27], 0, v[3:4]
	v_not_b32_e32 v4, v4
	v_and_b32_e32 v1, exec_hi, v1
	v_ashrrev_i32_e32 v4, 31, v4
	v_and_b32_e32 v1, v1, v34
	v_xor_b32_e32 v34, s27, v4
	v_xor_b32_e32 v4, s26, v4
	v_and_b32_e32 v2, v2, v4
	v_lshlrev_b32_e32 v4, 28, v21
	v_cmp_gt_i64_e64 s[26:27], 0, v[3:4]
	v_not_b32_e32 v4, v4
	v_ashrrev_i32_e32 v4, 31, v4
	v_and_b32_e32 v1, v1, v34
	v_xor_b32_e32 v34, s27, v4
	v_xor_b32_e32 v4, s26, v4
	v_and_b32_e32 v2, v2, v4
	v_lshlrev_b32_e32 v4, 27, v21
	v_cmp_gt_i64_e64 s[26:27], 0, v[3:4]
	v_not_b32_e32 v4, v4
	;; [unrolled: 8-line block ×4, first 2 shown]
	v_ashrrev_i32_e32 v4, 31, v4
	v_and_b32_e32 v1, v1, v34
	v_xor_b32_e32 v34, s27, v4
	v_xor_b32_e32 v4, s26, v4
	v_and_b32_e32 v1, v1, v34
	v_and_b32_e32 v34, v2, v4
	v_lshlrev_b32_e32 v4, 24, v21
	v_cmp_gt_i64_e64 s[26:27], 0, v[3:4]
	v_not_b32_e32 v2, v4
	v_ashrrev_i32_e32 v2, 31, v2
	v_xor_b32_e32 v4, s27, v2
	v_xor_b32_e32 v35, s26, v2
	v_and_b32_e32 v2, v1, v4
	v_and_b32_e32 v1, v34, v35
	v_mbcnt_lo_u32_b32 v4, v1, 0
	v_mbcnt_hi_u32_b32 v34, v2, v4
	v_cmp_ne_u64_e64 s[26:27], 0, v[1:2]
	v_cmp_eq_u32_e64 s[28:29], 0, v34
	s_and_b64 s[28:29], s[26:27], s[28:29]
	v_add_u32_e32 v35, v13, v5
	; wave barrier
	s_and_saveexec_b64 s[26:27], s[28:29]
	s_cbranch_execz .LBB279_6
; %bb.5:                                ;   in Loop: Header=BB279_2 Depth=1
	v_bcnt_u32_b32 v1, v1, 0
	v_bcnt_u32_b32 v1, v2, v1
	s_waitcnt lgkmcnt(0)
	v_add_u32_e32 v1, v33, v1
	ds_write_b32 v35, v1 offset:20
.LBB279_6:                              ;   in Loop: Header=BB279_2 Depth=1
	s_or_b64 exec, exec, s[26:27]
	v_and_b32_e32 v1, 0xff, v20
	v_mul_u32_u24_e32 v5, 20, v1
	v_mad_u32_u24 v1, v1, 20, v13
	; wave barrier
	ds_read_b32 v36, v1 offset:20
	v_and_b32_e32 v1, 1, v20
	v_add_co_u32_e64 v2, s[26:27], -1, v1
	v_addc_co_u32_e64 v4, s[26:27], 0, -1, s[26:27]
	v_cmp_ne_u32_e64 s[26:27], 0, v1
	v_xor_b32_e32 v1, s27, v4
	v_lshlrev_b32_e32 v4, 30, v20
	v_xor_b32_e32 v2, s26, v2
	v_cmp_gt_i64_e64 s[26:27], 0, v[3:4]
	v_not_b32_e32 v4, v4
	v_ashrrev_i32_e32 v4, 31, v4
	v_and_b32_e32 v2, exec_lo, v2
	v_xor_b32_e32 v37, s27, v4
	v_xor_b32_e32 v4, s26, v4
	v_and_b32_e32 v2, v2, v4
	v_lshlrev_b32_e32 v4, 29, v20
	v_cmp_gt_i64_e64 s[26:27], 0, v[3:4]
	v_not_b32_e32 v4, v4
	v_and_b32_e32 v1, exec_hi, v1
	v_ashrrev_i32_e32 v4, 31, v4
	v_and_b32_e32 v1, v1, v37
	v_xor_b32_e32 v37, s27, v4
	v_xor_b32_e32 v4, s26, v4
	v_and_b32_e32 v2, v2, v4
	v_lshlrev_b32_e32 v4, 28, v20
	v_cmp_gt_i64_e64 s[26:27], 0, v[3:4]
	v_not_b32_e32 v4, v4
	v_ashrrev_i32_e32 v4, 31, v4
	v_and_b32_e32 v1, v1, v37
	v_xor_b32_e32 v37, s27, v4
	v_xor_b32_e32 v4, s26, v4
	v_and_b32_e32 v2, v2, v4
	v_lshlrev_b32_e32 v4, 27, v20
	v_cmp_gt_i64_e64 s[26:27], 0, v[3:4]
	v_not_b32_e32 v4, v4
	;; [unrolled: 8-line block ×4, first 2 shown]
	v_ashrrev_i32_e32 v4, 31, v4
	v_and_b32_e32 v1, v1, v37
	v_xor_b32_e32 v37, s27, v4
	v_xor_b32_e32 v4, s26, v4
	v_and_b32_e32 v1, v1, v37
	v_and_b32_e32 v37, v2, v4
	v_lshlrev_b32_e32 v4, 24, v20
	v_cmp_gt_i64_e64 s[26:27], 0, v[3:4]
	v_not_b32_e32 v2, v4
	v_ashrrev_i32_e32 v2, 31, v2
	v_xor_b32_e32 v4, s27, v2
	v_xor_b32_e32 v38, s26, v2
	v_and_b32_e32 v2, v1, v4
	v_and_b32_e32 v1, v37, v38
	v_mbcnt_lo_u32_b32 v4, v1, 0
	v_mbcnt_hi_u32_b32 v37, v2, v4
	v_cmp_ne_u64_e64 s[26:27], 0, v[1:2]
	v_cmp_eq_u32_e64 s[28:29], 0, v37
	s_and_b64 s[28:29], s[26:27], s[28:29]
	v_add_u32_e32 v38, v13, v5
	; wave barrier
	s_and_saveexec_b64 s[26:27], s[28:29]
	s_cbranch_execz .LBB279_8
; %bb.7:                                ;   in Loop: Header=BB279_2 Depth=1
	v_bcnt_u32_b32 v1, v1, 0
	v_bcnt_u32_b32 v1, v2, v1
	s_waitcnt lgkmcnt(0)
	v_add_u32_e32 v1, v36, v1
	ds_write_b32 v38, v1 offset:20
.LBB279_8:                              ;   in Loop: Header=BB279_2 Depth=1
	s_or_b64 exec, exec, s[26:27]
	v_and_b32_e32 v1, 0xff, v19
	v_mul_u32_u24_e32 v5, 20, v1
	v_mad_u32_u24 v1, v1, 20, v13
	; wave barrier
	ds_read_b32 v39, v1 offset:20
	v_and_b32_e32 v1, 1, v19
	v_add_co_u32_e64 v2, s[26:27], -1, v1
	v_addc_co_u32_e64 v4, s[26:27], 0, -1, s[26:27]
	v_cmp_ne_u32_e64 s[26:27], 0, v1
	v_xor_b32_e32 v1, s27, v4
	v_lshlrev_b32_e32 v4, 30, v19
	v_xor_b32_e32 v2, s26, v2
	v_cmp_gt_i64_e64 s[26:27], 0, v[3:4]
	v_not_b32_e32 v4, v4
	v_ashrrev_i32_e32 v4, 31, v4
	v_and_b32_e32 v2, exec_lo, v2
	v_xor_b32_e32 v40, s27, v4
	v_xor_b32_e32 v4, s26, v4
	v_and_b32_e32 v2, v2, v4
	v_lshlrev_b32_e32 v4, 29, v19
	v_cmp_gt_i64_e64 s[26:27], 0, v[3:4]
	v_not_b32_e32 v4, v4
	v_and_b32_e32 v1, exec_hi, v1
	v_ashrrev_i32_e32 v4, 31, v4
	v_and_b32_e32 v1, v1, v40
	v_xor_b32_e32 v40, s27, v4
	v_xor_b32_e32 v4, s26, v4
	v_and_b32_e32 v2, v2, v4
	v_lshlrev_b32_e32 v4, 28, v19
	v_cmp_gt_i64_e64 s[26:27], 0, v[3:4]
	v_not_b32_e32 v4, v4
	v_ashrrev_i32_e32 v4, 31, v4
	v_and_b32_e32 v1, v1, v40
	v_xor_b32_e32 v40, s27, v4
	v_xor_b32_e32 v4, s26, v4
	v_and_b32_e32 v2, v2, v4
	v_lshlrev_b32_e32 v4, 27, v19
	v_cmp_gt_i64_e64 s[26:27], 0, v[3:4]
	v_not_b32_e32 v4, v4
	;; [unrolled: 8-line block ×4, first 2 shown]
	v_ashrrev_i32_e32 v4, 31, v4
	v_and_b32_e32 v1, v1, v40
	v_xor_b32_e32 v40, s27, v4
	v_xor_b32_e32 v4, s26, v4
	v_and_b32_e32 v1, v1, v40
	v_and_b32_e32 v40, v2, v4
	v_lshlrev_b32_e32 v4, 24, v19
	v_cmp_gt_i64_e64 s[26:27], 0, v[3:4]
	v_not_b32_e32 v2, v4
	v_ashrrev_i32_e32 v2, 31, v2
	v_xor_b32_e32 v4, s27, v2
	v_xor_b32_e32 v41, s26, v2
	v_and_b32_e32 v2, v1, v4
	v_and_b32_e32 v1, v40, v41
	v_mbcnt_lo_u32_b32 v4, v1, 0
	v_mbcnt_hi_u32_b32 v40, v2, v4
	v_cmp_ne_u64_e64 s[26:27], 0, v[1:2]
	v_cmp_eq_u32_e64 s[28:29], 0, v40
	s_and_b64 s[28:29], s[26:27], s[28:29]
	v_add_u32_e32 v41, v13, v5
	; wave barrier
	s_and_saveexec_b64 s[26:27], s[28:29]
	s_cbranch_execz .LBB279_10
; %bb.9:                                ;   in Loop: Header=BB279_2 Depth=1
	v_bcnt_u32_b32 v1, v1, 0
	v_bcnt_u32_b32 v1, v2, v1
	s_waitcnt lgkmcnt(0)
	v_add_u32_e32 v1, v39, v1
	ds_write_b32 v41, v1 offset:20
.LBB279_10:                             ;   in Loop: Header=BB279_2 Depth=1
	s_or_b64 exec, exec, s[26:27]
	v_and_b32_e32 v1, 0xff, v18
	v_mul_u32_u24_e32 v5, 20, v1
	v_mad_u32_u24 v1, v1, 20, v13
	; wave barrier
	ds_read_b32 v42, v1 offset:20
	v_and_b32_e32 v1, 1, v18
	v_add_co_u32_e64 v2, s[26:27], -1, v1
	v_addc_co_u32_e64 v4, s[26:27], 0, -1, s[26:27]
	v_cmp_ne_u32_e64 s[26:27], 0, v1
	v_xor_b32_e32 v1, s27, v4
	v_lshlrev_b32_e32 v4, 30, v18
	v_xor_b32_e32 v2, s26, v2
	v_cmp_gt_i64_e64 s[26:27], 0, v[3:4]
	v_not_b32_e32 v4, v4
	v_ashrrev_i32_e32 v4, 31, v4
	v_and_b32_e32 v2, exec_lo, v2
	v_xor_b32_e32 v43, s27, v4
	v_xor_b32_e32 v4, s26, v4
	v_and_b32_e32 v2, v2, v4
	v_lshlrev_b32_e32 v4, 29, v18
	v_cmp_gt_i64_e64 s[26:27], 0, v[3:4]
	v_not_b32_e32 v4, v4
	v_and_b32_e32 v1, exec_hi, v1
	v_ashrrev_i32_e32 v4, 31, v4
	v_and_b32_e32 v1, v1, v43
	v_xor_b32_e32 v43, s27, v4
	v_xor_b32_e32 v4, s26, v4
	v_and_b32_e32 v2, v2, v4
	v_lshlrev_b32_e32 v4, 28, v18
	v_cmp_gt_i64_e64 s[26:27], 0, v[3:4]
	v_not_b32_e32 v4, v4
	v_ashrrev_i32_e32 v4, 31, v4
	v_and_b32_e32 v1, v1, v43
	v_xor_b32_e32 v43, s27, v4
	v_xor_b32_e32 v4, s26, v4
	v_and_b32_e32 v2, v2, v4
	v_lshlrev_b32_e32 v4, 27, v18
	v_cmp_gt_i64_e64 s[26:27], 0, v[3:4]
	v_not_b32_e32 v4, v4
	;; [unrolled: 8-line block ×4, first 2 shown]
	v_ashrrev_i32_e32 v4, 31, v4
	v_and_b32_e32 v1, v1, v43
	v_xor_b32_e32 v43, s27, v4
	v_xor_b32_e32 v4, s26, v4
	v_and_b32_e32 v1, v1, v43
	v_and_b32_e32 v43, v2, v4
	v_lshlrev_b32_e32 v4, 24, v18
	v_cmp_gt_i64_e64 s[26:27], 0, v[3:4]
	v_not_b32_e32 v2, v4
	v_ashrrev_i32_e32 v2, 31, v2
	v_xor_b32_e32 v4, s27, v2
	v_xor_b32_e32 v44, s26, v2
	v_and_b32_e32 v2, v1, v4
	v_and_b32_e32 v1, v43, v44
	v_mbcnt_lo_u32_b32 v4, v1, 0
	v_mbcnt_hi_u32_b32 v43, v2, v4
	v_cmp_ne_u64_e64 s[26:27], 0, v[1:2]
	v_cmp_eq_u32_e64 s[28:29], 0, v43
	s_and_b64 s[28:29], s[26:27], s[28:29]
	v_add_u32_e32 v44, v13, v5
	; wave barrier
	s_and_saveexec_b64 s[26:27], s[28:29]
	s_cbranch_execz .LBB279_12
; %bb.11:                               ;   in Loop: Header=BB279_2 Depth=1
	v_bcnt_u32_b32 v1, v1, 0
	v_bcnt_u32_b32 v1, v2, v1
	s_waitcnt lgkmcnt(0)
	v_add_u32_e32 v1, v42, v1
	ds_write_b32 v44, v1 offset:20
.LBB279_12:                             ;   in Loop: Header=BB279_2 Depth=1
	s_or_b64 exec, exec, s[26:27]
	v_and_b32_e32 v1, 0xff, v17
	v_mul_u32_u24_e32 v5, 20, v1
	v_mad_u32_u24 v1, v1, 20, v13
	; wave barrier
	ds_read_b32 v45, v1 offset:20
	v_and_b32_e32 v1, 1, v17
	v_add_co_u32_e64 v2, s[26:27], -1, v1
	v_addc_co_u32_e64 v4, s[26:27], 0, -1, s[26:27]
	v_cmp_ne_u32_e64 s[26:27], 0, v1
	v_xor_b32_e32 v1, s27, v4
	v_lshlrev_b32_e32 v4, 30, v17
	v_xor_b32_e32 v2, s26, v2
	v_cmp_gt_i64_e64 s[26:27], 0, v[3:4]
	v_not_b32_e32 v4, v4
	v_ashrrev_i32_e32 v4, 31, v4
	v_and_b32_e32 v2, exec_lo, v2
	v_xor_b32_e32 v46, s27, v4
	v_xor_b32_e32 v4, s26, v4
	v_and_b32_e32 v2, v2, v4
	v_lshlrev_b32_e32 v4, 29, v17
	v_cmp_gt_i64_e64 s[26:27], 0, v[3:4]
	v_not_b32_e32 v4, v4
	v_and_b32_e32 v1, exec_hi, v1
	v_ashrrev_i32_e32 v4, 31, v4
	v_and_b32_e32 v1, v1, v46
	v_xor_b32_e32 v46, s27, v4
	v_xor_b32_e32 v4, s26, v4
	v_and_b32_e32 v2, v2, v4
	v_lshlrev_b32_e32 v4, 28, v17
	v_cmp_gt_i64_e64 s[26:27], 0, v[3:4]
	v_not_b32_e32 v4, v4
	v_ashrrev_i32_e32 v4, 31, v4
	v_and_b32_e32 v1, v1, v46
	v_xor_b32_e32 v46, s27, v4
	v_xor_b32_e32 v4, s26, v4
	v_and_b32_e32 v2, v2, v4
	v_lshlrev_b32_e32 v4, 27, v17
	v_cmp_gt_i64_e64 s[26:27], 0, v[3:4]
	v_not_b32_e32 v4, v4
	;; [unrolled: 8-line block ×4, first 2 shown]
	v_ashrrev_i32_e32 v4, 31, v4
	v_and_b32_e32 v1, v1, v46
	v_xor_b32_e32 v46, s27, v4
	v_xor_b32_e32 v4, s26, v4
	v_and_b32_e32 v1, v1, v46
	v_and_b32_e32 v46, v2, v4
	v_lshlrev_b32_e32 v4, 24, v17
	v_cmp_gt_i64_e64 s[26:27], 0, v[3:4]
	v_not_b32_e32 v2, v4
	v_ashrrev_i32_e32 v2, 31, v2
	v_xor_b32_e32 v4, s27, v2
	v_xor_b32_e32 v47, s26, v2
	v_and_b32_e32 v2, v1, v4
	v_and_b32_e32 v1, v46, v47
	v_mbcnt_lo_u32_b32 v4, v1, 0
	v_mbcnt_hi_u32_b32 v46, v2, v4
	v_cmp_ne_u64_e64 s[26:27], 0, v[1:2]
	v_cmp_eq_u32_e64 s[28:29], 0, v46
	s_and_b64 s[28:29], s[26:27], s[28:29]
	v_add_u32_e32 v47, v13, v5
	; wave barrier
	s_and_saveexec_b64 s[26:27], s[28:29]
	s_cbranch_execz .LBB279_14
; %bb.13:                               ;   in Loop: Header=BB279_2 Depth=1
	v_bcnt_u32_b32 v1, v1, 0
	v_bcnt_u32_b32 v1, v2, v1
	s_waitcnt lgkmcnt(0)
	v_add_u32_e32 v1, v45, v1
	ds_write_b32 v47, v1 offset:20
.LBB279_14:                             ;   in Loop: Header=BB279_2 Depth=1
	s_or_b64 exec, exec, s[26:27]
	v_and_b32_e32 v1, 0xff, v16
	v_mul_u32_u24_e32 v5, 20, v1
	v_mad_u32_u24 v1, v1, 20, v13
	; wave barrier
	ds_read_b32 v48, v1 offset:20
	v_and_b32_e32 v1, 1, v16
	v_add_co_u32_e64 v2, s[26:27], -1, v1
	v_addc_co_u32_e64 v4, s[26:27], 0, -1, s[26:27]
	v_cmp_ne_u32_e64 s[26:27], 0, v1
	v_xor_b32_e32 v1, s27, v4
	v_lshlrev_b32_e32 v4, 30, v16
	v_xor_b32_e32 v2, s26, v2
	v_cmp_gt_i64_e64 s[26:27], 0, v[3:4]
	v_not_b32_e32 v4, v4
	v_ashrrev_i32_e32 v4, 31, v4
	v_and_b32_e32 v2, exec_lo, v2
	v_xor_b32_e32 v49, s27, v4
	v_xor_b32_e32 v4, s26, v4
	v_and_b32_e32 v2, v2, v4
	v_lshlrev_b32_e32 v4, 29, v16
	v_cmp_gt_i64_e64 s[26:27], 0, v[3:4]
	v_not_b32_e32 v4, v4
	v_and_b32_e32 v1, exec_hi, v1
	v_ashrrev_i32_e32 v4, 31, v4
	v_and_b32_e32 v1, v1, v49
	v_xor_b32_e32 v49, s27, v4
	v_xor_b32_e32 v4, s26, v4
	v_and_b32_e32 v2, v2, v4
	v_lshlrev_b32_e32 v4, 28, v16
	v_cmp_gt_i64_e64 s[26:27], 0, v[3:4]
	v_not_b32_e32 v4, v4
	v_ashrrev_i32_e32 v4, 31, v4
	v_and_b32_e32 v1, v1, v49
	v_xor_b32_e32 v49, s27, v4
	v_xor_b32_e32 v4, s26, v4
	v_and_b32_e32 v2, v2, v4
	v_lshlrev_b32_e32 v4, 27, v16
	v_cmp_gt_i64_e64 s[26:27], 0, v[3:4]
	v_not_b32_e32 v4, v4
	v_ashrrev_i32_e32 v4, 31, v4
	v_and_b32_e32 v1, v1, v49
	v_xor_b32_e32 v49, s27, v4
	v_xor_b32_e32 v4, s26, v4
	v_and_b32_e32 v2, v2, v4
	v_lshlrev_b32_e32 v4, 26, v16
	v_cmp_gt_i64_e64 s[26:27], 0, v[3:4]
	v_not_b32_e32 v4, v4
	v_ashrrev_i32_e32 v4, 31, v4
	v_and_b32_e32 v1, v1, v49
	v_xor_b32_e32 v49, s27, v4
	v_xor_b32_e32 v4, s26, v4
	v_and_b32_e32 v2, v2, v4
	v_lshlrev_b32_e32 v4, 25, v16
	v_cmp_gt_i64_e64 s[26:27], 0, v[3:4]
	v_not_b32_e32 v4, v4
	v_ashrrev_i32_e32 v4, 31, v4
	v_and_b32_e32 v1, v1, v49
	v_xor_b32_e32 v49, s27, v4
	v_xor_b32_e32 v4, s26, v4
	v_and_b32_e32 v1, v1, v49
	v_and_b32_e32 v49, v2, v4
	v_lshlrev_b32_e32 v4, 24, v16
	v_cmp_gt_i64_e64 s[26:27], 0, v[3:4]
	v_not_b32_e32 v2, v4
	v_ashrrev_i32_e32 v2, 31, v2
	v_xor_b32_e32 v4, s27, v2
	v_xor_b32_e32 v50, s26, v2
	v_and_b32_e32 v2, v1, v4
	v_and_b32_e32 v1, v49, v50
	v_mbcnt_lo_u32_b32 v4, v1, 0
	v_mbcnt_hi_u32_b32 v49, v2, v4
	v_cmp_ne_u64_e64 s[26:27], 0, v[1:2]
	v_cmp_eq_u32_e64 s[28:29], 0, v49
	s_and_b64 s[28:29], s[26:27], s[28:29]
	v_add_u32_e32 v51, v13, v5
	; wave barrier
	s_and_saveexec_b64 s[26:27], s[28:29]
	s_cbranch_execz .LBB279_16
; %bb.15:                               ;   in Loop: Header=BB279_2 Depth=1
	v_bcnt_u32_b32 v1, v1, 0
	v_bcnt_u32_b32 v1, v2, v1
	s_waitcnt lgkmcnt(0)
	v_add_u32_e32 v1, v48, v1
	ds_write_b32 v51, v1 offset:20
.LBB279_16:                             ;   in Loop: Header=BB279_2 Depth=1
	s_or_b64 exec, exec, s[26:27]
	v_and_b32_e32 v1, 0xff, v15
	v_mul_u32_u24_e32 v5, 20, v1
	v_mad_u32_u24 v1, v1, 20, v13
	; wave barrier
	ds_read_b32 v50, v1 offset:20
	v_and_b32_e32 v1, 1, v15
	v_add_co_u32_e64 v2, s[26:27], -1, v1
	v_addc_co_u32_e64 v4, s[26:27], 0, -1, s[26:27]
	v_cmp_ne_u32_e64 s[26:27], 0, v1
	v_xor_b32_e32 v1, s27, v4
	v_lshlrev_b32_e32 v4, 30, v15
	v_xor_b32_e32 v2, s26, v2
	v_cmp_gt_i64_e64 s[26:27], 0, v[3:4]
	v_not_b32_e32 v4, v4
	v_ashrrev_i32_e32 v4, 31, v4
	v_and_b32_e32 v2, exec_lo, v2
	v_xor_b32_e32 v52, s27, v4
	v_xor_b32_e32 v4, s26, v4
	v_and_b32_e32 v2, v2, v4
	v_lshlrev_b32_e32 v4, 29, v15
	v_cmp_gt_i64_e64 s[26:27], 0, v[3:4]
	v_not_b32_e32 v4, v4
	v_and_b32_e32 v1, exec_hi, v1
	v_ashrrev_i32_e32 v4, 31, v4
	v_and_b32_e32 v1, v1, v52
	v_xor_b32_e32 v52, s27, v4
	v_xor_b32_e32 v4, s26, v4
	v_and_b32_e32 v2, v2, v4
	v_lshlrev_b32_e32 v4, 28, v15
	v_cmp_gt_i64_e64 s[26:27], 0, v[3:4]
	v_not_b32_e32 v4, v4
	v_ashrrev_i32_e32 v4, 31, v4
	v_and_b32_e32 v1, v1, v52
	v_xor_b32_e32 v52, s27, v4
	v_xor_b32_e32 v4, s26, v4
	v_and_b32_e32 v2, v2, v4
	v_lshlrev_b32_e32 v4, 27, v15
	v_cmp_gt_i64_e64 s[26:27], 0, v[3:4]
	v_not_b32_e32 v4, v4
	;; [unrolled: 8-line block ×4, first 2 shown]
	v_ashrrev_i32_e32 v4, 31, v4
	v_and_b32_e32 v1, v1, v52
	v_xor_b32_e32 v52, s27, v4
	v_xor_b32_e32 v4, s26, v4
	v_and_b32_e32 v1, v1, v52
	v_and_b32_e32 v52, v2, v4
	v_lshlrev_b32_e32 v4, 24, v15
	v_cmp_gt_i64_e64 s[26:27], 0, v[3:4]
	v_not_b32_e32 v2, v4
	v_ashrrev_i32_e32 v2, 31, v2
	v_xor_b32_e32 v4, s27, v2
	v_xor_b32_e32 v53, s26, v2
	v_and_b32_e32 v2, v1, v4
	v_and_b32_e32 v1, v52, v53
	v_mbcnt_lo_u32_b32 v4, v1, 0
	v_mbcnt_hi_u32_b32 v52, v2, v4
	v_cmp_ne_u64_e64 s[26:27], 0, v[1:2]
	v_cmp_eq_u32_e64 s[28:29], 0, v52
	s_and_b64 s[28:29], s[26:27], s[28:29]
	v_add_u32_e32 v53, v13, v5
	; wave barrier
	s_and_saveexec_b64 s[26:27], s[28:29]
	s_cbranch_execz .LBB279_18
; %bb.17:                               ;   in Loop: Header=BB279_2 Depth=1
	v_bcnt_u32_b32 v1, v1, 0
	v_bcnt_u32_b32 v1, v2, v1
	s_waitcnt lgkmcnt(0)
	v_add_u32_e32 v1, v50, v1
	ds_write_b32 v53, v1 offset:20
.LBB279_18:                             ;   in Loop: Header=BB279_2 Depth=1
	s_or_b64 exec, exec, s[26:27]
	; wave barrier
	s_waitcnt lgkmcnt(0)
	s_barrier
	ds_read2_b32 v[4:5], v6 offset0:5 offset1:6
	ds_read2_b32 v[1:2], v6 offset0:7 offset1:8
	s_waitcnt lgkmcnt(1)
	v_add_u32_e32 v54, v5, v4
	s_waitcnt lgkmcnt(0)
	v_add3_u32 v2, v54, v1, v2
	s_nop 1
	v_mov_b32_dpp v54, v2 row_shr:1 row_mask:0xf bank_mask:0xf
	v_cndmask_b32_e64 v54, v54, 0, s[8:9]
	v_add_u32_e32 v2, v54, v2
	s_nop 1
	v_mov_b32_dpp v54, v2 row_shr:2 row_mask:0xf bank_mask:0xf
	v_cndmask_b32_e64 v54, 0, v54, s[10:11]
	v_add_u32_e32 v2, v2, v54
	;; [unrolled: 4-line block ×4, first 2 shown]
	s_nop 1
	v_mov_b32_dpp v54, v2 row_bcast:15 row_mask:0xf bank_mask:0xf
	v_cndmask_b32_e64 v54, v54, 0, s[16:17]
	v_add_u32_e32 v2, v2, v54
	s_nop 1
	v_mov_b32_dpp v54, v2 row_bcast:31 row_mask:0xf bank_mask:0xf
	v_cndmask_b32_e64 v54, 0, v54, s[4:5]
	v_add_u32_e32 v2, v2, v54
	s_and_saveexec_b64 s[26:27], s[24:25]
; %bb.19:                               ;   in Loop: Header=BB279_2 Depth=1
	ds_write_b32 v8, v2
; %bb.20:                               ;   in Loop: Header=BB279_2 Depth=1
	s_or_b64 exec, exec, s[26:27]
	s_waitcnt lgkmcnt(0)
	s_barrier
	s_and_saveexec_b64 s[26:27], vcc
	s_cbranch_execz .LBB279_22
; %bb.21:                               ;   in Loop: Header=BB279_2 Depth=1
	ds_read_b32 v54, v9
	s_waitcnt lgkmcnt(0)
	s_nop 0
	v_mov_b32_dpp v55, v54 row_shr:1 row_mask:0xf bank_mask:0xf
	v_cndmask_b32_e64 v55, v55, 0, s[18:19]
	v_add_u32_e32 v54, v55, v54
	s_nop 1
	v_mov_b32_dpp v55, v54 row_shr:2 row_mask:0xf bank_mask:0xf
	v_cndmask_b32_e64 v55, 0, v55, s[20:21]
	v_add_u32_e32 v54, v54, v55
	;; [unrolled: 4-line block ×3, first 2 shown]
	ds_write_b32 v9, v54
.LBB279_22:                             ;   in Loop: Header=BB279_2 Depth=1
	s_or_b64 exec, exec, s[26:27]
	v_mov_b32_e32 v54, 0
	s_waitcnt lgkmcnt(0)
	s_barrier
	s_and_saveexec_b64 s[26:27], s[0:1]
	s_cbranch_execz .LBB279_1
; %bb.23:                               ;   in Loop: Header=BB279_2 Depth=1
	ds_read_b32 v54, v10
	s_branch .LBB279_1
.LBB279_24:
	s_add_u32 s0, s30, s33
	v_add_u16_e32 v1, v23, v15
	s_addc_u32 s1, s31, 0
	v_add_u16_e32 v2, v24, v16
	v_add_u16_e32 v3, v25, v17
	;; [unrolled: 1-line block ×7, first 2 shown]
	global_store_byte v0, v1, s[0:1]
	global_store_byte v0, v2, s[0:1] offset:320
	global_store_byte v0, v3, s[0:1] offset:640
	;; [unrolled: 1-line block ×7, first 2 shown]
	s_endpgm
	.section	.rodata,"a",@progbits
	.p2align	6, 0x0
	.amdhsa_kernel _Z17sort_pairs_kernelI22helper_blocked_stripedaLj320ELj8ELj10EEvPKT0_PS1_
		.amdhsa_group_segment_fixed_size 5152
		.amdhsa_private_segment_fixed_size 0
		.amdhsa_kernarg_size 272
		.amdhsa_user_sgpr_count 6
		.amdhsa_user_sgpr_private_segment_buffer 1
		.amdhsa_user_sgpr_dispatch_ptr 0
		.amdhsa_user_sgpr_queue_ptr 0
		.amdhsa_user_sgpr_kernarg_segment_ptr 1
		.amdhsa_user_sgpr_dispatch_id 0
		.amdhsa_user_sgpr_flat_scratch_init 0
		.amdhsa_user_sgpr_private_segment_size 0
		.amdhsa_uses_dynamic_stack 0
		.amdhsa_system_sgpr_private_segment_wavefront_offset 0
		.amdhsa_system_sgpr_workgroup_id_x 1
		.amdhsa_system_sgpr_workgroup_id_y 0
		.amdhsa_system_sgpr_workgroup_id_z 0
		.amdhsa_system_sgpr_workgroup_info 0
		.amdhsa_system_vgpr_workitem_id 2
		.amdhsa_next_free_vgpr 56
		.amdhsa_next_free_sgpr 39
		.amdhsa_reserve_vcc 1
		.amdhsa_reserve_flat_scratch 0
		.amdhsa_float_round_mode_32 0
		.amdhsa_float_round_mode_16_64 0
		.amdhsa_float_denorm_mode_32 3
		.amdhsa_float_denorm_mode_16_64 3
		.amdhsa_dx10_clamp 1
		.amdhsa_ieee_mode 1
		.amdhsa_fp16_overflow 0
		.amdhsa_exception_fp_ieee_invalid_op 0
		.amdhsa_exception_fp_denorm_src 0
		.amdhsa_exception_fp_ieee_div_zero 0
		.amdhsa_exception_fp_ieee_overflow 0
		.amdhsa_exception_fp_ieee_underflow 0
		.amdhsa_exception_fp_ieee_inexact 0
		.amdhsa_exception_int_div_zero 0
	.end_amdhsa_kernel
	.section	.text._Z17sort_pairs_kernelI22helper_blocked_stripedaLj320ELj8ELj10EEvPKT0_PS1_,"axG",@progbits,_Z17sort_pairs_kernelI22helper_blocked_stripedaLj320ELj8ELj10EEvPKT0_PS1_,comdat
.Lfunc_end279:
	.size	_Z17sort_pairs_kernelI22helper_blocked_stripedaLj320ELj8ELj10EEvPKT0_PS1_, .Lfunc_end279-_Z17sort_pairs_kernelI22helper_blocked_stripedaLj320ELj8ELj10EEvPKT0_PS1_
                                        ; -- End function
	.set _Z17sort_pairs_kernelI22helper_blocked_stripedaLj320ELj8ELj10EEvPKT0_PS1_.num_vgpr, 56
	.set _Z17sort_pairs_kernelI22helper_blocked_stripedaLj320ELj8ELj10EEvPKT0_PS1_.num_agpr, 0
	.set _Z17sort_pairs_kernelI22helper_blocked_stripedaLj320ELj8ELj10EEvPKT0_PS1_.numbered_sgpr, 39
	.set _Z17sort_pairs_kernelI22helper_blocked_stripedaLj320ELj8ELj10EEvPKT0_PS1_.num_named_barrier, 0
	.set _Z17sort_pairs_kernelI22helper_blocked_stripedaLj320ELj8ELj10EEvPKT0_PS1_.private_seg_size, 0
	.set _Z17sort_pairs_kernelI22helper_blocked_stripedaLj320ELj8ELj10EEvPKT0_PS1_.uses_vcc, 1
	.set _Z17sort_pairs_kernelI22helper_blocked_stripedaLj320ELj8ELj10EEvPKT0_PS1_.uses_flat_scratch, 0
	.set _Z17sort_pairs_kernelI22helper_blocked_stripedaLj320ELj8ELj10EEvPKT0_PS1_.has_dyn_sized_stack, 0
	.set _Z17sort_pairs_kernelI22helper_blocked_stripedaLj320ELj8ELj10EEvPKT0_PS1_.has_recursion, 0
	.set _Z17sort_pairs_kernelI22helper_blocked_stripedaLj320ELj8ELj10EEvPKT0_PS1_.has_indirect_call, 0
	.section	.AMDGPU.csdata,"",@progbits
; Kernel info:
; codeLenInByte = 5200
; TotalNumSgprs: 43
; NumVgprs: 56
; ScratchSize: 0
; MemoryBound: 0
; FloatMode: 240
; IeeeMode: 1
; LDSByteSize: 5152 bytes/workgroup (compile time only)
; SGPRBlocks: 5
; VGPRBlocks: 13
; NumSGPRsForWavesPerEU: 43
; NumVGPRsForWavesPerEU: 56
; Occupancy: 4
; WaveLimiterHint : 1
; COMPUTE_PGM_RSRC2:SCRATCH_EN: 0
; COMPUTE_PGM_RSRC2:USER_SGPR: 6
; COMPUTE_PGM_RSRC2:TRAP_HANDLER: 0
; COMPUTE_PGM_RSRC2:TGID_X_EN: 1
; COMPUTE_PGM_RSRC2:TGID_Y_EN: 0
; COMPUTE_PGM_RSRC2:TGID_Z_EN: 0
; COMPUTE_PGM_RSRC2:TIDIG_COMP_CNT: 2
	.section	.text._Z16sort_keys_kernelI22helper_blocked_stripedaLj512ELj1ELj10EEvPKT0_PS1_,"axG",@progbits,_Z16sort_keys_kernelI22helper_blocked_stripedaLj512ELj1ELj10EEvPKT0_PS1_,comdat
	.protected	_Z16sort_keys_kernelI22helper_blocked_stripedaLj512ELj1ELj10EEvPKT0_PS1_ ; -- Begin function _Z16sort_keys_kernelI22helper_blocked_stripedaLj512ELj1ELj10EEvPKT0_PS1_
	.globl	_Z16sort_keys_kernelI22helper_blocked_stripedaLj512ELj1ELj10EEvPKT0_PS1_
	.p2align	8
	.type	_Z16sort_keys_kernelI22helper_blocked_stripedaLj512ELj1ELj10EEvPKT0_PS1_,@function
_Z16sort_keys_kernelI22helper_blocked_stripedaLj512ELj1ELj10EEvPKT0_PS1_: ; @_Z16sort_keys_kernelI22helper_blocked_stripedaLj512ELj1ELj10EEvPKT0_PS1_
; %bb.0:
	s_load_dwordx4 s[28:31], s[4:5], 0x0
	s_load_dword s24, s[4:5], 0x1c
	s_lshl_b32 s33, s6, 9
	v_mbcnt_lo_u32_b32 v4, -1, 0
	v_mbcnt_hi_u32_b32 v4, -1, v4
	s_waitcnt lgkmcnt(0)
	s_add_u32 s0, s28, s33
	s_addc_u32 s1, s29, 0
	global_load_ubyte v3, v0, s[0:1]
	s_lshr_b32 s25, s24, 16
	s_and_b32 s24, s24, 0xffff
	v_mad_u32_u24 v1, v2, s25, v1
	v_mad_u64_u32 v[1:2], s[24:25], v1, s24, v[0:1]
	v_or_b32_e32 v6, 63, v0
	s_mov_b32 s10, 0
	v_cmp_eq_u32_e64 s[6:7], v0, v6
	v_subrev_co_u32_e64 v6, s[8:9], 1, v4
	v_and_b32_e32 v16, 64, v4
	v_lshrrev_b32_e32 v7, 4, v0
	s_mov_b32 s12, s10
	v_cmp_lt_i32_e64 s[20:21], v6, v16
	v_mul_u32_u24_e32 v13, 3, v0
	s_mov_b32 s11, s10
	s_mov_b32 s13, s10
	v_and_b32_e32 v14, 15, v4
	v_and_b32_e32 v15, 16, v4
	v_cmp_lt_u32_e64 s[4:5], 31, v4
	v_and_b32_e32 v12, 28, v7
	v_and_b32_e32 v17, 7, v4
	v_mov_b32_e32 v7, s10
	v_mov_b32_e32 v9, s12
	v_cndmask_b32_e64 v4, v6, v4, s[20:21]
	v_lshrrev_b32_e32 v1, 4, v1
	v_mov_b32_e32 v5, 0
	s_mov_b32 s34, 10
	v_lshlrev_b32_e32 v11, 4, v0
	v_cmp_gt_u32_e32 vcc, 8, v0
	v_cmp_lt_u32_e64 s[0:1], 63, v0
	v_cmp_eq_u32_e64 s[2:3], 0, v0
	v_mov_b32_e32 v8, s11
	v_mov_b32_e32 v10, s13
	v_add_u32_e32 v13, v0, v13
	v_cmp_eq_u32_e64 s[10:11], 0, v14
	v_cmp_lt_u32_e64 s[12:13], 1, v14
	v_cmp_lt_u32_e64 s[14:15], 3, v14
	;; [unrolled: 1-line block ×3, first 2 shown]
	v_cmp_eq_u32_e64 s[18:19], 0, v15
	v_cmp_eq_u32_e64 s[20:21], 0, v17
	v_cmp_lt_u32_e64 s[22:23], 1, v17
	v_cmp_lt_u32_e64 s[24:25], 3, v17
	v_add_u32_e32 v14, -4, v12
	v_lshlrev_b32_e32 v15, 2, v4
	v_and_b32_e32 v16, 0xffffffc, v1
	v_mov_b32_e32 v17, 5
	s_waitcnt vmcnt(0)
	v_xor_b32_e32 v18, 0xffffff80, v3
	s_branch .LBB280_2
.LBB280_1:                              ;   in Loop: Header=BB280_2 Depth=1
	s_or_b64 exec, exec, s[26:27]
	s_waitcnt lgkmcnt(0)
	v_add_u32_e32 v4, v20, v4
	ds_bpermute_b32 v4, v15, v4
	s_add_i32 s34, s34, -1
	s_cmp_eq_u32 s34, 0
	s_waitcnt lgkmcnt(0)
	v_cndmask_b32_e64 v4, v4, v20, s[8:9]
	v_cndmask_b32_e64 v20, v4, 0, s[2:3]
	v_add_u32_e32 v21, v20, v1
	v_add_u32_e32 v1, v21, v2
	;; [unrolled: 1-line block ×3, first 2 shown]
	ds_write2_b64 v11, v[20:21], v[1:2] offset0:4 offset1:5
	s_waitcnt lgkmcnt(0)
	s_barrier
	ds_read_b32 v1, v19 offset:32
	s_waitcnt lgkmcnt(0)
	s_barrier
	v_add_u32_e32 v1, v1, v6
	ds_write_b8 v1, v18
	s_waitcnt lgkmcnt(0)
	s_barrier
	ds_read_u8 v18, v0
	s_cbranch_scc1 .LBB280_10
.LBB280_2:                              ; =>This Inner Loop Header: Depth=1
	s_waitcnt lgkmcnt(0)
	v_and_b32_e32 v1, 1, v18
	v_add_co_u32_e64 v2, s[26:27], -1, v1
	v_addc_co_u32_e64 v4, s[26:27], 0, -1, s[26:27]
	v_cmp_ne_u32_e64 s[26:27], 0, v1
	v_lshlrev_b32_e32 v6, 30, v18
	v_xor_b32_e32 v1, s27, v4
	v_xor_b32_e32 v2, s26, v2
	v_cmp_gt_i64_e64 s[26:27], 0, v[5:6]
	v_not_b32_e32 v4, v6
	v_ashrrev_i32_e32 v4, 31, v4
	v_and_b32_e32 v1, exec_hi, v1
	v_xor_b32_e32 v6, s27, v4
	v_and_b32_e32 v2, exec_lo, v2
	v_xor_b32_e32 v4, s26, v4
	v_and_b32_e32 v1, v1, v6
	v_lshlrev_b32_e32 v6, 29, v18
	v_and_b32_e32 v2, v2, v4
	v_cmp_gt_i64_e64 s[26:27], 0, v[5:6]
	v_not_b32_e32 v4, v6
	v_ashrrev_i32_e32 v4, 31, v4
	v_xor_b32_e32 v6, s27, v4
	v_xor_b32_e32 v4, s26, v4
	v_and_b32_e32 v1, v1, v6
	v_lshlrev_b32_e32 v6, 28, v18
	v_and_b32_e32 v2, v2, v4
	v_cmp_gt_i64_e64 s[26:27], 0, v[5:6]
	v_not_b32_e32 v4, v6
	v_ashrrev_i32_e32 v4, 31, v4
	v_xor_b32_e32 v6, s27, v4
	;; [unrolled: 8-line block ×6, first 2 shown]
	v_xor_b32_e32 v19, s26, v2
	v_and_b32_e32 v2, v1, v6
	v_and_b32_e32 v1, v4, v19
	v_mbcnt_lo_u32_b32 v4, v1, 0
	v_mbcnt_hi_u32_b32 v6, v2, v4
	v_cmp_ne_u64_e64 s[26:27], 0, v[1:2]
	v_lshlrev_b32_sdwa v3, v17, v18 dst_sel:DWORD dst_unused:UNUSED_PAD src0_sel:DWORD src1_sel:BYTE_0
	v_cmp_eq_u32_e64 s[28:29], 0, v6
	s_and_b64 s[28:29], s[26:27], s[28:29]
	v_add_u32_e32 v19, v16, v3
	ds_write2_b64 v11, v[7:8], v[9:10] offset0:4 offset1:5
	s_waitcnt lgkmcnt(0)
	s_barrier
	; wave barrier
	s_and_saveexec_b64 s[26:27], s[28:29]
; %bb.3:                                ;   in Loop: Header=BB280_2 Depth=1
	v_bcnt_u32_b32 v1, v1, 0
	v_bcnt_u32_b32 v1, v2, v1
	ds_write_b32 v19, v1 offset:32
; %bb.4:                                ;   in Loop: Header=BB280_2 Depth=1
	s_or_b64 exec, exec, s[26:27]
	; wave barrier
	s_waitcnt lgkmcnt(0)
	s_barrier
	ds_read2_b64 v[1:4], v11 offset0:4 offset1:5
	s_waitcnt lgkmcnt(0)
	v_add_u32_e32 v20, v2, v1
	v_add3_u32 v4, v20, v3, v4
	s_nop 1
	v_mov_b32_dpp v20, v4 row_shr:1 row_mask:0xf bank_mask:0xf
	v_cndmask_b32_e64 v20, v20, 0, s[10:11]
	v_add_u32_e32 v4, v20, v4
	s_nop 1
	v_mov_b32_dpp v20, v4 row_shr:2 row_mask:0xf bank_mask:0xf
	v_cndmask_b32_e64 v20, 0, v20, s[12:13]
	v_add_u32_e32 v4, v4, v20
	;; [unrolled: 4-line block ×4, first 2 shown]
	s_nop 1
	v_mov_b32_dpp v20, v4 row_bcast:15 row_mask:0xf bank_mask:0xf
	v_cndmask_b32_e64 v20, v20, 0, s[18:19]
	v_add_u32_e32 v4, v4, v20
	s_nop 1
	v_mov_b32_dpp v20, v4 row_bcast:31 row_mask:0xf bank_mask:0xf
	v_cndmask_b32_e64 v20, 0, v20, s[4:5]
	v_add_u32_e32 v4, v4, v20
	s_and_saveexec_b64 s[26:27], s[6:7]
; %bb.5:                                ;   in Loop: Header=BB280_2 Depth=1
	ds_write_b32 v12, v4
; %bb.6:                                ;   in Loop: Header=BB280_2 Depth=1
	s_or_b64 exec, exec, s[26:27]
	s_waitcnt lgkmcnt(0)
	s_barrier
	s_and_saveexec_b64 s[26:27], vcc
	s_cbranch_execz .LBB280_8
; %bb.7:                                ;   in Loop: Header=BB280_2 Depth=1
	ds_read_b32 v20, v13
	s_waitcnt lgkmcnt(0)
	s_nop 0
	v_mov_b32_dpp v21, v20 row_shr:1 row_mask:0xf bank_mask:0xf
	v_cndmask_b32_e64 v21, v21, 0, s[20:21]
	v_add_u32_e32 v20, v21, v20
	s_nop 1
	v_mov_b32_dpp v21, v20 row_shr:2 row_mask:0xf bank_mask:0xf
	v_cndmask_b32_e64 v21, 0, v21, s[22:23]
	v_add_u32_e32 v20, v20, v21
	;; [unrolled: 4-line block ×3, first 2 shown]
	ds_write_b32 v13, v20
.LBB280_8:                              ;   in Loop: Header=BB280_2 Depth=1
	s_or_b64 exec, exec, s[26:27]
	v_mov_b32_e32 v20, 0
	s_waitcnt lgkmcnt(0)
	s_barrier
	s_and_saveexec_b64 s[26:27], s[0:1]
	s_cbranch_execz .LBB280_1
; %bb.9:                                ;   in Loop: Header=BB280_2 Depth=1
	ds_read_b32 v20, v14
	s_branch .LBB280_1
.LBB280_10:
	s_add_u32 s0, s30, s33
	s_addc_u32 s1, s31, 0
	v_mov_b32_e32 v1, s1
	v_add_co_u32_e32 v0, vcc, s0, v0
	s_waitcnt lgkmcnt(0)
	v_xor_b32_e32 v2, 0x80, v18
	v_addc_co_u32_e32 v1, vcc, 0, v1, vcc
	global_store_byte v[0:1], v2, off
	s_endpgm
	.section	.rodata,"a",@progbits
	.p2align	6, 0x0
	.amdhsa_kernel _Z16sort_keys_kernelI22helper_blocked_stripedaLj512ELj1ELj10EEvPKT0_PS1_
		.amdhsa_group_segment_fixed_size 8224
		.amdhsa_private_segment_fixed_size 0
		.amdhsa_kernarg_size 272
		.amdhsa_user_sgpr_count 6
		.amdhsa_user_sgpr_private_segment_buffer 1
		.amdhsa_user_sgpr_dispatch_ptr 0
		.amdhsa_user_sgpr_queue_ptr 0
		.amdhsa_user_sgpr_kernarg_segment_ptr 1
		.amdhsa_user_sgpr_dispatch_id 0
		.amdhsa_user_sgpr_flat_scratch_init 0
		.amdhsa_user_sgpr_private_segment_size 0
		.amdhsa_uses_dynamic_stack 0
		.amdhsa_system_sgpr_private_segment_wavefront_offset 0
		.amdhsa_system_sgpr_workgroup_id_x 1
		.amdhsa_system_sgpr_workgroup_id_y 0
		.amdhsa_system_sgpr_workgroup_id_z 0
		.amdhsa_system_sgpr_workgroup_info 0
		.amdhsa_system_vgpr_workitem_id 2
		.amdhsa_next_free_vgpr 22
		.amdhsa_next_free_sgpr 35
		.amdhsa_reserve_vcc 1
		.amdhsa_reserve_flat_scratch 0
		.amdhsa_float_round_mode_32 0
		.amdhsa_float_round_mode_16_64 0
		.amdhsa_float_denorm_mode_32 3
		.amdhsa_float_denorm_mode_16_64 3
		.amdhsa_dx10_clamp 1
		.amdhsa_ieee_mode 1
		.amdhsa_fp16_overflow 0
		.amdhsa_exception_fp_ieee_invalid_op 0
		.amdhsa_exception_fp_denorm_src 0
		.amdhsa_exception_fp_ieee_div_zero 0
		.amdhsa_exception_fp_ieee_overflow 0
		.amdhsa_exception_fp_ieee_underflow 0
		.amdhsa_exception_fp_ieee_inexact 0
		.amdhsa_exception_int_div_zero 0
	.end_amdhsa_kernel
	.section	.text._Z16sort_keys_kernelI22helper_blocked_stripedaLj512ELj1ELj10EEvPKT0_PS1_,"axG",@progbits,_Z16sort_keys_kernelI22helper_blocked_stripedaLj512ELj1ELj10EEvPKT0_PS1_,comdat
.Lfunc_end280:
	.size	_Z16sort_keys_kernelI22helper_blocked_stripedaLj512ELj1ELj10EEvPKT0_PS1_, .Lfunc_end280-_Z16sort_keys_kernelI22helper_blocked_stripedaLj512ELj1ELj10EEvPKT0_PS1_
                                        ; -- End function
	.set _Z16sort_keys_kernelI22helper_blocked_stripedaLj512ELj1ELj10EEvPKT0_PS1_.num_vgpr, 22
	.set _Z16sort_keys_kernelI22helper_blocked_stripedaLj512ELj1ELj10EEvPKT0_PS1_.num_agpr, 0
	.set _Z16sort_keys_kernelI22helper_blocked_stripedaLj512ELj1ELj10EEvPKT0_PS1_.numbered_sgpr, 35
	.set _Z16sort_keys_kernelI22helper_blocked_stripedaLj512ELj1ELj10EEvPKT0_PS1_.num_named_barrier, 0
	.set _Z16sort_keys_kernelI22helper_blocked_stripedaLj512ELj1ELj10EEvPKT0_PS1_.private_seg_size, 0
	.set _Z16sort_keys_kernelI22helper_blocked_stripedaLj512ELj1ELj10EEvPKT0_PS1_.uses_vcc, 1
	.set _Z16sort_keys_kernelI22helper_blocked_stripedaLj512ELj1ELj10EEvPKT0_PS1_.uses_flat_scratch, 0
	.set _Z16sort_keys_kernelI22helper_blocked_stripedaLj512ELj1ELj10EEvPKT0_PS1_.has_dyn_sized_stack, 0
	.set _Z16sort_keys_kernelI22helper_blocked_stripedaLj512ELj1ELj10EEvPKT0_PS1_.has_recursion, 0
	.set _Z16sort_keys_kernelI22helper_blocked_stripedaLj512ELj1ELj10EEvPKT0_PS1_.has_indirect_call, 0
	.section	.AMDGPU.csdata,"",@progbits
; Kernel info:
; codeLenInByte = 1228
; TotalNumSgprs: 39
; NumVgprs: 22
; ScratchSize: 0
; MemoryBound: 0
; FloatMode: 240
; IeeeMode: 1
; LDSByteSize: 8224 bytes/workgroup (compile time only)
; SGPRBlocks: 4
; VGPRBlocks: 5
; NumSGPRsForWavesPerEU: 39
; NumVGPRsForWavesPerEU: 22
; Occupancy: 10
; WaveLimiterHint : 0
; COMPUTE_PGM_RSRC2:SCRATCH_EN: 0
; COMPUTE_PGM_RSRC2:USER_SGPR: 6
; COMPUTE_PGM_RSRC2:TRAP_HANDLER: 0
; COMPUTE_PGM_RSRC2:TGID_X_EN: 1
; COMPUTE_PGM_RSRC2:TGID_Y_EN: 0
; COMPUTE_PGM_RSRC2:TGID_Z_EN: 0
; COMPUTE_PGM_RSRC2:TIDIG_COMP_CNT: 2
	.section	.text._Z17sort_pairs_kernelI22helper_blocked_stripedaLj512ELj1ELj10EEvPKT0_PS1_,"axG",@progbits,_Z17sort_pairs_kernelI22helper_blocked_stripedaLj512ELj1ELj10EEvPKT0_PS1_,comdat
	.protected	_Z17sort_pairs_kernelI22helper_blocked_stripedaLj512ELj1ELj10EEvPKT0_PS1_ ; -- Begin function _Z17sort_pairs_kernelI22helper_blocked_stripedaLj512ELj1ELj10EEvPKT0_PS1_
	.globl	_Z17sort_pairs_kernelI22helper_blocked_stripedaLj512ELj1ELj10EEvPKT0_PS1_
	.p2align	8
	.type	_Z17sort_pairs_kernelI22helper_blocked_stripedaLj512ELj1ELj10EEvPKT0_PS1_,@function
_Z17sort_pairs_kernelI22helper_blocked_stripedaLj512ELj1ELj10EEvPKT0_PS1_: ; @_Z17sort_pairs_kernelI22helper_blocked_stripedaLj512ELj1ELj10EEvPKT0_PS1_
; %bb.0:
	s_load_dwordx4 s[28:31], s[4:5], 0x0
	s_load_dword s24, s[4:5], 0x1c
	s_lshl_b32 s33, s6, 9
	v_mbcnt_lo_u32_b32 v4, -1, 0
	v_mbcnt_hi_u32_b32 v4, -1, v4
	s_waitcnt lgkmcnt(0)
	s_add_u32 s0, s28, s33
	s_addc_u32 s1, s29, 0
	global_load_ubyte v3, v0, s[0:1]
	s_lshr_b32 s25, s24, 16
	s_and_b32 s24, s24, 0xffff
	v_mad_u32_u24 v1, v2, s25, v1
	v_mad_u64_u32 v[1:2], s[24:25], v1, s24, v[0:1]
	v_or_b32_e32 v6, 63, v0
	s_mov_b32 s10, 0
	v_cmp_eq_u32_e64 s[6:7], v0, v6
	v_subrev_co_u32_e64 v6, s[8:9], 1, v4
	v_and_b32_e32 v16, 64, v4
	v_lshrrev_b32_e32 v7, 4, v0
	s_mov_b32 s12, s10
	v_cmp_lt_i32_e64 s[20:21], v6, v16
	v_mul_u32_u24_e32 v13, 3, v0
	s_mov_b32 s11, s10
	s_mov_b32 s13, s10
	v_and_b32_e32 v14, 15, v4
	v_and_b32_e32 v15, 16, v4
	v_cmp_lt_u32_e64 s[4:5], 31, v4
	v_and_b32_e32 v12, 28, v7
	v_and_b32_e32 v17, 7, v4
	v_mov_b32_e32 v7, s10
	v_mov_b32_e32 v9, s12
	v_cndmask_b32_e64 v4, v6, v4, s[20:21]
	v_lshrrev_b32_e32 v1, 4, v1
	v_mov_b32_e32 v5, 0
	s_mov_b32 s34, 10
	v_lshlrev_b32_e32 v11, 4, v0
	v_cmp_gt_u32_e32 vcc, 8, v0
	v_cmp_lt_u32_e64 s[0:1], 63, v0
	v_cmp_eq_u32_e64 s[2:3], 0, v0
	v_mov_b32_e32 v8, s11
	v_mov_b32_e32 v10, s13
	v_add_u32_e32 v13, v0, v13
	v_cmp_eq_u32_e64 s[10:11], 0, v14
	v_cmp_lt_u32_e64 s[12:13], 1, v14
	v_cmp_lt_u32_e64 s[14:15], 3, v14
	v_cmp_lt_u32_e64 s[16:17], 7, v14
	v_cmp_eq_u32_e64 s[18:19], 0, v15
	v_cmp_eq_u32_e64 s[20:21], 0, v17
	v_cmp_lt_u32_e64 s[22:23], 1, v17
	v_cmp_lt_u32_e64 s[24:25], 3, v17
	v_add_u32_e32 v14, -4, v12
	v_lshlrev_b32_e32 v15, 2, v4
	v_and_b32_e32 v16, 0xffffffc, v1
	v_mov_b32_e32 v17, 5
	s_waitcnt vmcnt(0)
	v_add_u16_e32 v18, 1, v3
	v_xor_b32_e32 v19, 0xffffff80, v3
	s_branch .LBB281_2
.LBB281_1:                              ;   in Loop: Header=BB281_2 Depth=1
	s_or_b64 exec, exec, s[26:27]
	s_waitcnt lgkmcnt(0)
	v_add_u32_e32 v4, v21, v4
	ds_bpermute_b32 v4, v15, v4
	s_add_i32 s34, s34, -1
	s_cmp_eq_u32 s34, 0
	s_waitcnt lgkmcnt(0)
	v_cndmask_b32_e64 v4, v4, v21, s[8:9]
	v_cndmask_b32_e64 v21, v4, 0, s[2:3]
	v_add_u32_e32 v22, v21, v1
	v_add_u32_e32 v1, v22, v2
	;; [unrolled: 1-line block ×3, first 2 shown]
	ds_write2_b64 v11, v[21:22], v[1:2] offset0:4 offset1:5
	s_waitcnt lgkmcnt(0)
	s_barrier
	ds_read_b32 v1, v20 offset:32
	s_waitcnt lgkmcnt(0)
	s_barrier
	v_add_u32_e32 v1, v1, v6
	ds_write_b8 v1, v19
	s_waitcnt lgkmcnt(0)
	s_barrier
	ds_read_u8 v19, v0
	s_waitcnt lgkmcnt(0)
	s_barrier
	ds_write_b8 v1, v18
	s_waitcnt lgkmcnt(0)
	s_barrier
	ds_read_u8 v18, v0
	s_cbranch_scc1 .LBB281_10
.LBB281_2:                              ; =>This Inner Loop Header: Depth=1
	v_and_b32_e32 v1, 1, v19
	v_add_co_u32_e64 v2, s[26:27], -1, v1
	v_addc_co_u32_e64 v4, s[26:27], 0, -1, s[26:27]
	v_cmp_ne_u32_e64 s[26:27], 0, v1
	v_lshlrev_b32_e32 v6, 30, v19
	v_xor_b32_e32 v1, s27, v4
	v_xor_b32_e32 v2, s26, v2
	v_cmp_gt_i64_e64 s[26:27], 0, v[5:6]
	v_not_b32_e32 v4, v6
	v_ashrrev_i32_e32 v4, 31, v4
	v_and_b32_e32 v1, exec_hi, v1
	v_xor_b32_e32 v6, s27, v4
	v_and_b32_e32 v2, exec_lo, v2
	v_xor_b32_e32 v4, s26, v4
	v_and_b32_e32 v1, v1, v6
	v_lshlrev_b32_e32 v6, 29, v19
	v_and_b32_e32 v2, v2, v4
	v_cmp_gt_i64_e64 s[26:27], 0, v[5:6]
	v_not_b32_e32 v4, v6
	v_ashrrev_i32_e32 v4, 31, v4
	v_xor_b32_e32 v6, s27, v4
	v_xor_b32_e32 v4, s26, v4
	v_and_b32_e32 v1, v1, v6
	v_lshlrev_b32_e32 v6, 28, v19
	v_and_b32_e32 v2, v2, v4
	v_cmp_gt_i64_e64 s[26:27], 0, v[5:6]
	v_not_b32_e32 v4, v6
	v_ashrrev_i32_e32 v4, 31, v4
	v_xor_b32_e32 v6, s27, v4
	;; [unrolled: 8-line block ×6, first 2 shown]
	v_xor_b32_e32 v20, s26, v2
	v_and_b32_e32 v2, v1, v6
	v_and_b32_e32 v1, v4, v20
	v_mbcnt_lo_u32_b32 v4, v1, 0
	v_mbcnt_hi_u32_b32 v6, v2, v4
	v_cmp_ne_u64_e64 s[26:27], 0, v[1:2]
	v_lshlrev_b32_sdwa v3, v17, v19 dst_sel:DWORD dst_unused:UNUSED_PAD src0_sel:DWORD src1_sel:BYTE_0
	v_cmp_eq_u32_e64 s[28:29], 0, v6
	s_and_b64 s[28:29], s[26:27], s[28:29]
	v_add_u32_e32 v20, v16, v3
	ds_write2_b64 v11, v[7:8], v[9:10] offset0:4 offset1:5
	s_waitcnt lgkmcnt(0)
	s_barrier
	; wave barrier
	s_and_saveexec_b64 s[26:27], s[28:29]
; %bb.3:                                ;   in Loop: Header=BB281_2 Depth=1
	v_bcnt_u32_b32 v1, v1, 0
	v_bcnt_u32_b32 v1, v2, v1
	ds_write_b32 v20, v1 offset:32
; %bb.4:                                ;   in Loop: Header=BB281_2 Depth=1
	s_or_b64 exec, exec, s[26:27]
	; wave barrier
	s_waitcnt lgkmcnt(0)
	s_barrier
	ds_read2_b64 v[1:4], v11 offset0:4 offset1:5
	s_waitcnt lgkmcnt(0)
	v_add_u32_e32 v21, v2, v1
	v_add3_u32 v4, v21, v3, v4
	s_nop 1
	v_mov_b32_dpp v21, v4 row_shr:1 row_mask:0xf bank_mask:0xf
	v_cndmask_b32_e64 v21, v21, 0, s[10:11]
	v_add_u32_e32 v4, v21, v4
	s_nop 1
	v_mov_b32_dpp v21, v4 row_shr:2 row_mask:0xf bank_mask:0xf
	v_cndmask_b32_e64 v21, 0, v21, s[12:13]
	v_add_u32_e32 v4, v4, v21
	;; [unrolled: 4-line block ×4, first 2 shown]
	s_nop 1
	v_mov_b32_dpp v21, v4 row_bcast:15 row_mask:0xf bank_mask:0xf
	v_cndmask_b32_e64 v21, v21, 0, s[18:19]
	v_add_u32_e32 v4, v4, v21
	s_nop 1
	v_mov_b32_dpp v21, v4 row_bcast:31 row_mask:0xf bank_mask:0xf
	v_cndmask_b32_e64 v21, 0, v21, s[4:5]
	v_add_u32_e32 v4, v4, v21
	s_and_saveexec_b64 s[26:27], s[6:7]
; %bb.5:                                ;   in Loop: Header=BB281_2 Depth=1
	ds_write_b32 v12, v4
; %bb.6:                                ;   in Loop: Header=BB281_2 Depth=1
	s_or_b64 exec, exec, s[26:27]
	s_waitcnt lgkmcnt(0)
	s_barrier
	s_and_saveexec_b64 s[26:27], vcc
	s_cbranch_execz .LBB281_8
; %bb.7:                                ;   in Loop: Header=BB281_2 Depth=1
	ds_read_b32 v21, v13
	s_waitcnt lgkmcnt(0)
	s_nop 0
	v_mov_b32_dpp v22, v21 row_shr:1 row_mask:0xf bank_mask:0xf
	v_cndmask_b32_e64 v22, v22, 0, s[20:21]
	v_add_u32_e32 v21, v22, v21
	s_nop 1
	v_mov_b32_dpp v22, v21 row_shr:2 row_mask:0xf bank_mask:0xf
	v_cndmask_b32_e64 v22, 0, v22, s[22:23]
	v_add_u32_e32 v21, v21, v22
	;; [unrolled: 4-line block ×3, first 2 shown]
	ds_write_b32 v13, v21
.LBB281_8:                              ;   in Loop: Header=BB281_2 Depth=1
	s_or_b64 exec, exec, s[26:27]
	v_mov_b32_e32 v21, 0
	s_waitcnt lgkmcnt(0)
	s_barrier
	s_and_saveexec_b64 s[26:27], s[0:1]
	s_cbranch_execz .LBB281_1
; %bb.9:                                ;   in Loop: Header=BB281_2 Depth=1
	ds_read_b32 v21, v14
	s_branch .LBB281_1
.LBB281_10:
	s_add_u32 s0, s30, s33
	s_waitcnt lgkmcnt(0)
	v_add_u16_e32 v1, v18, v19
	s_addc_u32 s1, s31, 0
	v_add_u16_e32 v2, 0xff80, v1
	v_mov_b32_e32 v1, s1
	v_add_co_u32_e32 v0, vcc, s0, v0
	v_addc_co_u32_e32 v1, vcc, 0, v1, vcc
	global_store_byte v[0:1], v2, off
	s_endpgm
	.section	.rodata,"a",@progbits
	.p2align	6, 0x0
	.amdhsa_kernel _Z17sort_pairs_kernelI22helper_blocked_stripedaLj512ELj1ELj10EEvPKT0_PS1_
		.amdhsa_group_segment_fixed_size 8224
		.amdhsa_private_segment_fixed_size 0
		.amdhsa_kernarg_size 272
		.amdhsa_user_sgpr_count 6
		.amdhsa_user_sgpr_private_segment_buffer 1
		.amdhsa_user_sgpr_dispatch_ptr 0
		.amdhsa_user_sgpr_queue_ptr 0
		.amdhsa_user_sgpr_kernarg_segment_ptr 1
		.amdhsa_user_sgpr_dispatch_id 0
		.amdhsa_user_sgpr_flat_scratch_init 0
		.amdhsa_user_sgpr_private_segment_size 0
		.amdhsa_uses_dynamic_stack 0
		.amdhsa_system_sgpr_private_segment_wavefront_offset 0
		.amdhsa_system_sgpr_workgroup_id_x 1
		.amdhsa_system_sgpr_workgroup_id_y 0
		.amdhsa_system_sgpr_workgroup_id_z 0
		.amdhsa_system_sgpr_workgroup_info 0
		.amdhsa_system_vgpr_workitem_id 2
		.amdhsa_next_free_vgpr 23
		.amdhsa_next_free_sgpr 35
		.amdhsa_reserve_vcc 1
		.amdhsa_reserve_flat_scratch 0
		.amdhsa_float_round_mode_32 0
		.amdhsa_float_round_mode_16_64 0
		.amdhsa_float_denorm_mode_32 3
		.amdhsa_float_denorm_mode_16_64 3
		.amdhsa_dx10_clamp 1
		.amdhsa_ieee_mode 1
		.amdhsa_fp16_overflow 0
		.amdhsa_exception_fp_ieee_invalid_op 0
		.amdhsa_exception_fp_denorm_src 0
		.amdhsa_exception_fp_ieee_div_zero 0
		.amdhsa_exception_fp_ieee_overflow 0
		.amdhsa_exception_fp_ieee_underflow 0
		.amdhsa_exception_fp_ieee_inexact 0
		.amdhsa_exception_int_div_zero 0
	.end_amdhsa_kernel
	.section	.text._Z17sort_pairs_kernelI22helper_blocked_stripedaLj512ELj1ELj10EEvPKT0_PS1_,"axG",@progbits,_Z17sort_pairs_kernelI22helper_blocked_stripedaLj512ELj1ELj10EEvPKT0_PS1_,comdat
.Lfunc_end281:
	.size	_Z17sort_pairs_kernelI22helper_blocked_stripedaLj512ELj1ELj10EEvPKT0_PS1_, .Lfunc_end281-_Z17sort_pairs_kernelI22helper_blocked_stripedaLj512ELj1ELj10EEvPKT0_PS1_
                                        ; -- End function
	.set _Z17sort_pairs_kernelI22helper_blocked_stripedaLj512ELj1ELj10EEvPKT0_PS1_.num_vgpr, 23
	.set _Z17sort_pairs_kernelI22helper_blocked_stripedaLj512ELj1ELj10EEvPKT0_PS1_.num_agpr, 0
	.set _Z17sort_pairs_kernelI22helper_blocked_stripedaLj512ELj1ELj10EEvPKT0_PS1_.numbered_sgpr, 35
	.set _Z17sort_pairs_kernelI22helper_blocked_stripedaLj512ELj1ELj10EEvPKT0_PS1_.num_named_barrier, 0
	.set _Z17sort_pairs_kernelI22helper_blocked_stripedaLj512ELj1ELj10EEvPKT0_PS1_.private_seg_size, 0
	.set _Z17sort_pairs_kernelI22helper_blocked_stripedaLj512ELj1ELj10EEvPKT0_PS1_.uses_vcc, 1
	.set _Z17sort_pairs_kernelI22helper_blocked_stripedaLj512ELj1ELj10EEvPKT0_PS1_.uses_flat_scratch, 0
	.set _Z17sort_pairs_kernelI22helper_blocked_stripedaLj512ELj1ELj10EEvPKT0_PS1_.has_dyn_sized_stack, 0
	.set _Z17sort_pairs_kernelI22helper_blocked_stripedaLj512ELj1ELj10EEvPKT0_PS1_.has_recursion, 0
	.set _Z17sort_pairs_kernelI22helper_blocked_stripedaLj512ELj1ELj10EEvPKT0_PS1_.has_indirect_call, 0
	.section	.AMDGPU.csdata,"",@progbits
; Kernel info:
; codeLenInByte = 1264
; TotalNumSgprs: 39
; NumVgprs: 23
; ScratchSize: 0
; MemoryBound: 0
; FloatMode: 240
; IeeeMode: 1
; LDSByteSize: 8224 bytes/workgroup (compile time only)
; SGPRBlocks: 4
; VGPRBlocks: 5
; NumSGPRsForWavesPerEU: 39
; NumVGPRsForWavesPerEU: 23
; Occupancy: 10
; WaveLimiterHint : 0
; COMPUTE_PGM_RSRC2:SCRATCH_EN: 0
; COMPUTE_PGM_RSRC2:USER_SGPR: 6
; COMPUTE_PGM_RSRC2:TRAP_HANDLER: 0
; COMPUTE_PGM_RSRC2:TGID_X_EN: 1
; COMPUTE_PGM_RSRC2:TGID_Y_EN: 0
; COMPUTE_PGM_RSRC2:TGID_Z_EN: 0
; COMPUTE_PGM_RSRC2:TIDIG_COMP_CNT: 2
	.section	.text._Z16sort_keys_kernelI22helper_blocked_stripedaLj512ELj3ELj10EEvPKT0_PS1_,"axG",@progbits,_Z16sort_keys_kernelI22helper_blocked_stripedaLj512ELj3ELj10EEvPKT0_PS1_,comdat
	.protected	_Z16sort_keys_kernelI22helper_blocked_stripedaLj512ELj3ELj10EEvPKT0_PS1_ ; -- Begin function _Z16sort_keys_kernelI22helper_blocked_stripedaLj512ELj3ELj10EEvPKT0_PS1_
	.globl	_Z16sort_keys_kernelI22helper_blocked_stripedaLj512ELj3ELj10EEvPKT0_PS1_
	.p2align	8
	.type	_Z16sort_keys_kernelI22helper_blocked_stripedaLj512ELj3ELj10EEvPKT0_PS1_,@function
_Z16sort_keys_kernelI22helper_blocked_stripedaLj512ELj3ELj10EEvPKT0_PS1_: ; @_Z16sort_keys_kernelI22helper_blocked_stripedaLj512ELj3ELj10EEvPKT0_PS1_
; %bb.0:
	s_load_dwordx4 s[28:31], s[4:5], 0x0
	s_load_dword s35, s[4:5], 0x1c
	s_mul_i32 s33, s6, 0x600
	v_mul_u32_u24_e32 v6, 3, v0
	v_mbcnt_lo_u32_b32 v7, -1, 0
	s_waitcnt lgkmcnt(0)
	s_add_u32 s0, s28, s33
	s_addc_u32 s1, s29, 0
	global_load_ushort v3, v6, s[0:1]
	global_load_sbyte v4, v6, s[0:1] offset:2
	v_mbcnt_hi_u32_b32 v15, -1, v7
	v_subrev_co_u32_e64 v17, s[8:9], 1, v15
	v_and_b32_e32 v18, 64, v15
	v_cmp_lt_i32_e64 s[26:27], v17, v18
	v_cndmask_b32_e64 v17, v17, v15, s[26:27]
	s_lshr_b32 s26, s35, 16
	s_and_b32 s27, s35, 0xffff
	v_mad_u32_u24 v1, v2, s26, v1
	v_mad_u64_u32 v[1:2], s[26:27], v1, s27, v[0:1]
	s_mov_b32 s20, 0
	v_lshrrev_b32_e32 v7, 6, v0
	v_or_b32_e32 v8, 63, v0
	s_mov_b32 s28, s20
	v_and_b32_e32 v9, 15, v15
	v_and_b32_e32 v10, 16, v15
	s_mov_b32 s21, s20
	s_mov_b32 s29, s20
	v_mul_u32_u24_e32 v16, 0xc0, v7
	v_mul_u32_u24_e32 v14, 3, v15
	v_cmp_eq_u32_e64 s[6:7], v0, v8
	v_lshlrev_b32_e32 v13, 2, v7
	v_and_b32_e32 v19, 7, v15
	v_cmp_eq_u32_e64 s[10:11], 0, v9
	v_cmp_lt_u32_e64 s[12:13], 1, v9
	v_cmp_lt_u32_e64 s[14:15], 3, v9
	;; [unrolled: 1-line block ×3, first 2 shown]
	v_cmp_eq_u32_e64 s[18:19], 0, v10
	v_mov_b32_e32 v7, s20
	v_mov_b32_e32 v9, s28
	v_lshrrev_b32_e32 v1, 4, v1
	s_mov_b32 s34, 10
	v_mov_b32_e32 v5, 0
	v_mov_b32_e32 v11, 5
	v_lshlrev_b32_e32 v12, 4, v0
	v_cmp_gt_u32_e32 vcc, 8, v0
	v_cmp_lt_u32_e64 s[0:1], 63, v0
	v_cmp_eq_u32_e64 s[2:3], 0, v0
	v_cmp_lt_u32_e64 s[4:5], 31, v15
	v_mov_b32_e32 v8, s21
	v_cmp_eq_u32_e64 s[20:21], 0, v19
	v_cmp_lt_u32_e64 s[22:23], 1, v19
	v_cmp_lt_u32_e64 s[24:25], 3, v19
	v_mov_b32_e32 v10, s29
	v_add_u32_e32 v14, v14, v16
	v_add_u32_e32 v15, v15, v16
	v_lshlrev_b32_e32 v16, 2, v17
	v_and_b32_e32 v17, 0xffffffc, v1
	v_add_u32_e32 v18, v0, v6
	s_waitcnt vmcnt(1)
	v_lshrrev_b32_e32 v1, 8, v3
	s_branch .LBB282_2
.LBB282_1:                              ;   in Loop: Header=BB282_2 Depth=1
	s_or_b64 exec, exec, s[26:27]
	s_waitcnt lgkmcnt(0)
	v_add_u32_e32 v4, v29, v4
	ds_bpermute_b32 v4, v16, v4
	s_add_i32 s34, s34, -1
	s_cmp_eq_u32 s34, 0
	s_waitcnt lgkmcnt(0)
	v_cndmask_b32_e64 v4, v4, v29, s[8:9]
	v_cndmask_b32_e64 v29, v4, 0, s[2:3]
	v_add_u32_e32 v30, v29, v1
	v_add_u32_e32 v1, v30, v2
	;; [unrolled: 1-line block ×3, first 2 shown]
	ds_write2_b64 v12, v[29:30], v[1:2] offset0:4 offset1:5
	s_waitcnt lgkmcnt(0)
	s_barrier
	ds_read_b32 v1, v23 offset:32
	ds_read_b32 v2, v25 offset:32
	;; [unrolled: 1-line block ×3, first 2 shown]
	s_waitcnt lgkmcnt(0)
	s_barrier
	v_add_u32_e32 v1, v1, v22
	ds_write_b8 v1, v21
	v_add3_u32 v1, v26, v24, v2
	ds_write_b8 v1, v20
	v_add3_u32 v1, v6, v27, v3
	ds_write_b8 v1, v19
	s_waitcnt lgkmcnt(0)
	s_barrier
	ds_read_u8 v1, v0
	ds_read_u8 v2, v0 offset:512
	ds_read_u8 v4, v0 offset:1024
	s_waitcnt lgkmcnt(2)
	v_xor_b32_e32 v3, 0xffffff80, v1
	s_waitcnt lgkmcnt(1)
	v_xor_b32_e32 v1, 0xffffff80, v2
	;; [unrolled: 2-line block ×3, first 2 shown]
	s_cbranch_scc1 .LBB282_14
.LBB282_2:                              ; =>This Inner Loop Header: Depth=1
	v_xor_b32_e32 v2, 0x80, v3
	v_xor_b32_e32 v1, 0x80, v1
	s_waitcnt vmcnt(0)
	v_xor_b32_e32 v3, 0x80, v4
	ds_write_b8 v14, v2
	ds_write_b8 v14, v1 offset:1
	ds_write_b8 v14, v3 offset:2
	; wave barrier
	ds_read_u8 v21, v15
	ds_read_u8 v20, v15 offset:64
	ds_read_u8 v19, v15 offset:128
	; wave barrier
	s_waitcnt lgkmcnt(2)
	v_and_b32_e32 v1, 1, v21
	v_add_co_u32_e64 v2, s[26:27], -1, v1
	v_addc_co_u32_e64 v4, s[26:27], 0, -1, s[26:27]
	v_cmp_ne_u32_e64 s[26:27], 0, v1
	v_lshlrev_b32_e32 v6, 30, v21
	v_xor_b32_e32 v1, s27, v4
	v_xor_b32_e32 v2, s26, v2
	v_cmp_gt_i64_e64 s[26:27], 0, v[5:6]
	v_not_b32_e32 v4, v6
	v_ashrrev_i32_e32 v4, 31, v4
	v_and_b32_e32 v1, exec_hi, v1
	v_xor_b32_e32 v6, s27, v4
	v_and_b32_e32 v2, exec_lo, v2
	v_xor_b32_e32 v4, s26, v4
	v_and_b32_e32 v1, v1, v6
	v_lshlrev_b32_e32 v6, 29, v21
	v_and_b32_e32 v2, v2, v4
	v_cmp_gt_i64_e64 s[26:27], 0, v[5:6]
	v_not_b32_e32 v4, v6
	v_ashrrev_i32_e32 v4, 31, v4
	v_xor_b32_e32 v6, s27, v4
	v_xor_b32_e32 v4, s26, v4
	v_and_b32_e32 v1, v1, v6
	v_lshlrev_b32_e32 v6, 28, v21
	v_and_b32_e32 v2, v2, v4
	v_cmp_gt_i64_e64 s[26:27], 0, v[5:6]
	v_not_b32_e32 v4, v6
	v_ashrrev_i32_e32 v4, 31, v4
	v_xor_b32_e32 v6, s27, v4
	;; [unrolled: 8-line block ×6, first 2 shown]
	v_xor_b32_e32 v22, s26, v2
	v_and_b32_e32 v2, v1, v6
	v_and_b32_e32 v1, v4, v22
	v_mbcnt_lo_u32_b32 v4, v1, 0
	v_mbcnt_hi_u32_b32 v22, v2, v4
	v_cmp_ne_u64_e64 s[26:27], 0, v[1:2]
	v_lshlrev_b32_sdwa v3, v11, v21 dst_sel:DWORD dst_unused:UNUSED_PAD src0_sel:DWORD src1_sel:BYTE_0
	v_cmp_eq_u32_e64 s[28:29], 0, v22
	s_and_b64 s[28:29], s[26:27], s[28:29]
	v_add_u32_e32 v23, v17, v3
	; wave barrier
	s_waitcnt lgkmcnt(0)
	s_barrier
	ds_write2_b64 v12, v[7:8], v[9:10] offset0:4 offset1:5
	s_waitcnt lgkmcnt(0)
	s_barrier
	; wave barrier
	s_and_saveexec_b64 s[26:27], s[28:29]
; %bb.3:                                ;   in Loop: Header=BB282_2 Depth=1
	v_bcnt_u32_b32 v1, v1, 0
	v_bcnt_u32_b32 v1, v2, v1
	ds_write_b32 v23, v1 offset:32
; %bb.4:                                ;   in Loop: Header=BB282_2 Depth=1
	s_or_b64 exec, exec, s[26:27]
	v_lshlrev_b32_sdwa v1, v11, v20 dst_sel:DWORD dst_unused:UNUSED_PAD src0_sel:DWORD src1_sel:BYTE_0
	v_add_u32_e32 v25, v17, v1
	v_and_b32_e32 v1, 1, v20
	v_add_co_u32_e64 v2, s[26:27], -1, v1
	v_addc_co_u32_e64 v3, s[26:27], 0, -1, s[26:27]
	v_cmp_ne_u32_e64 s[26:27], 0, v1
	v_lshlrev_b32_e32 v6, 30, v20
	v_xor_b32_e32 v1, s27, v3
	v_xor_b32_e32 v2, s26, v2
	v_cmp_gt_i64_e64 s[26:27], 0, v[5:6]
	v_not_b32_e32 v3, v6
	v_ashrrev_i32_e32 v3, 31, v3
	v_and_b32_e32 v2, exec_lo, v2
	v_xor_b32_e32 v4, s27, v3
	v_xor_b32_e32 v3, s26, v3
	v_lshlrev_b32_e32 v6, 29, v20
	v_and_b32_e32 v2, v2, v3
	v_cmp_gt_i64_e64 s[26:27], 0, v[5:6]
	v_not_b32_e32 v3, v6
	v_and_b32_e32 v1, exec_hi, v1
	v_ashrrev_i32_e32 v3, 31, v3
	v_and_b32_e32 v1, v1, v4
	v_xor_b32_e32 v4, s27, v3
	v_xor_b32_e32 v3, s26, v3
	v_lshlrev_b32_e32 v6, 28, v20
	v_and_b32_e32 v2, v2, v3
	v_cmp_gt_i64_e64 s[26:27], 0, v[5:6]
	v_not_b32_e32 v3, v6
	v_ashrrev_i32_e32 v3, 31, v3
	v_and_b32_e32 v1, v1, v4
	v_xor_b32_e32 v4, s27, v3
	v_xor_b32_e32 v3, s26, v3
	v_lshlrev_b32_e32 v6, 27, v20
	v_and_b32_e32 v2, v2, v3
	v_cmp_gt_i64_e64 s[26:27], 0, v[5:6]
	v_not_b32_e32 v3, v6
	;; [unrolled: 8-line block ×5, first 2 shown]
	v_ashrrev_i32_e32 v2, 31, v2
	v_and_b32_e32 v1, v1, v4
	v_xor_b32_e32 v4, s27, v2
	v_xor_b32_e32 v6, s26, v2
	; wave barrier
	ds_read_b32 v24, v25 offset:32
	v_and_b32_e32 v2, v1, v4
	v_and_b32_e32 v1, v3, v6
	v_mbcnt_lo_u32_b32 v3, v1, 0
	v_mbcnt_hi_u32_b32 v26, v2, v3
	v_cmp_ne_u64_e64 s[26:27], 0, v[1:2]
	v_cmp_eq_u32_e64 s[28:29], 0, v26
	s_and_b64 s[28:29], s[26:27], s[28:29]
	; wave barrier
	s_and_saveexec_b64 s[26:27], s[28:29]
	s_cbranch_execz .LBB282_6
; %bb.5:                                ;   in Loop: Header=BB282_2 Depth=1
	v_bcnt_u32_b32 v1, v1, 0
	v_bcnt_u32_b32 v1, v2, v1
	s_waitcnt lgkmcnt(0)
	v_add_u32_e32 v1, v24, v1
	ds_write_b32 v25, v1 offset:32
.LBB282_6:                              ;   in Loop: Header=BB282_2 Depth=1
	s_or_b64 exec, exec, s[26:27]
	v_lshlrev_b32_sdwa v1, v11, v19 dst_sel:DWORD dst_unused:UNUSED_PAD src0_sel:DWORD src1_sel:BYTE_0
	v_add_u32_e32 v28, v17, v1
	v_and_b32_e32 v1, 1, v19
	v_add_co_u32_e64 v2, s[26:27], -1, v1
	v_addc_co_u32_e64 v3, s[26:27], 0, -1, s[26:27]
	v_cmp_ne_u32_e64 s[26:27], 0, v1
	v_lshlrev_b32_e32 v6, 30, v19
	v_xor_b32_e32 v1, s27, v3
	v_xor_b32_e32 v2, s26, v2
	v_cmp_gt_i64_e64 s[26:27], 0, v[5:6]
	v_not_b32_e32 v3, v6
	v_ashrrev_i32_e32 v3, 31, v3
	v_and_b32_e32 v2, exec_lo, v2
	v_xor_b32_e32 v4, s27, v3
	v_xor_b32_e32 v3, s26, v3
	v_lshlrev_b32_e32 v6, 29, v19
	v_and_b32_e32 v2, v2, v3
	v_cmp_gt_i64_e64 s[26:27], 0, v[5:6]
	v_not_b32_e32 v3, v6
	v_and_b32_e32 v1, exec_hi, v1
	v_ashrrev_i32_e32 v3, 31, v3
	v_and_b32_e32 v1, v1, v4
	v_xor_b32_e32 v4, s27, v3
	v_xor_b32_e32 v3, s26, v3
	v_lshlrev_b32_e32 v6, 28, v19
	v_and_b32_e32 v2, v2, v3
	v_cmp_gt_i64_e64 s[26:27], 0, v[5:6]
	v_not_b32_e32 v3, v6
	v_ashrrev_i32_e32 v3, 31, v3
	v_and_b32_e32 v1, v1, v4
	v_xor_b32_e32 v4, s27, v3
	v_xor_b32_e32 v3, s26, v3
	v_lshlrev_b32_e32 v6, 27, v19
	v_and_b32_e32 v2, v2, v3
	v_cmp_gt_i64_e64 s[26:27], 0, v[5:6]
	v_not_b32_e32 v3, v6
	;; [unrolled: 8-line block ×5, first 2 shown]
	v_ashrrev_i32_e32 v2, 31, v2
	v_and_b32_e32 v1, v1, v4
	v_xor_b32_e32 v4, s27, v2
	v_xor_b32_e32 v6, s26, v2
	; wave barrier
	ds_read_b32 v27, v28 offset:32
	v_and_b32_e32 v2, v1, v4
	v_and_b32_e32 v1, v3, v6
	v_mbcnt_lo_u32_b32 v3, v1, 0
	v_mbcnt_hi_u32_b32 v6, v2, v3
	v_cmp_ne_u64_e64 s[26:27], 0, v[1:2]
	v_cmp_eq_u32_e64 s[28:29], 0, v6
	s_and_b64 s[28:29], s[26:27], s[28:29]
	; wave barrier
	s_and_saveexec_b64 s[26:27], s[28:29]
	s_cbranch_execz .LBB282_8
; %bb.7:                                ;   in Loop: Header=BB282_2 Depth=1
	v_bcnt_u32_b32 v1, v1, 0
	v_bcnt_u32_b32 v1, v2, v1
	s_waitcnt lgkmcnt(0)
	v_add_u32_e32 v1, v27, v1
	ds_write_b32 v28, v1 offset:32
.LBB282_8:                              ;   in Loop: Header=BB282_2 Depth=1
	s_or_b64 exec, exec, s[26:27]
	; wave barrier
	s_waitcnt lgkmcnt(0)
	s_barrier
	ds_read2_b64 v[1:4], v12 offset0:4 offset1:5
	s_waitcnt lgkmcnt(0)
	v_add_u32_e32 v29, v2, v1
	v_add3_u32 v4, v29, v3, v4
	s_nop 1
	v_mov_b32_dpp v29, v4 row_shr:1 row_mask:0xf bank_mask:0xf
	v_cndmask_b32_e64 v29, v29, 0, s[10:11]
	v_add_u32_e32 v4, v29, v4
	s_nop 1
	v_mov_b32_dpp v29, v4 row_shr:2 row_mask:0xf bank_mask:0xf
	v_cndmask_b32_e64 v29, 0, v29, s[12:13]
	v_add_u32_e32 v4, v4, v29
	;; [unrolled: 4-line block ×4, first 2 shown]
	s_nop 1
	v_mov_b32_dpp v29, v4 row_bcast:15 row_mask:0xf bank_mask:0xf
	v_cndmask_b32_e64 v29, v29, 0, s[18:19]
	v_add_u32_e32 v4, v4, v29
	s_nop 1
	v_mov_b32_dpp v29, v4 row_bcast:31 row_mask:0xf bank_mask:0xf
	v_cndmask_b32_e64 v29, 0, v29, s[4:5]
	v_add_u32_e32 v4, v4, v29
	s_and_saveexec_b64 s[26:27], s[6:7]
; %bb.9:                                ;   in Loop: Header=BB282_2 Depth=1
	ds_write_b32 v13, v4
; %bb.10:                               ;   in Loop: Header=BB282_2 Depth=1
	s_or_b64 exec, exec, s[26:27]
	s_waitcnt lgkmcnt(0)
	s_barrier
	s_and_saveexec_b64 s[26:27], vcc
	s_cbranch_execz .LBB282_12
; %bb.11:                               ;   in Loop: Header=BB282_2 Depth=1
	ds_read_b32 v29, v18
	s_waitcnt lgkmcnt(0)
	s_nop 0
	v_mov_b32_dpp v30, v29 row_shr:1 row_mask:0xf bank_mask:0xf
	v_cndmask_b32_e64 v30, v30, 0, s[20:21]
	v_add_u32_e32 v29, v30, v29
	s_nop 1
	v_mov_b32_dpp v30, v29 row_shr:2 row_mask:0xf bank_mask:0xf
	v_cndmask_b32_e64 v30, 0, v30, s[22:23]
	v_add_u32_e32 v29, v29, v30
	;; [unrolled: 4-line block ×3, first 2 shown]
	ds_write_b32 v18, v29
.LBB282_12:                             ;   in Loop: Header=BB282_2 Depth=1
	s_or_b64 exec, exec, s[26:27]
	v_mov_b32_e32 v29, 0
	s_waitcnt lgkmcnt(0)
	s_barrier
	s_and_saveexec_b64 s[26:27], s[0:1]
	s_cbranch_execz .LBB282_1
; %bb.13:                               ;   in Loop: Header=BB282_2 Depth=1
	v_add_u32_e32 v29, -4, v13
	ds_read_b32 v29, v29
	s_branch .LBB282_1
.LBB282_14:
	s_add_u32 s0, s30, s33
	s_addc_u32 s1, s31, 0
	global_store_byte v0, v3, s[0:1]
	global_store_byte v0, v1, s[0:1] offset:512
	global_store_byte v0, v4, s[0:1] offset:1024
	s_endpgm
	.section	.rodata,"a",@progbits
	.p2align	6, 0x0
	.amdhsa_kernel _Z16sort_keys_kernelI22helper_blocked_stripedaLj512ELj3ELj10EEvPKT0_PS1_
		.amdhsa_group_segment_fixed_size 8224
		.amdhsa_private_segment_fixed_size 0
		.amdhsa_kernarg_size 272
		.amdhsa_user_sgpr_count 6
		.amdhsa_user_sgpr_private_segment_buffer 1
		.amdhsa_user_sgpr_dispatch_ptr 0
		.amdhsa_user_sgpr_queue_ptr 0
		.amdhsa_user_sgpr_kernarg_segment_ptr 1
		.amdhsa_user_sgpr_dispatch_id 0
		.amdhsa_user_sgpr_flat_scratch_init 0
		.amdhsa_user_sgpr_private_segment_size 0
		.amdhsa_uses_dynamic_stack 0
		.amdhsa_system_sgpr_private_segment_wavefront_offset 0
		.amdhsa_system_sgpr_workgroup_id_x 1
		.amdhsa_system_sgpr_workgroup_id_y 0
		.amdhsa_system_sgpr_workgroup_id_z 0
		.amdhsa_system_sgpr_workgroup_info 0
		.amdhsa_system_vgpr_workitem_id 2
		.amdhsa_next_free_vgpr 31
		.amdhsa_next_free_sgpr 36
		.amdhsa_reserve_vcc 1
		.amdhsa_reserve_flat_scratch 0
		.amdhsa_float_round_mode_32 0
		.amdhsa_float_round_mode_16_64 0
		.amdhsa_float_denorm_mode_32 3
		.amdhsa_float_denorm_mode_16_64 3
		.amdhsa_dx10_clamp 1
		.amdhsa_ieee_mode 1
		.amdhsa_fp16_overflow 0
		.amdhsa_exception_fp_ieee_invalid_op 0
		.amdhsa_exception_fp_denorm_src 0
		.amdhsa_exception_fp_ieee_div_zero 0
		.amdhsa_exception_fp_ieee_overflow 0
		.amdhsa_exception_fp_ieee_underflow 0
		.amdhsa_exception_fp_ieee_inexact 0
		.amdhsa_exception_int_div_zero 0
	.end_amdhsa_kernel
	.section	.text._Z16sort_keys_kernelI22helper_blocked_stripedaLj512ELj3ELj10EEvPKT0_PS1_,"axG",@progbits,_Z16sort_keys_kernelI22helper_blocked_stripedaLj512ELj3ELj10EEvPKT0_PS1_,comdat
.Lfunc_end282:
	.size	_Z16sort_keys_kernelI22helper_blocked_stripedaLj512ELj3ELj10EEvPKT0_PS1_, .Lfunc_end282-_Z16sort_keys_kernelI22helper_blocked_stripedaLj512ELj3ELj10EEvPKT0_PS1_
                                        ; -- End function
	.set _Z16sort_keys_kernelI22helper_blocked_stripedaLj512ELj3ELj10EEvPKT0_PS1_.num_vgpr, 31
	.set _Z16sort_keys_kernelI22helper_blocked_stripedaLj512ELj3ELj10EEvPKT0_PS1_.num_agpr, 0
	.set _Z16sort_keys_kernelI22helper_blocked_stripedaLj512ELj3ELj10EEvPKT0_PS1_.numbered_sgpr, 36
	.set _Z16sort_keys_kernelI22helper_blocked_stripedaLj512ELj3ELj10EEvPKT0_PS1_.num_named_barrier, 0
	.set _Z16sort_keys_kernelI22helper_blocked_stripedaLj512ELj3ELj10EEvPKT0_PS1_.private_seg_size, 0
	.set _Z16sort_keys_kernelI22helper_blocked_stripedaLj512ELj3ELj10EEvPKT0_PS1_.uses_vcc, 1
	.set _Z16sort_keys_kernelI22helper_blocked_stripedaLj512ELj3ELj10EEvPKT0_PS1_.uses_flat_scratch, 0
	.set _Z16sort_keys_kernelI22helper_blocked_stripedaLj512ELj3ELj10EEvPKT0_PS1_.has_dyn_sized_stack, 0
	.set _Z16sort_keys_kernelI22helper_blocked_stripedaLj512ELj3ELj10EEvPKT0_PS1_.has_recursion, 0
	.set _Z16sort_keys_kernelI22helper_blocked_stripedaLj512ELj3ELj10EEvPKT0_PS1_.has_indirect_call, 0
	.section	.AMDGPU.csdata,"",@progbits
; Kernel info:
; codeLenInByte = 2224
; TotalNumSgprs: 40
; NumVgprs: 31
; ScratchSize: 0
; MemoryBound: 0
; FloatMode: 240
; IeeeMode: 1
; LDSByteSize: 8224 bytes/workgroup (compile time only)
; SGPRBlocks: 4
; VGPRBlocks: 7
; NumSGPRsForWavesPerEU: 40
; NumVGPRsForWavesPerEU: 31
; Occupancy: 8
; WaveLimiterHint : 1
; COMPUTE_PGM_RSRC2:SCRATCH_EN: 0
; COMPUTE_PGM_RSRC2:USER_SGPR: 6
; COMPUTE_PGM_RSRC2:TRAP_HANDLER: 0
; COMPUTE_PGM_RSRC2:TGID_X_EN: 1
; COMPUTE_PGM_RSRC2:TGID_Y_EN: 0
; COMPUTE_PGM_RSRC2:TGID_Z_EN: 0
; COMPUTE_PGM_RSRC2:TIDIG_COMP_CNT: 2
	.section	.text._Z17sort_pairs_kernelI22helper_blocked_stripedaLj512ELj3ELj10EEvPKT0_PS1_,"axG",@progbits,_Z17sort_pairs_kernelI22helper_blocked_stripedaLj512ELj3ELj10EEvPKT0_PS1_,comdat
	.protected	_Z17sort_pairs_kernelI22helper_blocked_stripedaLj512ELj3ELj10EEvPKT0_PS1_ ; -- Begin function _Z17sort_pairs_kernelI22helper_blocked_stripedaLj512ELj3ELj10EEvPKT0_PS1_
	.globl	_Z17sort_pairs_kernelI22helper_blocked_stripedaLj512ELj3ELj10EEvPKT0_PS1_
	.p2align	8
	.type	_Z17sort_pairs_kernelI22helper_blocked_stripedaLj512ELj3ELj10EEvPKT0_PS1_,@function
_Z17sort_pairs_kernelI22helper_blocked_stripedaLj512ELj3ELj10EEvPKT0_PS1_: ; @_Z17sort_pairs_kernelI22helper_blocked_stripedaLj512ELj3ELj10EEvPKT0_PS1_
; %bb.0:
	s_load_dwordx4 s[28:31], s[4:5], 0x0
	s_load_dword s26, s[4:5], 0x1c
	s_mul_i32 s33, s6, 0x600
	v_mul_u32_u24_e32 v6, 3, v0
	v_mbcnt_lo_u32_b32 v7, -1, 0
	s_waitcnt lgkmcnt(0)
	s_add_u32 s0, s28, s33
	s_addc_u32 s1, s29, 0
	global_load_ushort v3, v6, s[0:1]
	global_load_sbyte v4, v6, s[0:1] offset:2
	s_lshr_b32 s27, s26, 16
	s_and_b32 s26, s26, 0xffff
	v_mad_u32_u24 v1, v2, s27, v1
	v_mad_u64_u32 v[1:2], s[26:27], v1, s26, v[0:1]
	v_mbcnt_hi_u32_b32 v15, -1, v7
	v_subrev_co_u32_e64 v20, s[8:9], 1, v15
	v_and_b32_e32 v21, 64, v15
	s_mov_b32 s10, 0
	v_and_b32_e32 v18, 16, v15
	v_cmp_lt_i32_e64 s[20:21], v20, v21
	v_lshrrev_b32_e32 v1, 4, v1
	v_lshrrev_b32_e32 v7, 6, v0
	v_or_b32_e32 v8, 63, v0
	s_mov_b32 s12, s10
	v_add_u32_e32 v13, v0, v6
	v_cmp_eq_u32_e64 s[18:19], 0, v18
	v_cndmask_b32_e64 v6, v20, v15, s[20:21]
	v_and_b32_e32 v18, 0xffffffc, v1
	s_mov_b32 s11, s10
	s_mov_b32 s13, s10
	v_mul_u32_u24_e32 v16, 0xc0, v7
	v_and_b32_e32 v17, 15, v15
	v_cmp_eq_u32_e64 s[6:7], v0, v8
	v_lshlrev_b32_e32 v12, 2, v7
	v_mov_b32_e32 v7, s10
	v_mov_b32_e32 v9, s12
	;; [unrolled: 1-line block ×5, first 2 shown]
	v_cmp_eq_u32_e64 s[10:11], 0, v17
	v_cmp_lt_u32_e64 s[12:13], 1, v17
	v_cmp_lt_u32_e64 s[14:15], 3, v17
	v_cmp_lt_u32_e64 s[16:17], 7, v17
	v_lshlrev_b32_e32 v17, 2, v6
	v_mul_u32_u24_e32 v14, 3, v15
	v_and_b32_e32 v22, 7, v15
	s_mov_b32 s34, 10
	v_mov_b32_e32 v5, 0
	s_mov_b32 s35, 0xc0c0004
	v_lshlrev_b32_e32 v11, 4, v0
	v_cmp_gt_u32_e32 vcc, 8, v0
	v_cmp_lt_u32_e64 s[0:1], 63, v0
	v_cmp_eq_u32_e64 s[2:3], 0, v0
	v_cmp_lt_u32_e64 s[4:5], 31, v15
	v_cmp_eq_u32_e64 s[20:21], 0, v22
	v_cmp_lt_u32_e64 s[22:23], 1, v22
	v_cmp_lt_u32_e64 s[24:25], 3, v22
	v_add_u32_e32 v14, v14, v16
	v_add_u32_e32 v15, v15, v16
	v_add_u32_e32 v16, -4, v12
	s_waitcnt vmcnt(1)
	v_lshrrev_b32_e32 v2, 8, v3
	v_add_u16_e32 v1, 1, v3
	v_lshlrev_b16_e32 v20, 8, v2
	v_or_b32_sdwa v1, v20, v1 dst_sel:DWORD dst_unused:UNUSED_PAD src0_sel:DWORD src1_sel:BYTE_0
	s_waitcnt vmcnt(0)
	v_add_u16_e32 v6, 1, v4
	v_add_u16_e32 v1, 0x100, v1
	v_and_b32_e32 v6, 0xff, v6
	v_lshrrev_b32_sdwa v19, v19, v1 dst_sel:BYTE_1 dst_unused:UNUSED_PAD src0_sel:DWORD src1_sel:DWORD
	v_lshlrev_b32_e32 v6, 16, v6
	v_or_b32_sdwa v1, v1, v19 dst_sel:DWORD dst_unused:UNUSED_PAD src0_sel:BYTE_0 src1_sel:DWORD
	v_or_b32_sdwa v1, v1, v6 dst_sel:DWORD dst_unused:UNUSED_PAD src0_sel:WORD_0 src1_sel:DWORD
	v_mov_b32_e32 v19, 5
	s_branch .LBB283_2
.LBB283_1:                              ;   in Loop: Header=BB283_2 Depth=1
	s_or_b64 exec, exec, s[26:27]
	s_waitcnt lgkmcnt(0)
	v_add_u32_e32 v4, v33, v4
	ds_bpermute_b32 v4, v17, v4
	s_add_i32 s34, s34, -1
	s_cmp_eq_u32 s34, 0
	s_waitcnt lgkmcnt(0)
	v_cndmask_b32_e64 v4, v4, v33, s[8:9]
	v_cndmask_b32_e64 v33, v4, 0, s[2:3]
	v_add_u32_e32 v34, v33, v1
	v_add_u32_e32 v1, v34, v2
	;; [unrolled: 1-line block ×3, first 2 shown]
	ds_write2_b64 v11, v[33:34], v[1:2] offset0:4 offset1:5
	s_waitcnt lgkmcnt(0)
	s_barrier
	ds_read_b32 v1, v27 offset:32
	ds_read_b32 v2, v29 offset:32
	;; [unrolled: 1-line block ×3, first 2 shown]
	s_waitcnt lgkmcnt(0)
	s_barrier
	v_add_u32_e32 v1, v1, v26
	v_add3_u32 v2, v30, v28, v2
	v_add3_u32 v3, v6, v31, v3
	ds_write_b8 v1, v22
	ds_write_b8 v2, v21
	;; [unrolled: 1-line block ×3, first 2 shown]
	s_waitcnt lgkmcnt(0)
	s_barrier
	ds_read_u8 v4, v0
	ds_read_u8 v22, v0 offset:512
	ds_read_u8 v26, v0 offset:1024
	s_waitcnt lgkmcnt(0)
	s_barrier
	ds_write_b8 v1, v23
	ds_write_b8 v2, v24
	;; [unrolled: 1-line block ×3, first 2 shown]
	s_waitcnt lgkmcnt(0)
	s_barrier
	ds_read_u8 v6, v0
	ds_read_u8 v20, v0 offset:512
	ds_read_u8 v21, v0 offset:1024
	v_xor_b32_e32 v3, 0xffffff80, v4
	v_xor_b32_e32 v4, 0xffffff80, v26
	s_waitcnt lgkmcnt(1)
	v_perm_b32 v1, v6, v20, s35
	s_waitcnt lgkmcnt(0)
	v_lshlrev_b32_e32 v2, 16, v21
	v_or_b32_e32 v1, v1, v2
	v_xor_b32_e32 v2, 0xffffff80, v22
	s_cbranch_scc1 .LBB283_14
.LBB283_2:                              ; =>This Inner Loop Header: Depth=1
	v_xor_b32_e32 v3, 0x80, v3
	v_xor_b32_e32 v2, 0x80, v2
	;; [unrolled: 1-line block ×3, first 2 shown]
	ds_write_b8 v14, v3
	ds_write_b8 v14, v2 offset:1
	ds_write_b8 v14, v4 offset:2
	; wave barrier
	ds_read_u8 v22, v15
	ds_read_u8 v21, v15 offset:64
	ds_read_u8 v20, v15 offset:128
	v_lshrrev_b32_e32 v2, 8, v1
	; wave barrier
	ds_write_b8 v14, v1
	ds_write_b8 v14, v2 offset:1
	ds_write_b8_d16_hi v14, v1 offset:2
	s_waitcnt lgkmcnt(5)
	v_and_b32_e32 v1, 1, v22
	v_add_co_u32_e64 v2, s[26:27], -1, v1
	v_addc_co_u32_e64 v3, s[26:27], 0, -1, s[26:27]
	v_cmp_ne_u32_e64 s[26:27], 0, v1
	v_lshlrev_b32_e32 v6, 30, v22
	v_xor_b32_e32 v1, s27, v3
	v_xor_b32_e32 v2, s26, v2
	v_cmp_gt_i64_e64 s[26:27], 0, v[5:6]
	v_not_b32_e32 v3, v6
	v_ashrrev_i32_e32 v3, 31, v3
	v_and_b32_e32 v2, exec_lo, v2
	v_xor_b32_e32 v4, s27, v3
	v_xor_b32_e32 v3, s26, v3
	v_lshlrev_b32_e32 v6, 29, v22
	v_and_b32_e32 v2, v2, v3
	v_cmp_gt_i64_e64 s[26:27], 0, v[5:6]
	v_not_b32_e32 v3, v6
	v_and_b32_e32 v1, exec_hi, v1
	v_ashrrev_i32_e32 v3, 31, v3
	v_and_b32_e32 v1, v1, v4
	v_xor_b32_e32 v4, s27, v3
	v_xor_b32_e32 v3, s26, v3
	v_lshlrev_b32_e32 v6, 28, v22
	v_and_b32_e32 v2, v2, v3
	v_cmp_gt_i64_e64 s[26:27], 0, v[5:6]
	v_not_b32_e32 v3, v6
	v_ashrrev_i32_e32 v3, 31, v3
	v_and_b32_e32 v1, v1, v4
	v_xor_b32_e32 v4, s27, v3
	v_xor_b32_e32 v3, s26, v3
	v_lshlrev_b32_e32 v6, 27, v22
	v_and_b32_e32 v2, v2, v3
	v_cmp_gt_i64_e64 s[26:27], 0, v[5:6]
	v_not_b32_e32 v3, v6
	;; [unrolled: 8-line block ×5, first 2 shown]
	v_ashrrev_i32_e32 v2, 31, v2
	; wave barrier
	v_and_b32_e32 v1, v1, v4
	v_xor_b32_e32 v4, s27, v2
	v_xor_b32_e32 v6, s26, v2
	ds_read_u8 v23, v15
	ds_read_u8 v24, v15 offset:64
	ds_read_u8 v25, v15 offset:128
	v_and_b32_e32 v2, v1, v4
	v_and_b32_e32 v1, v3, v6
	v_mbcnt_lo_u32_b32 v3, v1, 0
	v_mbcnt_hi_u32_b32 v26, v2, v3
	v_cmp_ne_u64_e64 s[26:27], 0, v[1:2]
	v_cmp_eq_u32_e64 s[28:29], 0, v26
	v_lshlrev_b32_sdwa v3, v19, v22 dst_sel:DWORD dst_unused:UNUSED_PAD src0_sel:DWORD src1_sel:BYTE_0
	s_and_b64 s[28:29], s[26:27], s[28:29]
	v_add_u32_e32 v27, v18, v3
	s_waitcnt lgkmcnt(0)
	s_barrier
	ds_write2_b64 v11, v[7:8], v[9:10] offset0:4 offset1:5
	s_waitcnt lgkmcnt(0)
	s_barrier
	; wave barrier
	s_and_saveexec_b64 s[26:27], s[28:29]
; %bb.3:                                ;   in Loop: Header=BB283_2 Depth=1
	v_bcnt_u32_b32 v1, v1, 0
	v_bcnt_u32_b32 v1, v2, v1
	ds_write_b32 v27, v1 offset:32
; %bb.4:                                ;   in Loop: Header=BB283_2 Depth=1
	s_or_b64 exec, exec, s[26:27]
	v_lshlrev_b32_sdwa v1, v19, v21 dst_sel:DWORD dst_unused:UNUSED_PAD src0_sel:DWORD src1_sel:BYTE_0
	v_add_u32_e32 v29, v18, v1
	v_and_b32_e32 v1, 1, v21
	v_add_co_u32_e64 v2, s[26:27], -1, v1
	v_addc_co_u32_e64 v3, s[26:27], 0, -1, s[26:27]
	v_cmp_ne_u32_e64 s[26:27], 0, v1
	v_lshlrev_b32_e32 v6, 30, v21
	v_xor_b32_e32 v1, s27, v3
	v_xor_b32_e32 v2, s26, v2
	v_cmp_gt_i64_e64 s[26:27], 0, v[5:6]
	v_not_b32_e32 v3, v6
	v_ashrrev_i32_e32 v3, 31, v3
	v_and_b32_e32 v2, exec_lo, v2
	v_xor_b32_e32 v4, s27, v3
	v_xor_b32_e32 v3, s26, v3
	v_lshlrev_b32_e32 v6, 29, v21
	v_and_b32_e32 v2, v2, v3
	v_cmp_gt_i64_e64 s[26:27], 0, v[5:6]
	v_not_b32_e32 v3, v6
	v_and_b32_e32 v1, exec_hi, v1
	v_ashrrev_i32_e32 v3, 31, v3
	v_and_b32_e32 v1, v1, v4
	v_xor_b32_e32 v4, s27, v3
	v_xor_b32_e32 v3, s26, v3
	v_lshlrev_b32_e32 v6, 28, v21
	v_and_b32_e32 v2, v2, v3
	v_cmp_gt_i64_e64 s[26:27], 0, v[5:6]
	v_not_b32_e32 v3, v6
	v_ashrrev_i32_e32 v3, 31, v3
	v_and_b32_e32 v1, v1, v4
	v_xor_b32_e32 v4, s27, v3
	v_xor_b32_e32 v3, s26, v3
	v_lshlrev_b32_e32 v6, 27, v21
	v_and_b32_e32 v2, v2, v3
	v_cmp_gt_i64_e64 s[26:27], 0, v[5:6]
	v_not_b32_e32 v3, v6
	;; [unrolled: 8-line block ×5, first 2 shown]
	v_ashrrev_i32_e32 v2, 31, v2
	v_and_b32_e32 v1, v1, v4
	v_xor_b32_e32 v4, s27, v2
	v_xor_b32_e32 v6, s26, v2
	; wave barrier
	ds_read_b32 v28, v29 offset:32
	v_and_b32_e32 v2, v1, v4
	v_and_b32_e32 v1, v3, v6
	v_mbcnt_lo_u32_b32 v3, v1, 0
	v_mbcnt_hi_u32_b32 v30, v2, v3
	v_cmp_ne_u64_e64 s[26:27], 0, v[1:2]
	v_cmp_eq_u32_e64 s[28:29], 0, v30
	s_and_b64 s[28:29], s[26:27], s[28:29]
	; wave barrier
	s_and_saveexec_b64 s[26:27], s[28:29]
	s_cbranch_execz .LBB283_6
; %bb.5:                                ;   in Loop: Header=BB283_2 Depth=1
	v_bcnt_u32_b32 v1, v1, 0
	v_bcnt_u32_b32 v1, v2, v1
	s_waitcnt lgkmcnt(0)
	v_add_u32_e32 v1, v28, v1
	ds_write_b32 v29, v1 offset:32
.LBB283_6:                              ;   in Loop: Header=BB283_2 Depth=1
	s_or_b64 exec, exec, s[26:27]
	v_lshlrev_b32_sdwa v1, v19, v20 dst_sel:DWORD dst_unused:UNUSED_PAD src0_sel:DWORD src1_sel:BYTE_0
	v_add_u32_e32 v32, v18, v1
	v_and_b32_e32 v1, 1, v20
	v_add_co_u32_e64 v2, s[26:27], -1, v1
	v_addc_co_u32_e64 v3, s[26:27], 0, -1, s[26:27]
	v_cmp_ne_u32_e64 s[26:27], 0, v1
	v_lshlrev_b32_e32 v6, 30, v20
	v_xor_b32_e32 v1, s27, v3
	v_xor_b32_e32 v2, s26, v2
	v_cmp_gt_i64_e64 s[26:27], 0, v[5:6]
	v_not_b32_e32 v3, v6
	v_ashrrev_i32_e32 v3, 31, v3
	v_and_b32_e32 v2, exec_lo, v2
	v_xor_b32_e32 v4, s27, v3
	v_xor_b32_e32 v3, s26, v3
	v_lshlrev_b32_e32 v6, 29, v20
	v_and_b32_e32 v2, v2, v3
	v_cmp_gt_i64_e64 s[26:27], 0, v[5:6]
	v_not_b32_e32 v3, v6
	v_and_b32_e32 v1, exec_hi, v1
	v_ashrrev_i32_e32 v3, 31, v3
	v_and_b32_e32 v1, v1, v4
	v_xor_b32_e32 v4, s27, v3
	v_xor_b32_e32 v3, s26, v3
	v_lshlrev_b32_e32 v6, 28, v20
	v_and_b32_e32 v2, v2, v3
	v_cmp_gt_i64_e64 s[26:27], 0, v[5:6]
	v_not_b32_e32 v3, v6
	v_ashrrev_i32_e32 v3, 31, v3
	v_and_b32_e32 v1, v1, v4
	v_xor_b32_e32 v4, s27, v3
	v_xor_b32_e32 v3, s26, v3
	v_lshlrev_b32_e32 v6, 27, v20
	v_and_b32_e32 v2, v2, v3
	v_cmp_gt_i64_e64 s[26:27], 0, v[5:6]
	v_not_b32_e32 v3, v6
	;; [unrolled: 8-line block ×5, first 2 shown]
	v_ashrrev_i32_e32 v2, 31, v2
	v_and_b32_e32 v1, v1, v4
	v_xor_b32_e32 v4, s27, v2
	v_xor_b32_e32 v6, s26, v2
	; wave barrier
	ds_read_b32 v31, v32 offset:32
	v_and_b32_e32 v2, v1, v4
	v_and_b32_e32 v1, v3, v6
	v_mbcnt_lo_u32_b32 v3, v1, 0
	v_mbcnt_hi_u32_b32 v6, v2, v3
	v_cmp_ne_u64_e64 s[26:27], 0, v[1:2]
	v_cmp_eq_u32_e64 s[28:29], 0, v6
	s_and_b64 s[28:29], s[26:27], s[28:29]
	; wave barrier
	s_and_saveexec_b64 s[26:27], s[28:29]
	s_cbranch_execz .LBB283_8
; %bb.7:                                ;   in Loop: Header=BB283_2 Depth=1
	v_bcnt_u32_b32 v1, v1, 0
	v_bcnt_u32_b32 v1, v2, v1
	s_waitcnt lgkmcnt(0)
	v_add_u32_e32 v1, v31, v1
	ds_write_b32 v32, v1 offset:32
.LBB283_8:                              ;   in Loop: Header=BB283_2 Depth=1
	s_or_b64 exec, exec, s[26:27]
	; wave barrier
	s_waitcnt lgkmcnt(0)
	s_barrier
	ds_read2_b64 v[1:4], v11 offset0:4 offset1:5
	s_waitcnt lgkmcnt(0)
	v_add_u32_e32 v33, v2, v1
	v_add3_u32 v4, v33, v3, v4
	s_nop 1
	v_mov_b32_dpp v33, v4 row_shr:1 row_mask:0xf bank_mask:0xf
	v_cndmask_b32_e64 v33, v33, 0, s[10:11]
	v_add_u32_e32 v4, v33, v4
	s_nop 1
	v_mov_b32_dpp v33, v4 row_shr:2 row_mask:0xf bank_mask:0xf
	v_cndmask_b32_e64 v33, 0, v33, s[12:13]
	v_add_u32_e32 v4, v4, v33
	;; [unrolled: 4-line block ×4, first 2 shown]
	s_nop 1
	v_mov_b32_dpp v33, v4 row_bcast:15 row_mask:0xf bank_mask:0xf
	v_cndmask_b32_e64 v33, v33, 0, s[18:19]
	v_add_u32_e32 v4, v4, v33
	s_nop 1
	v_mov_b32_dpp v33, v4 row_bcast:31 row_mask:0xf bank_mask:0xf
	v_cndmask_b32_e64 v33, 0, v33, s[4:5]
	v_add_u32_e32 v4, v4, v33
	s_and_saveexec_b64 s[26:27], s[6:7]
; %bb.9:                                ;   in Loop: Header=BB283_2 Depth=1
	ds_write_b32 v12, v4
; %bb.10:                               ;   in Loop: Header=BB283_2 Depth=1
	s_or_b64 exec, exec, s[26:27]
	s_waitcnt lgkmcnt(0)
	s_barrier
	s_and_saveexec_b64 s[26:27], vcc
	s_cbranch_execz .LBB283_12
; %bb.11:                               ;   in Loop: Header=BB283_2 Depth=1
	ds_read_b32 v33, v13
	s_waitcnt lgkmcnt(0)
	s_nop 0
	v_mov_b32_dpp v34, v33 row_shr:1 row_mask:0xf bank_mask:0xf
	v_cndmask_b32_e64 v34, v34, 0, s[20:21]
	v_add_u32_e32 v33, v34, v33
	s_nop 1
	v_mov_b32_dpp v34, v33 row_shr:2 row_mask:0xf bank_mask:0xf
	v_cndmask_b32_e64 v34, 0, v34, s[22:23]
	v_add_u32_e32 v33, v33, v34
	;; [unrolled: 4-line block ×3, first 2 shown]
	ds_write_b32 v13, v33
.LBB283_12:                             ;   in Loop: Header=BB283_2 Depth=1
	s_or_b64 exec, exec, s[26:27]
	v_mov_b32_e32 v33, 0
	s_waitcnt lgkmcnt(0)
	s_barrier
	s_and_saveexec_b64 s[26:27], s[0:1]
	s_cbranch_execz .LBB283_1
; %bb.13:                               ;   in Loop: Header=BB283_2 Depth=1
	ds_read_b32 v33, v16
	s_branch .LBB283_1
.LBB283_14:
	s_add_u32 s0, s30, s33
	v_add_u16_e32 v1, v3, v6
	s_addc_u32 s1, s31, 0
	v_add_u16_e32 v2, v2, v20
	v_add_u16_e32 v3, v4, v21
	global_store_byte v0, v1, s[0:1]
	global_store_byte v0, v2, s[0:1] offset:512
	global_store_byte v0, v3, s[0:1] offset:1024
	s_endpgm
	.section	.rodata,"a",@progbits
	.p2align	6, 0x0
	.amdhsa_kernel _Z17sort_pairs_kernelI22helper_blocked_stripedaLj512ELj3ELj10EEvPKT0_PS1_
		.amdhsa_group_segment_fixed_size 8224
		.amdhsa_private_segment_fixed_size 0
		.amdhsa_kernarg_size 272
		.amdhsa_user_sgpr_count 6
		.amdhsa_user_sgpr_private_segment_buffer 1
		.amdhsa_user_sgpr_dispatch_ptr 0
		.amdhsa_user_sgpr_queue_ptr 0
		.amdhsa_user_sgpr_kernarg_segment_ptr 1
		.amdhsa_user_sgpr_dispatch_id 0
		.amdhsa_user_sgpr_flat_scratch_init 0
		.amdhsa_user_sgpr_private_segment_size 0
		.amdhsa_uses_dynamic_stack 0
		.amdhsa_system_sgpr_private_segment_wavefront_offset 0
		.amdhsa_system_sgpr_workgroup_id_x 1
		.amdhsa_system_sgpr_workgroup_id_y 0
		.amdhsa_system_sgpr_workgroup_id_z 0
		.amdhsa_system_sgpr_workgroup_info 0
		.amdhsa_system_vgpr_workitem_id 2
		.amdhsa_next_free_vgpr 35
		.amdhsa_next_free_sgpr 36
		.amdhsa_reserve_vcc 1
		.amdhsa_reserve_flat_scratch 0
		.amdhsa_float_round_mode_32 0
		.amdhsa_float_round_mode_16_64 0
		.amdhsa_float_denorm_mode_32 3
		.amdhsa_float_denorm_mode_16_64 3
		.amdhsa_dx10_clamp 1
		.amdhsa_ieee_mode 1
		.amdhsa_fp16_overflow 0
		.amdhsa_exception_fp_ieee_invalid_op 0
		.amdhsa_exception_fp_denorm_src 0
		.amdhsa_exception_fp_ieee_div_zero 0
		.amdhsa_exception_fp_ieee_overflow 0
		.amdhsa_exception_fp_ieee_underflow 0
		.amdhsa_exception_fp_ieee_inexact 0
		.amdhsa_exception_int_div_zero 0
	.end_amdhsa_kernel
	.section	.text._Z17sort_pairs_kernelI22helper_blocked_stripedaLj512ELj3ELj10EEvPKT0_PS1_,"axG",@progbits,_Z17sort_pairs_kernelI22helper_blocked_stripedaLj512ELj3ELj10EEvPKT0_PS1_,comdat
.Lfunc_end283:
	.size	_Z17sort_pairs_kernelI22helper_blocked_stripedaLj512ELj3ELj10EEvPKT0_PS1_, .Lfunc_end283-_Z17sort_pairs_kernelI22helper_blocked_stripedaLj512ELj3ELj10EEvPKT0_PS1_
                                        ; -- End function
	.set _Z17sort_pairs_kernelI22helper_blocked_stripedaLj512ELj3ELj10EEvPKT0_PS1_.num_vgpr, 35
	.set _Z17sort_pairs_kernelI22helper_blocked_stripedaLj512ELj3ELj10EEvPKT0_PS1_.num_agpr, 0
	.set _Z17sort_pairs_kernelI22helper_blocked_stripedaLj512ELj3ELj10EEvPKT0_PS1_.numbered_sgpr, 36
	.set _Z17sort_pairs_kernelI22helper_blocked_stripedaLj512ELj3ELj10EEvPKT0_PS1_.num_named_barrier, 0
	.set _Z17sort_pairs_kernelI22helper_blocked_stripedaLj512ELj3ELj10EEvPKT0_PS1_.private_seg_size, 0
	.set _Z17sort_pairs_kernelI22helper_blocked_stripedaLj512ELj3ELj10EEvPKT0_PS1_.uses_vcc, 1
	.set _Z17sort_pairs_kernelI22helper_blocked_stripedaLj512ELj3ELj10EEvPKT0_PS1_.uses_flat_scratch, 0
	.set _Z17sort_pairs_kernelI22helper_blocked_stripedaLj512ELj3ELj10EEvPKT0_PS1_.has_dyn_sized_stack, 0
	.set _Z17sort_pairs_kernelI22helper_blocked_stripedaLj512ELj3ELj10EEvPKT0_PS1_.has_recursion, 0
	.set _Z17sort_pairs_kernelI22helper_blocked_stripedaLj512ELj3ELj10EEvPKT0_PS1_.has_indirect_call, 0
	.section	.AMDGPU.csdata,"",@progbits
; Kernel info:
; codeLenInByte = 2440
; TotalNumSgprs: 40
; NumVgprs: 35
; ScratchSize: 0
; MemoryBound: 0
; FloatMode: 240
; IeeeMode: 1
; LDSByteSize: 8224 bytes/workgroup (compile time only)
; SGPRBlocks: 4
; VGPRBlocks: 8
; NumSGPRsForWavesPerEU: 40
; NumVGPRsForWavesPerEU: 35
; Occupancy: 7
; WaveLimiterHint : 1
; COMPUTE_PGM_RSRC2:SCRATCH_EN: 0
; COMPUTE_PGM_RSRC2:USER_SGPR: 6
; COMPUTE_PGM_RSRC2:TRAP_HANDLER: 0
; COMPUTE_PGM_RSRC2:TGID_X_EN: 1
; COMPUTE_PGM_RSRC2:TGID_Y_EN: 0
; COMPUTE_PGM_RSRC2:TGID_Z_EN: 0
; COMPUTE_PGM_RSRC2:TIDIG_COMP_CNT: 2
	.section	.text._Z16sort_keys_kernelI22helper_blocked_stripedaLj512ELj4ELj10EEvPKT0_PS1_,"axG",@progbits,_Z16sort_keys_kernelI22helper_blocked_stripedaLj512ELj4ELj10EEvPKT0_PS1_,comdat
	.protected	_Z16sort_keys_kernelI22helper_blocked_stripedaLj512ELj4ELj10EEvPKT0_PS1_ ; -- Begin function _Z16sort_keys_kernelI22helper_blocked_stripedaLj512ELj4ELj10EEvPKT0_PS1_
	.globl	_Z16sort_keys_kernelI22helper_blocked_stripedaLj512ELj4ELj10EEvPKT0_PS1_
	.p2align	8
	.type	_Z16sort_keys_kernelI22helper_blocked_stripedaLj512ELj4ELj10EEvPKT0_PS1_,@function
_Z16sort_keys_kernelI22helper_blocked_stripedaLj512ELj4ELj10EEvPKT0_PS1_: ; @_Z16sort_keys_kernelI22helper_blocked_stripedaLj512ELj4ELj10EEvPKT0_PS1_
; %bb.0:
	s_load_dwordx4 s[40:43], s[4:5], 0x0
	s_load_dword s36, s[4:5], 0x1c
	s_lshl_b32 s33, s6, 11
	v_lshlrev_b32_e32 v3, 2, v0
	v_mbcnt_lo_u32_b32 v4, -1, 0
	s_waitcnt lgkmcnt(0)
	s_add_u32 s0, s40, s33
	s_addc_u32 s1, s41, 0
	global_load_dword v3, v3, s[0:1]
	s_lshr_b32 s37, s36, 16
	s_and_b32 s36, s36, 0xffff
	v_mad_u32_u24 v1, v2, s37, v1
	v_mad_u64_u32 v[1:2], s[36:37], v1, s36, v[0:1]
	v_mbcnt_hi_u32_b32 v4, -1, v4
	s_mov_b32 s10, 0
	v_mul_u32_u24_e32 v9, 3, v0
	v_lshrrev_b32_e32 v10, 2, v4
	v_and_b32_e32 v17, 64, v4
	v_subrev_co_u32_e64 v19, s[8:9], 1, v4
	v_or_b32_e32 v5, 63, v0
	v_lshrrev_b32_e32 v6, 4, v0
	s_mov_b32 s12, s10
	v_and_b32_e32 v16, 15, v4
	v_add_u32_e32 v14, v0, v9
	v_or_b32_e32 v9, v10, v17
	v_add_u32_e32 v10, 48, v10
	v_cmp_lt_i32_e64 s[28:29], v19, v17
	s_mov_b32 s11, s10
	s_mov_b32 s13, s10
	v_and_b32_e32 v15, 3, v4
	v_and_b32_e32 v18, 16, v4
	v_cmp_lt_u32_e64 s[4:5], 31, v4
	v_cmp_eq_u32_e64 s[6:7], v0, v5
	v_and_b32_e32 v13, 28, v6
	v_and_b32_e32 v20, 7, v4
	v_mov_b32_e32 v5, s10
	v_mov_b32_e32 v7, s12
	v_cmp_eq_u32_e64 s[18:19], 0, v16
	v_cmp_lt_u32_e64 s[20:21], 1, v16
	v_cmp_lt_u32_e64 s[22:23], 3, v16
	;; [unrolled: 1-line block ×3, first 2 shown]
	v_cndmask_b32_e64 v4, v19, v4, s[28:29]
	v_lshlrev_b32_e32 v16, 2, v9
	v_and_or_b32 v9, v10, 63, v17
	v_lshrrev_b32_e32 v1, 4, v1
	s_mov_b32 s40, 0xffff
	s_mov_b32 s41, 10
	s_movk_i32 s44, 0xff
	s_mov_b32 s45, 0x3020104
	s_mov_b32 s46, 0xffff0000
	;; [unrolled: 1-line block ×3, first 2 shown]
	v_mov_b32_e32 v11, 5
	v_lshlrev_b32_e32 v12, 4, v0
	v_cmp_gt_u32_e32 vcc, 8, v0
	v_cmp_lt_u32_e64 s[0:1], 63, v0
	v_cmp_eq_u32_e64 s[2:3], 0, v0
	v_mov_b32_e32 v6, s11
	v_mov_b32_e32 v8, s13
	v_cmp_eq_u32_e64 s[10:11], 3, v15
	v_cmp_eq_u32_e64 s[12:13], 2, v15
	;; [unrolled: 1-line block ×6, first 2 shown]
	v_cmp_lt_u32_e64 s[30:31], 1, v20
	v_cmp_lt_u32_e64 s[34:35], 3, v20
	v_add_u32_e32 v15, -4, v13
	v_lshlrev_b32_e32 v17, 2, v4
	v_add_u32_e32 v18, 64, v16
	v_or_b32_e32 v19, 0x80, v16
	v_lshlrev_b32_e32 v20, 2, v9
	v_and_b32_e32 v21, 0xffffffc, v1
	v_mov_b32_e32 v9, 0
	s_waitcnt vmcnt(0)
	v_lshrrev_b32_e32 v2, 24, v3
	v_lshrrev_b32_e32 v1, 16, v3
	;; [unrolled: 1-line block ×3, first 2 shown]
	s_branch .LBB284_2
.LBB284_1:                              ;   in Loop: Header=BB284_2 Depth=1
	s_or_b64 exec, exec, s[36:37]
	s_waitcnt lgkmcnt(0)
	v_add_u32_e32 v4, v36, v4
	ds_bpermute_b32 v4, v17, v4
	s_add_i32 s41, s41, -1
	s_cmp_eq_u32 s41, 0
	s_waitcnt lgkmcnt(0)
	v_cndmask_b32_e64 v4, v4, v36, s[8:9]
	v_cndmask_b32_e64 v36, v4, 0, s[2:3]
	v_add_u32_e32 v37, v36, v1
	v_add_u32_e32 v1, v37, v2
	;; [unrolled: 1-line block ×3, first 2 shown]
	ds_write2_b64 v12, v[36:37], v[1:2] offset0:4 offset1:5
	s_waitcnt lgkmcnt(0)
	s_barrier
	ds_read_b32 v1, v24 offset:32
	ds_read_b32 v2, v27 offset:32
	;; [unrolled: 1-line block ×4, first 2 shown]
	s_waitcnt lgkmcnt(0)
	v_add_u32_e32 v1, v1, v23
	s_barrier
	ds_write_b8 v1, v22
	v_add3_u32 v1, v28, v26, v2
	ds_write_b8 v1, v25
	v_add3_u32 v1, v32, v30, v3
	;; [unrolled: 2-line block ×3, first 2 shown]
	ds_write_b8 v1, v33
	s_waitcnt lgkmcnt(0)
	s_barrier
	ds_read_u8 v1, v0
	ds_read_u8 v2, v0 offset:512
	ds_read_u8 v10, v0 offset:1024
	;; [unrolled: 1-line block ×3, first 2 shown]
	s_waitcnt lgkmcnt(3)
	v_xor_b32_e32 v3, 0xffffff80, v1
	s_waitcnt lgkmcnt(2)
	v_xor_b32_e32 v4, 0xffffff80, v2
	;; [unrolled: 2-line block ×4, first 2 shown]
	s_cbranch_scc1 .LBB284_16
.LBB284_2:                              ; =>This Inner Loop Header: Depth=1
	v_xor_b32_e32 v3, 0x80, v3
	v_xor_b32_e32 v4, 0x80, v4
	v_and_b32_e32 v3, 0xff, v3
	ds_bpermute_b32 v10, v16, v3
	v_xor_b32_e32 v1, 0x80, v1
	v_and_b32_e32 v4, 0xff, v4
	ds_bpermute_b32 v22, v16, v4
	v_and_b32_e32 v1, 0xff, v1
	ds_bpermute_b32 v23, v16, v1
	v_xor_b32_e32 v2, 0x80, v2
	v_and_b32_e32 v2, 0xff, v2
	s_waitcnt lgkmcnt(2)
	v_and_b32_e32 v10, 0xff, v10
	ds_bpermute_b32 v24, v16, v2
	v_cndmask_b32_e64 v10, 0, v10, s[16:17]
	s_waitcnt lgkmcnt(2)
	v_and_b32_e32 v22, 0xff, v22
	v_cndmask_b32_e64 v10, v10, v22, s[14:15]
	s_waitcnt lgkmcnt(1)
	v_and_b32_e32 v22, 0xff, v23
	ds_bpermute_b32 v23, v18, v3
	v_cndmask_b32_e64 v10, v10, v22, s[12:13]
	s_waitcnt lgkmcnt(1)
	v_perm_b32 v22, v24, v10, s45
	v_cndmask_b32_e64 v10, v10, v22, s[10:11]
	ds_bpermute_b32 v22, v18, v4
	s_waitcnt lgkmcnt(1)
	v_lshlrev_b16_e32 v23, 8, v23
	v_or_b32_sdwa v23, v10, v23 dst_sel:DWORD dst_unused:UNUSED_PAD src0_sel:BYTE_0 src1_sel:DWORD
	v_and_b32_e32 v23, 0xffff, v23
	v_cndmask_b32_e64 v10, v10, v23, s[16:17]
	ds_bpermute_b32 v23, v18, v1
	s_waitcnt lgkmcnt(1)
	v_lshlrev_b16_e32 v22, 8, v22
	v_or_b32_sdwa v22, v10, v22 dst_sel:DWORD dst_unused:UNUSED_PAD src0_sel:BYTE_0 src1_sel:DWORD
	v_and_b32_e32 v22, 0xffff, v22
	v_and_or_b32 v22, v10, s46, v22
	v_cndmask_b32_e64 v10, v10, v22, s[14:15]
	s_waitcnt lgkmcnt(0)
	v_lshlrev_b16_e32 v22, 8, v23
	ds_bpermute_b32 v23, v18, v2
	v_or_b32_sdwa v22, v10, v22 dst_sel:DWORD dst_unused:UNUSED_PAD src0_sel:BYTE_0 src1_sel:DWORD
	v_and_b32_e32 v22, 0xffff, v22
	v_and_or_b32 v22, v10, s46, v22
	v_cndmask_b32_e64 v10, v10, v22, s[12:13]
	s_waitcnt lgkmcnt(0)
	v_lshlrev_b16_e32 v22, 8, v23
	ds_bpermute_b32 v23, v19, v3
	v_or_b32_sdwa v22, v10, v22 dst_sel:DWORD dst_unused:UNUSED_PAD src0_sel:BYTE_0 src1_sel:DWORD
	v_and_b32_e32 v22, 0xffff, v22
	v_and_or_b32 v22, v10, s46, v22
	v_cndmask_b32_e64 v10, v10, v22, s[10:11]
	ds_bpermute_b32 v22, v19, v4
	s_waitcnt lgkmcnt(1)
	v_perm_b32 v23, v23, v10, s47
	v_lshlrev_b32_e32 v23, 16, v23
	v_and_or_b32 v23, v10, s40, v23
	v_cndmask_b32_e64 v10, v10, v23, s[16:17]
	ds_bpermute_b32 v23, v19, v1
	s_waitcnt lgkmcnt(1)
	v_perm_b32 v22, v22, v10, s47
	v_lshlrev_b32_e32 v22, 16, v22
	;; [unrolled: 6-line block ×4, first 2 shown]
	v_and_or_b32 v22, v10, s40, v22
	v_cndmask_b32_e64 v10, v10, v22, s[10:11]
	ds_bpermute_b32 v4, v20, v4
	v_and_b32_sdwa v22, v10, s44 dst_sel:DWORD dst_unused:UNUSED_PAD src0_sel:WORD_1 src1_sel:DWORD
	s_waitcnt lgkmcnt(1)
	v_lshlrev_b16_e32 v3, 8, v3
	v_or_b32_sdwa v3, v22, v3 dst_sel:WORD_1 dst_unused:UNUSED_PAD src0_sel:DWORD src1_sel:DWORD
	v_and_or_b32 v3, v10, s40, v3
	v_cndmask_b32_e64 v3, v10, v3, s[16:17]
	ds_bpermute_b32 v1, v20, v1
	v_and_b32_sdwa v10, v3, s44 dst_sel:DWORD dst_unused:UNUSED_PAD src0_sel:WORD_1 src1_sel:DWORD
	s_waitcnt lgkmcnt(1)
	v_lshlrev_b16_e32 v4, 8, v4
	v_or_b32_sdwa v4, v10, v4 dst_sel:WORD_1 dst_unused:UNUSED_PAD src0_sel:DWORD src1_sel:DWORD
	v_and_or_b32 v4, v3, s40, v4
	v_cndmask_b32_e64 v3, v3, v4, s[14:15]
	ds_bpermute_b32 v2, v20, v2
	v_and_b32_sdwa v4, v3, s44 dst_sel:DWORD dst_unused:UNUSED_PAD src0_sel:WORD_1 src1_sel:DWORD
	s_waitcnt lgkmcnt(1)
	v_lshlrev_b16_e32 v1, 8, v1
	v_or_b32_sdwa v1, v4, v1 dst_sel:WORD_1 dst_unused:UNUSED_PAD src0_sel:DWORD src1_sel:DWORD
	v_and_or_b32 v1, v3, s40, v1
	v_cndmask_b32_e64 v1, v3, v1, s[12:13]
	v_and_b32_sdwa v3, v1, s44 dst_sel:DWORD dst_unused:UNUSED_PAD src0_sel:WORD_1 src1_sel:DWORD
	s_waitcnt lgkmcnt(0)
	v_lshlrev_b16_e32 v2, 8, v2
	v_or_b32_sdwa v2, v3, v2 dst_sel:WORD_1 dst_unused:UNUSED_PAD src0_sel:DWORD src1_sel:DWORD
	v_and_or_b32 v2, v1, s40, v2
	v_cndmask_b32_e64 v22, v1, v2, s[10:11]
	v_and_b32_e32 v1, 1, v22
	v_add_co_u32_e64 v2, s[36:37], -1, v1
	v_addc_co_u32_e64 v4, s[36:37], 0, -1, s[36:37]
	v_cmp_ne_u32_e64 s[36:37], 0, v1
	v_lshlrev_b32_e32 v10, 30, v22
	v_xor_b32_e32 v1, s37, v4
	v_xor_b32_e32 v2, s36, v2
	v_cmp_gt_i64_e64 s[36:37], 0, v[9:10]
	v_not_b32_e32 v4, v10
	v_ashrrev_i32_e32 v4, 31, v4
	v_and_b32_e32 v1, exec_hi, v1
	v_xor_b32_e32 v10, s37, v4
	v_and_b32_e32 v2, exec_lo, v2
	v_xor_b32_e32 v4, s36, v4
	v_and_b32_e32 v1, v1, v10
	v_lshlrev_b32_e32 v10, 29, v22
	v_and_b32_e32 v2, v2, v4
	v_cmp_gt_i64_e64 s[36:37], 0, v[9:10]
	v_not_b32_e32 v4, v10
	v_ashrrev_i32_e32 v4, 31, v4
	v_xor_b32_e32 v10, s37, v4
	v_xor_b32_e32 v4, s36, v4
	v_and_b32_e32 v1, v1, v10
	v_lshlrev_b32_e32 v10, 28, v22
	v_and_b32_e32 v2, v2, v4
	v_cmp_gt_i64_e64 s[36:37], 0, v[9:10]
	v_not_b32_e32 v4, v10
	v_ashrrev_i32_e32 v4, 31, v4
	v_xor_b32_e32 v10, s37, v4
	;; [unrolled: 8-line block ×6, first 2 shown]
	v_xor_b32_e32 v23, s36, v2
	v_and_b32_e32 v2, v1, v10
	v_and_b32_e32 v1, v4, v23
	v_mbcnt_lo_u32_b32 v4, v1, 0
	v_mbcnt_hi_u32_b32 v23, v2, v4
	v_cmp_ne_u64_e64 s[36:37], 0, v[1:2]
	v_lshlrev_b32_sdwa v3, v11, v22 dst_sel:DWORD dst_unused:UNUSED_PAD src0_sel:DWORD src1_sel:BYTE_0
	v_cmp_eq_u32_e64 s[38:39], 0, v23
	s_and_b64 s[38:39], s[38:39], s[36:37]
	v_add_u32_e32 v24, v21, v3
	s_barrier
	ds_write2_b64 v12, v[5:6], v[7:8] offset0:4 offset1:5
	s_waitcnt lgkmcnt(0)
	s_barrier
	; wave barrier
	s_and_saveexec_b64 s[36:37], s[38:39]
; %bb.3:                                ;   in Loop: Header=BB284_2 Depth=1
	v_bcnt_u32_b32 v1, v1, 0
	v_bcnt_u32_b32 v1, v2, v1
	ds_write_b32 v24, v1 offset:32
; %bb.4:                                ;   in Loop: Header=BB284_2 Depth=1
	s_or_b64 exec, exec, s[36:37]
	v_lshlrev_b32_sdwa v1, v11, v22 dst_sel:DWORD dst_unused:UNUSED_PAD src0_sel:DWORD src1_sel:BYTE_1
	v_add_u32_e32 v27, v21, v1
	v_bfe_u32 v1, v22, 8, 1
	v_add_co_u32_e64 v2, s[36:37], -1, v1
	v_lshrrev_b32_e32 v25, 8, v22
	v_addc_co_u32_e64 v3, s[36:37], 0, -1, s[36:37]
	v_cmp_ne_u32_e64 s[36:37], 0, v1
	v_lshlrev_b32_e32 v10, 30, v25
	v_xor_b32_e32 v1, s37, v3
	v_xor_b32_e32 v2, s36, v2
	v_cmp_gt_i64_e64 s[36:37], 0, v[9:10]
	v_not_b32_e32 v3, v10
	v_ashrrev_i32_e32 v3, 31, v3
	v_and_b32_e32 v2, exec_lo, v2
	v_xor_b32_e32 v4, s37, v3
	v_xor_b32_e32 v3, s36, v3
	v_lshlrev_b32_e32 v10, 29, v25
	v_and_b32_e32 v2, v2, v3
	v_cmp_gt_i64_e64 s[36:37], 0, v[9:10]
	v_not_b32_e32 v3, v10
	v_and_b32_e32 v1, exec_hi, v1
	v_ashrrev_i32_e32 v3, 31, v3
	v_and_b32_e32 v1, v1, v4
	v_xor_b32_e32 v4, s37, v3
	v_xor_b32_e32 v3, s36, v3
	v_lshlrev_b32_e32 v10, 28, v25
	v_and_b32_e32 v2, v2, v3
	v_cmp_gt_i64_e64 s[36:37], 0, v[9:10]
	v_not_b32_e32 v3, v10
	v_ashrrev_i32_e32 v3, 31, v3
	v_and_b32_e32 v1, v1, v4
	v_xor_b32_e32 v4, s37, v3
	v_xor_b32_e32 v3, s36, v3
	v_lshlrev_b32_e32 v10, 27, v25
	v_and_b32_e32 v2, v2, v3
	v_cmp_gt_i64_e64 s[36:37], 0, v[9:10]
	v_not_b32_e32 v3, v10
	;; [unrolled: 8-line block ×5, first 2 shown]
	v_ashrrev_i32_e32 v2, 31, v2
	v_and_b32_e32 v1, v1, v4
	v_xor_b32_e32 v4, s37, v2
	v_xor_b32_e32 v10, s36, v2
	; wave barrier
	ds_read_b32 v26, v27 offset:32
	v_and_b32_e32 v2, v1, v4
	v_and_b32_e32 v1, v3, v10
	v_mbcnt_lo_u32_b32 v3, v1, 0
	v_mbcnt_hi_u32_b32 v28, v2, v3
	v_cmp_ne_u64_e64 s[36:37], 0, v[1:2]
	v_cmp_eq_u32_e64 s[38:39], 0, v28
	s_and_b64 s[38:39], s[36:37], s[38:39]
	; wave barrier
	s_and_saveexec_b64 s[36:37], s[38:39]
	s_cbranch_execz .LBB284_6
; %bb.5:                                ;   in Loop: Header=BB284_2 Depth=1
	v_bcnt_u32_b32 v1, v1, 0
	v_bcnt_u32_b32 v1, v2, v1
	s_waitcnt lgkmcnt(0)
	v_add_u32_e32 v1, v26, v1
	ds_write_b32 v27, v1 offset:32
.LBB284_6:                              ;   in Loop: Header=BB284_2 Depth=1
	s_or_b64 exec, exec, s[36:37]
	v_lshlrev_b32_sdwa v1, v11, v22 dst_sel:DWORD dst_unused:UNUSED_PAD src0_sel:DWORD src1_sel:BYTE_2
	v_add_u32_e32 v31, v21, v1
	v_bfe_u32 v1, v22, 16, 1
	v_add_co_u32_e64 v2, s[36:37], -1, v1
	v_lshrrev_b32_e32 v29, 16, v22
	v_addc_co_u32_e64 v3, s[36:37], 0, -1, s[36:37]
	v_cmp_ne_u32_e64 s[36:37], 0, v1
	v_lshlrev_b32_e32 v10, 30, v29
	v_xor_b32_e32 v1, s37, v3
	v_xor_b32_e32 v2, s36, v2
	v_cmp_gt_i64_e64 s[36:37], 0, v[9:10]
	v_not_b32_e32 v3, v10
	v_ashrrev_i32_e32 v3, 31, v3
	v_and_b32_e32 v2, exec_lo, v2
	v_xor_b32_e32 v4, s37, v3
	v_xor_b32_e32 v3, s36, v3
	v_lshlrev_b32_e32 v10, 29, v29
	v_and_b32_e32 v2, v2, v3
	v_cmp_gt_i64_e64 s[36:37], 0, v[9:10]
	v_not_b32_e32 v3, v10
	v_and_b32_e32 v1, exec_hi, v1
	v_ashrrev_i32_e32 v3, 31, v3
	v_and_b32_e32 v1, v1, v4
	v_xor_b32_e32 v4, s37, v3
	v_xor_b32_e32 v3, s36, v3
	v_lshlrev_b32_e32 v10, 28, v29
	v_and_b32_e32 v2, v2, v3
	v_cmp_gt_i64_e64 s[36:37], 0, v[9:10]
	v_not_b32_e32 v3, v10
	v_ashrrev_i32_e32 v3, 31, v3
	v_and_b32_e32 v1, v1, v4
	v_xor_b32_e32 v4, s37, v3
	v_xor_b32_e32 v3, s36, v3
	v_lshlrev_b32_e32 v10, 27, v29
	v_and_b32_e32 v2, v2, v3
	v_cmp_gt_i64_e64 s[36:37], 0, v[9:10]
	v_not_b32_e32 v3, v10
	;; [unrolled: 8-line block ×5, first 2 shown]
	v_ashrrev_i32_e32 v2, 31, v2
	v_and_b32_e32 v1, v1, v4
	v_xor_b32_e32 v4, s37, v2
	v_xor_b32_e32 v10, s36, v2
	; wave barrier
	ds_read_b32 v30, v31 offset:32
	v_and_b32_e32 v2, v1, v4
	v_and_b32_e32 v1, v3, v10
	v_mbcnt_lo_u32_b32 v3, v1, 0
	v_mbcnt_hi_u32_b32 v32, v2, v3
	v_cmp_ne_u64_e64 s[36:37], 0, v[1:2]
	v_cmp_eq_u32_e64 s[38:39], 0, v32
	s_and_b64 s[38:39], s[36:37], s[38:39]
	; wave barrier
	s_and_saveexec_b64 s[36:37], s[38:39]
	s_cbranch_execz .LBB284_8
; %bb.7:                                ;   in Loop: Header=BB284_2 Depth=1
	v_bcnt_u32_b32 v1, v1, 0
	v_bcnt_u32_b32 v1, v2, v1
	s_waitcnt lgkmcnt(0)
	v_add_u32_e32 v1, v30, v1
	ds_write_b32 v31, v1 offset:32
.LBB284_8:                              ;   in Loop: Header=BB284_2 Depth=1
	s_or_b64 exec, exec, s[36:37]
	v_lshrrev_b32_e32 v33, 24, v22
	v_lshlrev_b32_e32 v1, 5, v33
	v_add_u32_e32 v35, v21, v1
	v_bfe_u32 v1, v22, 24, 1
	v_add_co_u32_e64 v2, s[36:37], -1, v1
	v_addc_co_u32_e64 v3, s[36:37], 0, -1, s[36:37]
	v_cmp_ne_u32_e64 s[36:37], 0, v1
	v_lshlrev_b32_e32 v10, 30, v33
	v_xor_b32_e32 v1, s37, v3
	v_xor_b32_e32 v2, s36, v2
	v_cmp_gt_i64_e64 s[36:37], 0, v[9:10]
	v_not_b32_e32 v3, v10
	v_ashrrev_i32_e32 v3, 31, v3
	v_and_b32_e32 v2, exec_lo, v2
	v_xor_b32_e32 v4, s37, v3
	v_xor_b32_e32 v3, s36, v3
	v_lshlrev_b32_e32 v10, 29, v33
	v_and_b32_e32 v2, v2, v3
	v_cmp_gt_i64_e64 s[36:37], 0, v[9:10]
	v_not_b32_e32 v3, v10
	v_and_b32_e32 v1, exec_hi, v1
	v_ashrrev_i32_e32 v3, 31, v3
	v_and_b32_e32 v1, v1, v4
	v_xor_b32_e32 v4, s37, v3
	v_xor_b32_e32 v3, s36, v3
	v_lshlrev_b32_e32 v10, 28, v33
	v_and_b32_e32 v2, v2, v3
	v_cmp_gt_i64_e64 s[36:37], 0, v[9:10]
	v_not_b32_e32 v3, v10
	v_ashrrev_i32_e32 v3, 31, v3
	v_and_b32_e32 v1, v1, v4
	v_xor_b32_e32 v4, s37, v3
	v_xor_b32_e32 v3, s36, v3
	v_lshlrev_b32_e32 v10, 27, v33
	v_and_b32_e32 v2, v2, v3
	v_cmp_gt_i64_e64 s[36:37], 0, v[9:10]
	v_not_b32_e32 v3, v10
	;; [unrolled: 8-line block ×4, first 2 shown]
	v_ashrrev_i32_e32 v3, 31, v3
	v_and_b32_e32 v1, v1, v4
	v_xor_b32_e32 v4, s37, v3
	v_xor_b32_e32 v3, s36, v3
	v_and_b32_e32 v10, 0xff000000, v22
	v_and_b32_e32 v3, v2, v3
	v_cmp_gt_i64_e64 s[36:37], 0, v[9:10]
	v_not_b32_e32 v2, v10
	v_ashrrev_i32_e32 v2, 31, v2
	v_and_b32_e32 v1, v1, v4
	v_xor_b32_e32 v4, s37, v2
	v_xor_b32_e32 v10, s36, v2
	; wave barrier
	ds_read_b32 v34, v35 offset:32
	v_and_b32_e32 v2, v1, v4
	v_and_b32_e32 v1, v3, v10
	v_mbcnt_lo_u32_b32 v3, v1, 0
	v_mbcnt_hi_u32_b32 v10, v2, v3
	v_cmp_ne_u64_e64 s[36:37], 0, v[1:2]
	v_cmp_eq_u32_e64 s[38:39], 0, v10
	s_and_b64 s[38:39], s[36:37], s[38:39]
	; wave barrier
	s_and_saveexec_b64 s[36:37], s[38:39]
	s_cbranch_execz .LBB284_10
; %bb.9:                                ;   in Loop: Header=BB284_2 Depth=1
	v_bcnt_u32_b32 v1, v1, 0
	v_bcnt_u32_b32 v1, v2, v1
	s_waitcnt lgkmcnt(0)
	v_add_u32_e32 v1, v34, v1
	ds_write_b32 v35, v1 offset:32
.LBB284_10:                             ;   in Loop: Header=BB284_2 Depth=1
	s_or_b64 exec, exec, s[36:37]
	; wave barrier
	s_waitcnt lgkmcnt(0)
	s_barrier
	ds_read2_b64 v[1:4], v12 offset0:4 offset1:5
	s_waitcnt lgkmcnt(0)
	v_add_u32_e32 v36, v2, v1
	v_add3_u32 v4, v36, v3, v4
	s_nop 1
	v_mov_b32_dpp v36, v4 row_shr:1 row_mask:0xf bank_mask:0xf
	v_cndmask_b32_e64 v36, v36, 0, s[18:19]
	v_add_u32_e32 v4, v36, v4
	s_nop 1
	v_mov_b32_dpp v36, v4 row_shr:2 row_mask:0xf bank_mask:0xf
	v_cndmask_b32_e64 v36, 0, v36, s[20:21]
	v_add_u32_e32 v4, v4, v36
	;; [unrolled: 4-line block ×4, first 2 shown]
	s_nop 1
	v_mov_b32_dpp v36, v4 row_bcast:15 row_mask:0xf bank_mask:0xf
	v_cndmask_b32_e64 v36, v36, 0, s[26:27]
	v_add_u32_e32 v4, v4, v36
	s_nop 1
	v_mov_b32_dpp v36, v4 row_bcast:31 row_mask:0xf bank_mask:0xf
	v_cndmask_b32_e64 v36, 0, v36, s[4:5]
	v_add_u32_e32 v4, v4, v36
	s_and_saveexec_b64 s[36:37], s[6:7]
; %bb.11:                               ;   in Loop: Header=BB284_2 Depth=1
	ds_write_b32 v13, v4
; %bb.12:                               ;   in Loop: Header=BB284_2 Depth=1
	s_or_b64 exec, exec, s[36:37]
	s_waitcnt lgkmcnt(0)
	s_barrier
	s_and_saveexec_b64 s[36:37], vcc
	s_cbranch_execz .LBB284_14
; %bb.13:                               ;   in Loop: Header=BB284_2 Depth=1
	ds_read_b32 v36, v14
	s_waitcnt lgkmcnt(0)
	s_nop 0
	v_mov_b32_dpp v37, v36 row_shr:1 row_mask:0xf bank_mask:0xf
	v_cndmask_b32_e64 v37, v37, 0, s[28:29]
	v_add_u32_e32 v36, v37, v36
	s_nop 1
	v_mov_b32_dpp v37, v36 row_shr:2 row_mask:0xf bank_mask:0xf
	v_cndmask_b32_e64 v37, 0, v37, s[30:31]
	v_add_u32_e32 v36, v36, v37
	;; [unrolled: 4-line block ×3, first 2 shown]
	ds_write_b32 v14, v36
.LBB284_14:                             ;   in Loop: Header=BB284_2 Depth=1
	s_or_b64 exec, exec, s[36:37]
	v_mov_b32_e32 v36, 0
	s_waitcnt lgkmcnt(0)
	s_barrier
	s_and_saveexec_b64 s[36:37], s[0:1]
	s_cbranch_execz .LBB284_1
; %bb.15:                               ;   in Loop: Header=BB284_2 Depth=1
	ds_read_b32 v36, v15
	s_branch .LBB284_1
.LBB284_16:
	s_add_u32 s0, s42, s33
	s_addc_u32 s1, s43, 0
	global_store_byte v0, v3, s[0:1]
	global_store_byte v0, v4, s[0:1] offset:512
	global_store_byte v0, v1, s[0:1] offset:1024
	;; [unrolled: 1-line block ×3, first 2 shown]
	s_endpgm
	.section	.rodata,"a",@progbits
	.p2align	6, 0x0
	.amdhsa_kernel _Z16sort_keys_kernelI22helper_blocked_stripedaLj512ELj4ELj10EEvPKT0_PS1_
		.amdhsa_group_segment_fixed_size 8224
		.amdhsa_private_segment_fixed_size 0
		.amdhsa_kernarg_size 272
		.amdhsa_user_sgpr_count 6
		.amdhsa_user_sgpr_private_segment_buffer 1
		.amdhsa_user_sgpr_dispatch_ptr 0
		.amdhsa_user_sgpr_queue_ptr 0
		.amdhsa_user_sgpr_kernarg_segment_ptr 1
		.amdhsa_user_sgpr_dispatch_id 0
		.amdhsa_user_sgpr_flat_scratch_init 0
		.amdhsa_user_sgpr_private_segment_size 0
		.amdhsa_uses_dynamic_stack 0
		.amdhsa_system_sgpr_private_segment_wavefront_offset 0
		.amdhsa_system_sgpr_workgroup_id_x 1
		.amdhsa_system_sgpr_workgroup_id_y 0
		.amdhsa_system_sgpr_workgroup_id_z 0
		.amdhsa_system_sgpr_workgroup_info 0
		.amdhsa_system_vgpr_workitem_id 2
		.amdhsa_next_free_vgpr 38
		.amdhsa_next_free_sgpr 48
		.amdhsa_reserve_vcc 1
		.amdhsa_reserve_flat_scratch 0
		.amdhsa_float_round_mode_32 0
		.amdhsa_float_round_mode_16_64 0
		.amdhsa_float_denorm_mode_32 3
		.amdhsa_float_denorm_mode_16_64 3
		.amdhsa_dx10_clamp 1
		.amdhsa_ieee_mode 1
		.amdhsa_fp16_overflow 0
		.amdhsa_exception_fp_ieee_invalid_op 0
		.amdhsa_exception_fp_denorm_src 0
		.amdhsa_exception_fp_ieee_div_zero 0
		.amdhsa_exception_fp_ieee_overflow 0
		.amdhsa_exception_fp_ieee_underflow 0
		.amdhsa_exception_fp_ieee_inexact 0
		.amdhsa_exception_int_div_zero 0
	.end_amdhsa_kernel
	.section	.text._Z16sort_keys_kernelI22helper_blocked_stripedaLj512ELj4ELj10EEvPKT0_PS1_,"axG",@progbits,_Z16sort_keys_kernelI22helper_blocked_stripedaLj512ELj4ELj10EEvPKT0_PS1_,comdat
.Lfunc_end284:
	.size	_Z16sort_keys_kernelI22helper_blocked_stripedaLj512ELj4ELj10EEvPKT0_PS1_, .Lfunc_end284-_Z16sort_keys_kernelI22helper_blocked_stripedaLj512ELj4ELj10EEvPKT0_PS1_
                                        ; -- End function
	.set _Z16sort_keys_kernelI22helper_blocked_stripedaLj512ELj4ELj10EEvPKT0_PS1_.num_vgpr, 38
	.set _Z16sort_keys_kernelI22helper_blocked_stripedaLj512ELj4ELj10EEvPKT0_PS1_.num_agpr, 0
	.set _Z16sort_keys_kernelI22helper_blocked_stripedaLj512ELj4ELj10EEvPKT0_PS1_.numbered_sgpr, 48
	.set _Z16sort_keys_kernelI22helper_blocked_stripedaLj512ELj4ELj10EEvPKT0_PS1_.num_named_barrier, 0
	.set _Z16sort_keys_kernelI22helper_blocked_stripedaLj512ELj4ELj10EEvPKT0_PS1_.private_seg_size, 0
	.set _Z16sort_keys_kernelI22helper_blocked_stripedaLj512ELj4ELj10EEvPKT0_PS1_.uses_vcc, 1
	.set _Z16sort_keys_kernelI22helper_blocked_stripedaLj512ELj4ELj10EEvPKT0_PS1_.uses_flat_scratch, 0
	.set _Z16sort_keys_kernelI22helper_blocked_stripedaLj512ELj4ELj10EEvPKT0_PS1_.has_dyn_sized_stack, 0
	.set _Z16sort_keys_kernelI22helper_blocked_stripedaLj512ELj4ELj10EEvPKT0_PS1_.has_recursion, 0
	.set _Z16sort_keys_kernelI22helper_blocked_stripedaLj512ELj4ELj10EEvPKT0_PS1_.has_indirect_call, 0
	.section	.AMDGPU.csdata,"",@progbits
; Kernel info:
; codeLenInByte = 3416
; TotalNumSgprs: 52
; NumVgprs: 38
; ScratchSize: 0
; MemoryBound: 0
; FloatMode: 240
; IeeeMode: 1
; LDSByteSize: 8224 bytes/workgroup (compile time only)
; SGPRBlocks: 6
; VGPRBlocks: 9
; NumSGPRsForWavesPerEU: 52
; NumVGPRsForWavesPerEU: 38
; Occupancy: 6
; WaveLimiterHint : 1
; COMPUTE_PGM_RSRC2:SCRATCH_EN: 0
; COMPUTE_PGM_RSRC2:USER_SGPR: 6
; COMPUTE_PGM_RSRC2:TRAP_HANDLER: 0
; COMPUTE_PGM_RSRC2:TGID_X_EN: 1
; COMPUTE_PGM_RSRC2:TGID_Y_EN: 0
; COMPUTE_PGM_RSRC2:TGID_Z_EN: 0
; COMPUTE_PGM_RSRC2:TIDIG_COMP_CNT: 2
	.section	.text._Z17sort_pairs_kernelI22helper_blocked_stripedaLj512ELj4ELj10EEvPKT0_PS1_,"axG",@progbits,_Z17sort_pairs_kernelI22helper_blocked_stripedaLj512ELj4ELj10EEvPKT0_PS1_,comdat
	.protected	_Z17sort_pairs_kernelI22helper_blocked_stripedaLj512ELj4ELj10EEvPKT0_PS1_ ; -- Begin function _Z17sort_pairs_kernelI22helper_blocked_stripedaLj512ELj4ELj10EEvPKT0_PS1_
	.globl	_Z17sort_pairs_kernelI22helper_blocked_stripedaLj512ELj4ELj10EEvPKT0_PS1_
	.p2align	8
	.type	_Z17sort_pairs_kernelI22helper_blocked_stripedaLj512ELj4ELj10EEvPKT0_PS1_,@function
_Z17sort_pairs_kernelI22helper_blocked_stripedaLj512ELj4ELj10EEvPKT0_PS1_: ; @_Z17sort_pairs_kernelI22helper_blocked_stripedaLj512ELj4ELj10EEvPKT0_PS1_
; %bb.0:
	s_load_dwordx4 s[40:43], s[4:5], 0x0
	s_load_dword s36, s[4:5], 0x1c
	s_lshl_b32 s33, s6, 11
	v_lshlrev_b32_e32 v3, 2, v0
	s_mov_b32 s12, 0
	s_waitcnt lgkmcnt(0)
	s_add_u32 s0, s40, s33
	s_addc_u32 s1, s41, 0
	global_load_dword v4, v3, s[0:1]
	s_lshr_b32 s37, s36, 16
	s_and_b32 s36, s36, 0xffff
	v_mad_u32_u24 v1, v2, s37, v1
	v_mbcnt_lo_u32_b32 v3, -1, 0
	v_mad_u64_u32 v[1:2], s[36:37], v1, s36, v[0:1]
	v_mbcnt_hi_u32_b32 v3, -1, v3
	v_or_b32_e32 v5, 63, v0
	v_lshrrev_b32_e32 v6, 4, v0
	v_mul_u32_u24_e32 v7, 3, v0
	s_mov_b32 s14, s12
	s_mov_b32 s13, s12
	s_mov_b32 s15, s12
	v_lshrrev_b32_e32 v9, 2, v3
	v_and_b32_e32 v10, 3, v3
	v_and_b32_e32 v17, 64, v3
	v_cmp_eq_u32_e64 s[8:9], v0, v5
	v_subrev_co_u32_e64 v18, s[10:11], 1, v3
	v_and_b32_e32 v13, 28, v6
	v_mov_b32_e32 v5, s12
	v_add_u32_e32 v14, v0, v7
	v_mov_b32_e32 v7, s14
	v_mov_b32_e32 v6, s13
	;; [unrolled: 1-line block ×3, first 2 shown]
	v_cmp_eq_u32_e64 s[12:13], 3, v10
	v_cmp_eq_u32_e64 s[14:15], 2, v10
	;; [unrolled: 1-line block ×3, first 2 shown]
	v_cmp_eq_u32_e32 vcc, 0, v10
	v_or_b32_e32 v10, v9, v17
	v_add_u32_e32 v9, 48, v9
	v_cmp_lt_i32_e64 s[28:29], v18, v17
	v_and_b32_e32 v15, 15, v3
	v_and_b32_e32 v16, 16, v3
	v_cmp_lt_u32_e64 s[6:7], 31, v3
	v_and_b32_e32 v19, 7, v3
	v_cndmask_b32_e64 v3, v18, v3, s[28:29]
	v_and_or_b32 v9, v9, 63, v17
	v_lshrrev_b32_e32 v1, 4, v1
	v_lshlrev_b32_e32 v17, 2, v3
	v_lshlrev_b32_e32 v20, 2, v9
	v_and_b32_e32 v21, 0xffffffc, v1
	s_movk_i32 s38, 0x100
	v_cmp_eq_u32_e64 s[26:27], 0, v16
	v_lshlrev_b32_e32 v16, 2, v10
	s_movk_i32 s40, 0xff
	s_mov_b32 s41, 0xffff
	s_mov_b32 s44, 10
	;; [unrolled: 1-line block ×8, first 2 shown]
	v_mov_b32_e32 v11, 5
	v_lshlrev_b32_e32 v12, 4, v0
	v_cmp_gt_u32_e64 s[0:1], 8, v0
	v_cmp_lt_u32_e64 s[2:3], 63, v0
	v_cmp_eq_u32_e64 s[4:5], 0, v0
	v_cmp_eq_u32_e64 s[18:19], 0, v15
	v_cmp_lt_u32_e64 s[20:21], 1, v15
	v_cmp_lt_u32_e64 s[22:23], 3, v15
	;; [unrolled: 1-line block ×3, first 2 shown]
	v_cmp_eq_u32_e64 s[28:29], 0, v19
	v_cmp_lt_u32_e64 s[30:31], 1, v19
	v_cmp_lt_u32_e64 s[34:35], 3, v19
	v_add_u32_e32 v15, -4, v13
	v_add_u32_e32 v18, 64, v16
	v_or_b32_e32 v19, 0x80, v16
	s_waitcnt vmcnt(0)
	v_lshrrev_b32_e32 v1, 16, v4
	v_and_b32_e32 v3, 0xffffff00, v4
	v_add_u16_e32 v9, 1, v4
	v_or_b32_sdwa v3, v3, v9 dst_sel:DWORD dst_unused:UNUSED_PAD src0_sel:DWORD src1_sel:BYTE_0
	v_and_b32_e32 v9, 0xffffff00, v1
	v_add_u16_e32 v22, 1, v1
	v_or_b32_sdwa v9, v9, v22 dst_sel:DWORD dst_unused:UNUSED_PAD src0_sel:DWORD src1_sel:BYTE_0
	v_add_u16_e32 v3, 0x100, v3
	v_add_u16_sdwa v9, v9, s38 dst_sel:WORD_1 dst_unused:UNUSED_PAD src0_sel:DWORD src1_sel:DWORD
	v_lshrrev_b32_e32 v2, 24, v4
	v_lshrrev_b32_e32 v10, 8, v4
	v_or_b32_e32 v3, v3, v9
	v_mov_b32_e32 v9, 0
	s_branch .LBB285_2
.LBB285_1:                              ;   in Loop: Header=BB285_2 Depth=1
	s_or_b64 exec, exec, s[36:37]
	v_cndmask_b32_sdwa v39, v9, v39, vcc dst_sel:DWORD dst_unused:UNUSED_PAD src0_sel:DWORD src1_sel:BYTE_0
	v_and_b32_e32 v41, 0xff, v41
	v_cndmask_b32_e64 v39, v39, v41, s[16:17]
	v_and_b32_e32 v41, 0xff, v42
	v_cndmask_b32_e64 v39, v39, v41, s[14:15]
	v_perm_b32 v41, v43, v39, s45
	v_cndmask_b32_e64 v39, v39, v41, s[12:13]
	v_perm_b32 v36, v39, v36, s48
	v_cndmask_b32_e32 v36, v39, v36, vcc
	v_perm_b32 v37, v36, v37, s48
	v_cndmask_b32_e64 v36, v36, v37, s[16:17]
	v_perm_b32 v37, v36, v38, s48
	v_cndmask_b32_e64 v36, v36, v37, s[14:15]
	;; [unrolled: 2-line block ×3, first 2 shown]
	v_perm_b32 v32, v32, v36, s47
	v_lshlrev_b32_e32 v32, 16, v32
	v_and_or_b32 v32, v36, s41, v32
	v_cndmask_b32_e32 v32, v36, v32, vcc
	v_perm_b32 v33, v33, v32, s47
	v_lshlrev_b32_e32 v33, 16, v33
	v_and_or_b32 v33, v32, s41, v33
	v_cndmask_b32_e64 v32, v32, v33, s[16:17]
	v_perm_b32 v33, v34, v32, s47
	v_lshlrev_b32_e32 v33, 16, v33
	v_and_or_b32 v33, v32, s41, v33
	v_cndmask_b32_e64 v32, v32, v33, s[14:15]
	;; [unrolled: 4-line block ×3, first 2 shown]
	v_perm_b32 v26, v32, v26, s49
	v_lshlrev_b32_e32 v26, 16, v26
	v_and_or_b32 v26, v32, s41, v26
	v_cndmask_b32_e32 v26, v32, v26, vcc
	v_perm_b32 v27, v26, v27, s49
	v_lshlrev_b32_e32 v27, 16, v27
	v_and_or_b32 v27, v26, s41, v27
	v_cndmask_b32_e64 v26, v26, v27, s[16:17]
	v_perm_b32 v27, v26, v28, s49
	s_waitcnt lgkmcnt(0)
	v_add_u32_e32 v4, v52, v4
	v_lshlrev_b32_e32 v27, 16, v27
	ds_bpermute_b32 v4, v17, v4
	v_and_or_b32 v27, v26, s41, v27
	v_cndmask_b32_e64 v26, v26, v27, s[14:15]
	v_perm_b32 v27, v26, v29, s49
	v_lshlrev_b32_e32 v27, 16, v27
	v_and_or_b32 v27, v26, s41, v27
	s_waitcnt lgkmcnt(0)
	v_cndmask_b32_e64 v4, v4, v52, s[10:11]
	v_cndmask_b32_e64 v28, v26, v27, s[12:13]
	;; [unrolled: 1-line block ×3, first 2 shown]
	v_add_u32_e32 v27, v26, v1
	v_add_u32_e32 v1, v27, v2
	v_add_u32_e32 v2, v1, v3
	ds_write2_b64 v12, v[26:27], v[1:2] offset0:4 offset1:5
	s_waitcnt lgkmcnt(0)
	s_barrier
	ds_read_b32 v1, v24 offset:32
	ds_read_b32 v2, v31 offset:32
	;; [unrolled: 1-line block ×4, first 2 shown]
	v_lshrrev_b32_e32 v29, 8, v28
	s_waitcnt lgkmcnt(3)
	v_add_u32_e32 v1, v1, v23
	s_waitcnt lgkmcnt(2)
	v_add3_u32 v2, v44, v30, v2
	s_waitcnt lgkmcnt(1)
	v_add3_u32 v3, v48, v46, v3
	;; [unrolled: 2-line block ×3, first 2 shown]
	v_lshrrev_b32_e32 v32, 24, v28
	s_barrier
	ds_write_b8 v1, v22
	ds_write_b8 v2, v25
	;; [unrolled: 1-line block ×4, first 2 shown]
	s_waitcnt lgkmcnt(0)
	s_barrier
	ds_read_u8 v10, v0
	ds_read_u8 v26, v0 offset:512
	ds_read_u8 v27, v0 offset:1024
	;; [unrolled: 1-line block ×3, first 2 shown]
	s_waitcnt lgkmcnt(0)
	s_barrier
	ds_write_b8 v1, v28
	ds_write_b8 v2, v29
	ds_write_b8_d16_hi v3, v28
	ds_write_b8 v4, v32
	s_waitcnt lgkmcnt(0)
	s_barrier
	ds_read_u8 v22, v0
	ds_read_u8 v23, v0 offset:512
	ds_read_u8 v24, v0 offset:1024
	;; [unrolled: 1-line block ×3, first 2 shown]
	s_add_i32 s44, s44, -1
	v_xor_b32_e32 v4, 0xffffff80, v10
	s_waitcnt lgkmcnt(2)
	v_perm_b32 v1, v22, v23, s50
	v_xor_b32_e32 v10, 0xffffff80, v26
	s_waitcnt lgkmcnt(0)
	v_perm_b32 v2, v24, v25, s50
	v_lshl_or_b32 v3, v2, 16, v1
	v_xor_b32_e32 v1, 0xffffff80, v27
	s_cmp_eq_u32 s44, 0
	v_xor_b32_e32 v2, 0xffffff80, v30
	s_cbranch_scc1 .LBB285_16
.LBB285_2:                              ; =>This Inner Loop Header: Depth=1
	v_xor_b32_e32 v4, 0x80, v4
	v_xor_b32_e32 v10, 0x80, v10
	v_and_b32_e32 v4, 0xff, v4
	ds_bpermute_b32 v22, v16, v4
	v_and_b32_e32 v10, 0xff, v10
	v_xor_b32_e32 v1, 0x80, v1
	ds_bpermute_b32 v23, v16, v10
	v_and_b32_e32 v1, 0xff, v1
	ds_bpermute_b32 v24, v16, v1
	v_xor_b32_e32 v2, 0x80, v2
	v_and_b32_e32 v2, 0xff, v2
	s_waitcnt lgkmcnt(2)
	v_and_b32_e32 v22, 0xff, v22
	ds_bpermute_b32 v25, v16, v2
	v_cndmask_b32_e32 v22, 0, v22, vcc
	s_waitcnt lgkmcnt(2)
	v_and_b32_e32 v23, 0xff, v23
	v_cndmask_b32_e64 v22, v22, v23, s[16:17]
	s_waitcnt lgkmcnt(1)
	v_and_b32_e32 v23, 0xff, v24
	ds_bpermute_b32 v24, v18, v4
	v_cndmask_b32_e64 v22, v22, v23, s[14:15]
	s_waitcnt lgkmcnt(1)
	v_perm_b32 v23, v25, v22, s45
	v_cndmask_b32_e64 v22, v22, v23, s[12:13]
	ds_bpermute_b32 v23, v18, v10
	s_waitcnt lgkmcnt(1)
	v_lshlrev_b16_e32 v24, 8, v24
	v_or_b32_sdwa v24, v22, v24 dst_sel:DWORD dst_unused:UNUSED_PAD src0_sel:BYTE_0 src1_sel:DWORD
	v_and_b32_e32 v24, 0xffff, v24
	v_cndmask_b32_e32 v22, v22, v24, vcc
	ds_bpermute_b32 v24, v18, v1
	s_waitcnt lgkmcnt(1)
	v_lshlrev_b16_e32 v23, 8, v23
	v_or_b32_sdwa v23, v22, v23 dst_sel:DWORD dst_unused:UNUSED_PAD src0_sel:BYTE_0 src1_sel:DWORD
	v_and_b32_e32 v23, 0xffff, v23
	v_and_or_b32 v23, v22, s46, v23
	v_cndmask_b32_e64 v22, v22, v23, s[16:17]
	s_waitcnt lgkmcnt(0)
	v_lshlrev_b16_e32 v23, 8, v24
	ds_bpermute_b32 v24, v18, v2
	v_or_b32_sdwa v23, v22, v23 dst_sel:DWORD dst_unused:UNUSED_PAD src0_sel:BYTE_0 src1_sel:DWORD
	v_and_b32_e32 v23, 0xffff, v23
	v_and_or_b32 v23, v22, s46, v23
	v_cndmask_b32_e64 v22, v22, v23, s[14:15]
	s_waitcnt lgkmcnt(0)
	v_lshlrev_b16_e32 v23, 8, v24
	ds_bpermute_b32 v24, v19, v4
	v_or_b32_sdwa v23, v22, v23 dst_sel:DWORD dst_unused:UNUSED_PAD src0_sel:BYTE_0 src1_sel:DWORD
	v_and_b32_e32 v23, 0xffff, v23
	v_and_or_b32 v23, v22, s46, v23
	v_cndmask_b32_e64 v22, v22, v23, s[12:13]
	ds_bpermute_b32 v23, v19, v10
	s_waitcnt lgkmcnt(1)
	v_perm_b32 v24, v24, v22, s47
	v_lshlrev_b32_e32 v24, 16, v24
	v_and_or_b32 v24, v22, s41, v24
	v_cndmask_b32_e32 v22, v22, v24, vcc
	ds_bpermute_b32 v24, v19, v1
	s_waitcnt lgkmcnt(1)
	v_perm_b32 v23, v23, v22, s47
	v_lshlrev_b32_e32 v23, 16, v23
	v_and_or_b32 v23, v22, s41, v23
	v_cndmask_b32_e64 v22, v22, v23, s[16:17]
	ds_bpermute_b32 v23, v19, v2
	s_waitcnt lgkmcnt(1)
	v_perm_b32 v24, v24, v22, s47
	v_lshlrev_b32_e32 v24, 16, v24
	v_and_or_b32 v24, v22, s41, v24
	v_cndmask_b32_e64 v22, v22, v24, s[14:15]
	;; [unrolled: 6-line block ×3, first 2 shown]
	ds_bpermute_b32 v10, v20, v10
	v_and_b32_sdwa v23, v22, s40 dst_sel:DWORD dst_unused:UNUSED_PAD src0_sel:WORD_1 src1_sel:DWORD
	s_waitcnt lgkmcnt(1)
	v_lshlrev_b16_e32 v4, 8, v4
	v_or_b32_sdwa v4, v23, v4 dst_sel:WORD_1 dst_unused:UNUSED_PAD src0_sel:DWORD src1_sel:DWORD
	v_and_or_b32 v4, v22, s41, v4
	v_cndmask_b32_e32 v4, v22, v4, vcc
	ds_bpermute_b32 v1, v20, v1
	v_and_b32_sdwa v22, v4, s40 dst_sel:DWORD dst_unused:UNUSED_PAD src0_sel:WORD_1 src1_sel:DWORD
	s_waitcnt lgkmcnt(1)
	v_lshlrev_b16_e32 v10, 8, v10
	v_or_b32_sdwa v10, v22, v10 dst_sel:WORD_1 dst_unused:UNUSED_PAD src0_sel:DWORD src1_sel:DWORD
	v_and_or_b32 v10, v4, s41, v10
	v_cndmask_b32_e64 v4, v4, v10, s[16:17]
	ds_bpermute_b32 v2, v20, v2
	v_and_b32_sdwa v10, v4, s40 dst_sel:DWORD dst_unused:UNUSED_PAD src0_sel:WORD_1 src1_sel:DWORD
	s_waitcnt lgkmcnt(1)
	v_lshlrev_b16_e32 v1, 8, v1
	v_or_b32_sdwa v1, v10, v1 dst_sel:WORD_1 dst_unused:UNUSED_PAD src0_sel:DWORD src1_sel:DWORD
	v_and_or_b32 v1, v4, s41, v1
	v_cndmask_b32_e64 v1, v4, v1, s[14:15]
	v_and_b32_sdwa v4, v1, s40 dst_sel:DWORD dst_unused:UNUSED_PAD src0_sel:WORD_1 src1_sel:DWORD
	s_waitcnt lgkmcnt(0)
	v_lshlrev_b16_e32 v2, 8, v2
	v_or_b32_sdwa v2, v4, v2 dst_sel:WORD_1 dst_unused:UNUSED_PAD src0_sel:DWORD src1_sel:DWORD
	v_and_or_b32 v2, v1, s41, v2
	v_cndmask_b32_e64 v22, v1, v2, s[12:13]
	v_and_b32_e32 v1, 1, v22
	v_add_co_u32_e64 v2, s[36:37], -1, v1
	v_addc_co_u32_e64 v10, s[36:37], 0, -1, s[36:37]
	v_cmp_ne_u32_e64 s[36:37], 0, v1
	v_xor_b32_e32 v1, s37, v10
	v_lshlrev_b32_e32 v10, 30, v22
	v_xor_b32_e32 v2, s36, v2
	v_cmp_gt_i64_e64 s[36:37], 0, v[9:10]
	v_not_b32_e32 v10, v10
	v_ashrrev_i32_e32 v10, 31, v10
	v_and_b32_e32 v2, exec_lo, v2
	v_xor_b32_e32 v23, s37, v10
	v_xor_b32_e32 v10, s36, v10
	v_and_b32_e32 v2, v2, v10
	v_lshlrev_b32_e32 v10, 29, v22
	v_cmp_gt_i64_e64 s[36:37], 0, v[9:10]
	v_not_b32_e32 v10, v10
	v_and_b32_e32 v1, exec_hi, v1
	v_ashrrev_i32_e32 v10, 31, v10
	v_and_b32_e32 v1, v1, v23
	v_xor_b32_e32 v23, s37, v10
	v_xor_b32_e32 v10, s36, v10
	v_and_b32_e32 v2, v2, v10
	v_lshlrev_b32_e32 v10, 28, v22
	v_cmp_gt_i64_e64 s[36:37], 0, v[9:10]
	v_not_b32_e32 v10, v10
	v_ashrrev_i32_e32 v10, 31, v10
	v_and_b32_e32 v1, v1, v23
	v_xor_b32_e32 v23, s37, v10
	v_xor_b32_e32 v10, s36, v10
	v_and_b32_e32 v2, v2, v10
	v_lshlrev_b32_e32 v10, 27, v22
	v_cmp_gt_i64_e64 s[36:37], 0, v[9:10]
	v_not_b32_e32 v10, v10
	;; [unrolled: 8-line block ×4, first 2 shown]
	v_ashrrev_i32_e32 v10, 31, v10
	v_and_b32_e32 v1, v1, v23
	v_xor_b32_e32 v23, s37, v10
	v_xor_b32_e32 v10, s36, v10
	v_and_b32_e32 v1, v1, v23
	v_and_b32_e32 v23, v2, v10
	v_lshlrev_b32_e32 v10, 24, v22
	v_cmp_gt_i64_e64 s[36:37], 0, v[9:10]
	v_not_b32_e32 v2, v10
	v_ashrrev_i32_e32 v2, 31, v2
	v_xor_b32_e32 v10, s37, v2
	v_xor_b32_e32 v24, s36, v2
	v_and_b32_e32 v4, 0xff, v3
	v_and_b32_e32 v2, v1, v10
	;; [unrolled: 1-line block ×3, first 2 shown]
	v_bfe_u32 v10, v3, 8, 8
	v_bfe_u32 v23, v3, 16, 8
	v_lshrrev_b32_e32 v3, 24, v3
	ds_bpermute_b32 v39, v16, v4
	ds_bpermute_b32 v36, v18, v4
	;; [unrolled: 1-line block ×16, first 2 shown]
	v_mbcnt_lo_u32_b32 v3, v1, 0
	v_mbcnt_hi_u32_b32 v23, v2, v3
	v_cmp_ne_u64_e64 s[36:37], 0, v[1:2]
	v_cmp_eq_u32_e64 s[38:39], 0, v23
	v_lshlrev_b32_sdwa v3, v11, v22 dst_sel:DWORD dst_unused:UNUSED_PAD src0_sel:DWORD src1_sel:BYTE_0
	s_and_b64 s[38:39], s[36:37], s[38:39]
	v_add_u32_e32 v24, v21, v3
	s_waitcnt lgkmcnt(0)
	s_barrier
	ds_write2_b64 v12, v[5:6], v[7:8] offset0:4 offset1:5
	s_waitcnt lgkmcnt(0)
	s_barrier
	; wave barrier
	s_and_saveexec_b64 s[36:37], s[38:39]
; %bb.3:                                ;   in Loop: Header=BB285_2 Depth=1
	v_bcnt_u32_b32 v1, v1, 0
	v_bcnt_u32_b32 v1, v2, v1
	ds_write_b32 v24, v1 offset:32
; %bb.4:                                ;   in Loop: Header=BB285_2 Depth=1
	s_or_b64 exec, exec, s[36:37]
	v_lshlrev_b32_sdwa v1, v11, v22 dst_sel:DWORD dst_unused:UNUSED_PAD src0_sel:DWORD src1_sel:BYTE_1
	v_add_u32_e32 v31, v21, v1
	v_bfe_u32 v1, v22, 8, 1
	v_add_co_u32_e64 v2, s[36:37], -1, v1
	v_lshrrev_b32_e32 v25, 8, v22
	v_addc_co_u32_e64 v3, s[36:37], 0, -1, s[36:37]
	v_cmp_ne_u32_e64 s[36:37], 0, v1
	v_lshlrev_b32_e32 v10, 30, v25
	v_xor_b32_e32 v1, s37, v3
	v_xor_b32_e32 v2, s36, v2
	v_cmp_gt_i64_e64 s[36:37], 0, v[9:10]
	v_not_b32_e32 v3, v10
	v_ashrrev_i32_e32 v3, 31, v3
	v_and_b32_e32 v2, exec_lo, v2
	v_xor_b32_e32 v4, s37, v3
	v_xor_b32_e32 v3, s36, v3
	v_lshlrev_b32_e32 v10, 29, v25
	v_and_b32_e32 v2, v2, v3
	v_cmp_gt_i64_e64 s[36:37], 0, v[9:10]
	v_not_b32_e32 v3, v10
	v_and_b32_e32 v1, exec_hi, v1
	v_ashrrev_i32_e32 v3, 31, v3
	v_and_b32_e32 v1, v1, v4
	v_xor_b32_e32 v4, s37, v3
	v_xor_b32_e32 v3, s36, v3
	v_lshlrev_b32_e32 v10, 28, v25
	v_and_b32_e32 v2, v2, v3
	v_cmp_gt_i64_e64 s[36:37], 0, v[9:10]
	v_not_b32_e32 v3, v10
	v_ashrrev_i32_e32 v3, 31, v3
	v_and_b32_e32 v1, v1, v4
	v_xor_b32_e32 v4, s37, v3
	v_xor_b32_e32 v3, s36, v3
	v_lshlrev_b32_e32 v10, 27, v25
	v_and_b32_e32 v2, v2, v3
	v_cmp_gt_i64_e64 s[36:37], 0, v[9:10]
	v_not_b32_e32 v3, v10
	;; [unrolled: 8-line block ×5, first 2 shown]
	v_ashrrev_i32_e32 v2, 31, v2
	v_and_b32_e32 v1, v1, v4
	v_xor_b32_e32 v4, s37, v2
	v_xor_b32_e32 v10, s36, v2
	; wave barrier
	ds_read_b32 v30, v31 offset:32
	v_and_b32_e32 v2, v1, v4
	v_and_b32_e32 v1, v3, v10
	v_mbcnt_lo_u32_b32 v3, v1, 0
	v_mbcnt_hi_u32_b32 v44, v2, v3
	v_cmp_ne_u64_e64 s[36:37], 0, v[1:2]
	v_cmp_eq_u32_e64 s[38:39], 0, v44
	s_and_b64 s[38:39], s[36:37], s[38:39]
	; wave barrier
	s_and_saveexec_b64 s[36:37], s[38:39]
	s_cbranch_execz .LBB285_6
; %bb.5:                                ;   in Loop: Header=BB285_2 Depth=1
	v_bcnt_u32_b32 v1, v1, 0
	v_bcnt_u32_b32 v1, v2, v1
	s_waitcnt lgkmcnt(0)
	v_add_u32_e32 v1, v30, v1
	ds_write_b32 v31, v1 offset:32
.LBB285_6:                              ;   in Loop: Header=BB285_2 Depth=1
	s_or_b64 exec, exec, s[36:37]
	v_lshlrev_b32_sdwa v1, v11, v22 dst_sel:DWORD dst_unused:UNUSED_PAD src0_sel:DWORD src1_sel:BYTE_2
	v_add_u32_e32 v47, v21, v1
	v_bfe_u32 v1, v22, 16, 1
	v_add_co_u32_e64 v2, s[36:37], -1, v1
	v_lshrrev_b32_e32 v45, 16, v22
	v_addc_co_u32_e64 v3, s[36:37], 0, -1, s[36:37]
	v_cmp_ne_u32_e64 s[36:37], 0, v1
	v_lshlrev_b32_e32 v10, 30, v45
	v_xor_b32_e32 v1, s37, v3
	v_xor_b32_e32 v2, s36, v2
	v_cmp_gt_i64_e64 s[36:37], 0, v[9:10]
	v_not_b32_e32 v3, v10
	v_ashrrev_i32_e32 v3, 31, v3
	v_and_b32_e32 v2, exec_lo, v2
	v_xor_b32_e32 v4, s37, v3
	v_xor_b32_e32 v3, s36, v3
	v_lshlrev_b32_e32 v10, 29, v45
	v_and_b32_e32 v2, v2, v3
	v_cmp_gt_i64_e64 s[36:37], 0, v[9:10]
	v_not_b32_e32 v3, v10
	v_and_b32_e32 v1, exec_hi, v1
	v_ashrrev_i32_e32 v3, 31, v3
	v_and_b32_e32 v1, v1, v4
	v_xor_b32_e32 v4, s37, v3
	v_xor_b32_e32 v3, s36, v3
	v_lshlrev_b32_e32 v10, 28, v45
	v_and_b32_e32 v2, v2, v3
	v_cmp_gt_i64_e64 s[36:37], 0, v[9:10]
	v_not_b32_e32 v3, v10
	v_ashrrev_i32_e32 v3, 31, v3
	v_and_b32_e32 v1, v1, v4
	v_xor_b32_e32 v4, s37, v3
	v_xor_b32_e32 v3, s36, v3
	v_lshlrev_b32_e32 v10, 27, v45
	v_and_b32_e32 v2, v2, v3
	v_cmp_gt_i64_e64 s[36:37], 0, v[9:10]
	v_not_b32_e32 v3, v10
	;; [unrolled: 8-line block ×5, first 2 shown]
	v_ashrrev_i32_e32 v2, 31, v2
	v_and_b32_e32 v1, v1, v4
	v_xor_b32_e32 v4, s37, v2
	v_xor_b32_e32 v10, s36, v2
	; wave barrier
	ds_read_b32 v46, v47 offset:32
	v_and_b32_e32 v2, v1, v4
	v_and_b32_e32 v1, v3, v10
	v_mbcnt_lo_u32_b32 v3, v1, 0
	v_mbcnt_hi_u32_b32 v48, v2, v3
	v_cmp_ne_u64_e64 s[36:37], 0, v[1:2]
	v_cmp_eq_u32_e64 s[38:39], 0, v48
	s_and_b64 s[38:39], s[36:37], s[38:39]
	; wave barrier
	s_and_saveexec_b64 s[36:37], s[38:39]
	s_cbranch_execz .LBB285_8
; %bb.7:                                ;   in Loop: Header=BB285_2 Depth=1
	v_bcnt_u32_b32 v1, v1, 0
	v_bcnt_u32_b32 v1, v2, v1
	s_waitcnt lgkmcnt(0)
	v_add_u32_e32 v1, v46, v1
	ds_write_b32 v47, v1 offset:32
.LBB285_8:                              ;   in Loop: Header=BB285_2 Depth=1
	s_or_b64 exec, exec, s[36:37]
	v_lshrrev_b32_e32 v49, 24, v22
	v_lshlrev_b32_e32 v1, 5, v49
	v_add_u32_e32 v51, v21, v1
	v_bfe_u32 v1, v22, 24, 1
	v_add_co_u32_e64 v2, s[36:37], -1, v1
	v_addc_co_u32_e64 v3, s[36:37], 0, -1, s[36:37]
	v_cmp_ne_u32_e64 s[36:37], 0, v1
	v_lshlrev_b32_e32 v10, 30, v49
	v_xor_b32_e32 v1, s37, v3
	v_xor_b32_e32 v2, s36, v2
	v_cmp_gt_i64_e64 s[36:37], 0, v[9:10]
	v_not_b32_e32 v3, v10
	v_ashrrev_i32_e32 v3, 31, v3
	v_and_b32_e32 v2, exec_lo, v2
	v_xor_b32_e32 v4, s37, v3
	v_xor_b32_e32 v3, s36, v3
	v_lshlrev_b32_e32 v10, 29, v49
	v_and_b32_e32 v2, v2, v3
	v_cmp_gt_i64_e64 s[36:37], 0, v[9:10]
	v_not_b32_e32 v3, v10
	v_and_b32_e32 v1, exec_hi, v1
	v_ashrrev_i32_e32 v3, 31, v3
	v_and_b32_e32 v1, v1, v4
	v_xor_b32_e32 v4, s37, v3
	v_xor_b32_e32 v3, s36, v3
	v_lshlrev_b32_e32 v10, 28, v49
	v_and_b32_e32 v2, v2, v3
	v_cmp_gt_i64_e64 s[36:37], 0, v[9:10]
	v_not_b32_e32 v3, v10
	v_ashrrev_i32_e32 v3, 31, v3
	v_and_b32_e32 v1, v1, v4
	v_xor_b32_e32 v4, s37, v3
	v_xor_b32_e32 v3, s36, v3
	v_lshlrev_b32_e32 v10, 27, v49
	v_and_b32_e32 v2, v2, v3
	v_cmp_gt_i64_e64 s[36:37], 0, v[9:10]
	v_not_b32_e32 v3, v10
	;; [unrolled: 8-line block ×4, first 2 shown]
	v_ashrrev_i32_e32 v3, 31, v3
	v_and_b32_e32 v1, v1, v4
	v_xor_b32_e32 v4, s37, v3
	v_xor_b32_e32 v3, s36, v3
	v_and_b32_e32 v10, 0xff000000, v22
	v_and_b32_e32 v3, v2, v3
	v_cmp_gt_i64_e64 s[36:37], 0, v[9:10]
	v_not_b32_e32 v2, v10
	v_ashrrev_i32_e32 v2, 31, v2
	v_and_b32_e32 v1, v1, v4
	v_xor_b32_e32 v4, s37, v2
	v_xor_b32_e32 v10, s36, v2
	; wave barrier
	ds_read_b32 v50, v51 offset:32
	v_and_b32_e32 v2, v1, v4
	v_and_b32_e32 v1, v3, v10
	v_mbcnt_lo_u32_b32 v3, v1, 0
	v_mbcnt_hi_u32_b32 v10, v2, v3
	v_cmp_ne_u64_e64 s[36:37], 0, v[1:2]
	v_cmp_eq_u32_e64 s[38:39], 0, v10
	s_and_b64 s[38:39], s[36:37], s[38:39]
	; wave barrier
	s_and_saveexec_b64 s[36:37], s[38:39]
	s_cbranch_execz .LBB285_10
; %bb.9:                                ;   in Loop: Header=BB285_2 Depth=1
	v_bcnt_u32_b32 v1, v1, 0
	v_bcnt_u32_b32 v1, v2, v1
	s_waitcnt lgkmcnt(0)
	v_add_u32_e32 v1, v50, v1
	ds_write_b32 v51, v1 offset:32
.LBB285_10:                             ;   in Loop: Header=BB285_2 Depth=1
	s_or_b64 exec, exec, s[36:37]
	; wave barrier
	s_waitcnt lgkmcnt(0)
	s_barrier
	ds_read2_b64 v[1:4], v12 offset0:4 offset1:5
	s_waitcnt lgkmcnt(0)
	v_add_u32_e32 v52, v2, v1
	v_add3_u32 v4, v52, v3, v4
	s_nop 1
	v_mov_b32_dpp v52, v4 row_shr:1 row_mask:0xf bank_mask:0xf
	v_cndmask_b32_e64 v52, v52, 0, s[18:19]
	v_add_u32_e32 v4, v52, v4
	s_nop 1
	v_mov_b32_dpp v52, v4 row_shr:2 row_mask:0xf bank_mask:0xf
	v_cndmask_b32_e64 v52, 0, v52, s[20:21]
	v_add_u32_e32 v4, v4, v52
	;; [unrolled: 4-line block ×4, first 2 shown]
	s_nop 1
	v_mov_b32_dpp v52, v4 row_bcast:15 row_mask:0xf bank_mask:0xf
	v_cndmask_b32_e64 v52, v52, 0, s[26:27]
	v_add_u32_e32 v4, v4, v52
	s_nop 1
	v_mov_b32_dpp v52, v4 row_bcast:31 row_mask:0xf bank_mask:0xf
	v_cndmask_b32_e64 v52, 0, v52, s[6:7]
	v_add_u32_e32 v4, v4, v52
	s_and_saveexec_b64 s[36:37], s[8:9]
; %bb.11:                               ;   in Loop: Header=BB285_2 Depth=1
	ds_write_b32 v13, v4
; %bb.12:                               ;   in Loop: Header=BB285_2 Depth=1
	s_or_b64 exec, exec, s[36:37]
	s_waitcnt lgkmcnt(0)
	s_barrier
	s_and_saveexec_b64 s[36:37], s[0:1]
	s_cbranch_execz .LBB285_14
; %bb.13:                               ;   in Loop: Header=BB285_2 Depth=1
	ds_read_b32 v52, v14
	s_waitcnt lgkmcnt(0)
	s_nop 0
	v_mov_b32_dpp v53, v52 row_shr:1 row_mask:0xf bank_mask:0xf
	v_cndmask_b32_e64 v53, v53, 0, s[28:29]
	v_add_u32_e32 v52, v53, v52
	s_nop 1
	v_mov_b32_dpp v53, v52 row_shr:2 row_mask:0xf bank_mask:0xf
	v_cndmask_b32_e64 v53, 0, v53, s[30:31]
	v_add_u32_e32 v52, v52, v53
	;; [unrolled: 4-line block ×3, first 2 shown]
	ds_write_b32 v14, v52
.LBB285_14:                             ;   in Loop: Header=BB285_2 Depth=1
	s_or_b64 exec, exec, s[36:37]
	v_mov_b32_e32 v52, 0
	s_waitcnt lgkmcnt(0)
	s_barrier
	s_and_saveexec_b64 s[36:37], s[2:3]
	s_cbranch_execz .LBB285_1
; %bb.15:                               ;   in Loop: Header=BB285_2 Depth=1
	ds_read_b32 v52, v15
	s_branch .LBB285_1
.LBB285_16:
	s_add_u32 s0, s42, s33
	v_add_u16_e32 v3, v4, v22
	s_addc_u32 s1, s43, 0
	v_add_u16_e32 v4, v10, v23
	v_add_u16_e32 v1, v1, v24
	;; [unrolled: 1-line block ×3, first 2 shown]
	global_store_byte v0, v3, s[0:1]
	global_store_byte v0, v4, s[0:1] offset:512
	global_store_byte v0, v1, s[0:1] offset:1024
	;; [unrolled: 1-line block ×3, first 2 shown]
	s_endpgm
	.section	.rodata,"a",@progbits
	.p2align	6, 0x0
	.amdhsa_kernel _Z17sort_pairs_kernelI22helper_blocked_stripedaLj512ELj4ELj10EEvPKT0_PS1_
		.amdhsa_group_segment_fixed_size 8224
		.amdhsa_private_segment_fixed_size 0
		.amdhsa_kernarg_size 272
		.amdhsa_user_sgpr_count 6
		.amdhsa_user_sgpr_private_segment_buffer 1
		.amdhsa_user_sgpr_dispatch_ptr 0
		.amdhsa_user_sgpr_queue_ptr 0
		.amdhsa_user_sgpr_kernarg_segment_ptr 1
		.amdhsa_user_sgpr_dispatch_id 0
		.amdhsa_user_sgpr_flat_scratch_init 0
		.amdhsa_user_sgpr_private_segment_size 0
		.amdhsa_uses_dynamic_stack 0
		.amdhsa_system_sgpr_private_segment_wavefront_offset 0
		.amdhsa_system_sgpr_workgroup_id_x 1
		.amdhsa_system_sgpr_workgroup_id_y 0
		.amdhsa_system_sgpr_workgroup_id_z 0
		.amdhsa_system_sgpr_workgroup_info 0
		.amdhsa_system_vgpr_workitem_id 2
		.amdhsa_next_free_vgpr 54
		.amdhsa_next_free_sgpr 51
		.amdhsa_reserve_vcc 1
		.amdhsa_reserve_flat_scratch 0
		.amdhsa_float_round_mode_32 0
		.amdhsa_float_round_mode_16_64 0
		.amdhsa_float_denorm_mode_32 3
		.amdhsa_float_denorm_mode_16_64 3
		.amdhsa_dx10_clamp 1
		.amdhsa_ieee_mode 1
		.amdhsa_fp16_overflow 0
		.amdhsa_exception_fp_ieee_invalid_op 0
		.amdhsa_exception_fp_denorm_src 0
		.amdhsa_exception_fp_ieee_div_zero 0
		.amdhsa_exception_fp_ieee_overflow 0
		.amdhsa_exception_fp_ieee_underflow 0
		.amdhsa_exception_fp_ieee_inexact 0
		.amdhsa_exception_int_div_zero 0
	.end_amdhsa_kernel
	.section	.text._Z17sort_pairs_kernelI22helper_blocked_stripedaLj512ELj4ELj10EEvPKT0_PS1_,"axG",@progbits,_Z17sort_pairs_kernelI22helper_blocked_stripedaLj512ELj4ELj10EEvPKT0_PS1_,comdat
.Lfunc_end285:
	.size	_Z17sort_pairs_kernelI22helper_blocked_stripedaLj512ELj4ELj10EEvPKT0_PS1_, .Lfunc_end285-_Z17sort_pairs_kernelI22helper_blocked_stripedaLj512ELj4ELj10EEvPKT0_PS1_
                                        ; -- End function
	.set _Z17sort_pairs_kernelI22helper_blocked_stripedaLj512ELj4ELj10EEvPKT0_PS1_.num_vgpr, 54
	.set _Z17sort_pairs_kernelI22helper_blocked_stripedaLj512ELj4ELj10EEvPKT0_PS1_.num_agpr, 0
	.set _Z17sort_pairs_kernelI22helper_blocked_stripedaLj512ELj4ELj10EEvPKT0_PS1_.numbered_sgpr, 51
	.set _Z17sort_pairs_kernelI22helper_blocked_stripedaLj512ELj4ELj10EEvPKT0_PS1_.num_named_barrier, 0
	.set _Z17sort_pairs_kernelI22helper_blocked_stripedaLj512ELj4ELj10EEvPKT0_PS1_.private_seg_size, 0
	.set _Z17sort_pairs_kernelI22helper_blocked_stripedaLj512ELj4ELj10EEvPKT0_PS1_.uses_vcc, 1
	.set _Z17sort_pairs_kernelI22helper_blocked_stripedaLj512ELj4ELj10EEvPKT0_PS1_.uses_flat_scratch, 0
	.set _Z17sort_pairs_kernelI22helper_blocked_stripedaLj512ELj4ELj10EEvPKT0_PS1_.has_dyn_sized_stack, 0
	.set _Z17sort_pairs_kernelI22helper_blocked_stripedaLj512ELj4ELj10EEvPKT0_PS1_.has_recursion, 0
	.set _Z17sort_pairs_kernelI22helper_blocked_stripedaLj512ELj4ELj10EEvPKT0_PS1_.has_indirect_call, 0
	.section	.AMDGPU.csdata,"",@progbits
; Kernel info:
; codeLenInByte = 4112
; TotalNumSgprs: 55
; NumVgprs: 54
; ScratchSize: 0
; MemoryBound: 0
; FloatMode: 240
; IeeeMode: 1
; LDSByteSize: 8224 bytes/workgroup (compile time only)
; SGPRBlocks: 6
; VGPRBlocks: 13
; NumSGPRsForWavesPerEU: 55
; NumVGPRsForWavesPerEU: 54
; Occupancy: 4
; WaveLimiterHint : 1
; COMPUTE_PGM_RSRC2:SCRATCH_EN: 0
; COMPUTE_PGM_RSRC2:USER_SGPR: 6
; COMPUTE_PGM_RSRC2:TRAP_HANDLER: 0
; COMPUTE_PGM_RSRC2:TGID_X_EN: 1
; COMPUTE_PGM_RSRC2:TGID_Y_EN: 0
; COMPUTE_PGM_RSRC2:TGID_Z_EN: 0
; COMPUTE_PGM_RSRC2:TIDIG_COMP_CNT: 2
	.section	.text._Z16sort_keys_kernelI22helper_blocked_stripedaLj512ELj8ELj10EEvPKT0_PS1_,"axG",@progbits,_Z16sort_keys_kernelI22helper_blocked_stripedaLj512ELj8ELj10EEvPKT0_PS1_,comdat
	.protected	_Z16sort_keys_kernelI22helper_blocked_stripedaLj512ELj8ELj10EEvPKT0_PS1_ ; -- Begin function _Z16sort_keys_kernelI22helper_blocked_stripedaLj512ELj8ELj10EEvPKT0_PS1_
	.globl	_Z16sort_keys_kernelI22helper_blocked_stripedaLj512ELj8ELj10EEvPKT0_PS1_
	.p2align	8
	.type	_Z16sort_keys_kernelI22helper_blocked_stripedaLj512ELj8ELj10EEvPKT0_PS1_,@function
_Z16sort_keys_kernelI22helper_blocked_stripedaLj512ELj8ELj10EEvPKT0_PS1_: ; @_Z16sort_keys_kernelI22helper_blocked_stripedaLj512ELj8ELj10EEvPKT0_PS1_
; %bb.0:
	s_load_dwordx4 s[28:31], s[4:5], 0x0
	s_load_dword s2, s[4:5], 0x1c
	s_lshl_b32 s33, s6, 12
	v_lshlrev_b32_e32 v5, 3, v0
	v_mbcnt_lo_u32_b32 v6, -1, 0
	s_waitcnt lgkmcnt(0)
	s_add_u32 s0, s28, s33
	s_addc_u32 s1, s29, 0
	global_load_dwordx2 v[3:4], v5, s[0:1]
	s_lshr_b32 s0, s2, 16
	s_and_b32 s1, s2, 0xffff
	v_mad_u32_u24 v1, v2, s0, v1
	v_mad_u64_u32 v[1:2], s[0:1], v1, s1, v[0:1]
	v_mbcnt_hi_u32_b32 v6, -1, v6
	v_and_b32_e32 v7, 0x1c0, v0
	v_lshrrev_b32_e32 v1, 4, v1
	v_and_b32_e32 v13, 0xffffffc, v1
	v_and_b32_e32 v1, 15, v6
	v_cmp_eq_u32_e32 vcc, 0, v1
	v_cmp_lt_u32_e64 s[0:1], 1, v1
	v_cmp_lt_u32_e64 s[2:3], 3, v1
	;; [unrolled: 1-line block ×3, first 2 shown]
	v_and_b32_e32 v1, 16, v6
	v_cmp_eq_u32_e64 s[6:7], 0, v1
	v_or_b32_e32 v1, 63, v7
	v_and_b32_e32 v2, 0xe00, v5
	v_cmp_eq_u32_e64 s[10:11], v0, v1
	v_subrev_co_u32_e64 v1, s[16:17], 1, v6
	v_and_b32_e32 v5, 64, v6
	v_cmp_lt_i32_e64 s[18:19], v1, v5
	s_mov_b32 s26, 0
	v_cndmask_b32_e64 v1, v1, v6, s[18:19]
	v_lshlrev_b32_e32 v14, 2, v1
	v_lshrrev_b32_e32 v1, 4, v0
	v_and_b32_e32 v5, 7, v6
	s_mov_b32 s28, s26
	v_add_lshl_u32 v11, v6, v7, 3
	v_cmp_lt_u32_e64 s[8:9], 31, v6
	v_and_b32_e32 v15, 28, v1
	v_mul_u32_u24_e32 v1, 3, v0
	v_cmp_eq_u32_e64 s[20:21], 0, v5
	v_cmp_lt_u32_e64 s[22:23], 1, v5
	v_cmp_lt_u32_e64 s[24:25], 3, v5
	v_add_u32_e32 v17, v6, v2
	s_mov_b32 s27, s26
	s_mov_b32 s29, s26
	v_mov_b32_e32 v5, s26
	v_mov_b32_e32 v7, s28
	v_lshlrev_b32_e32 v12, 4, v0
	v_cmp_gt_u32_e64 s[12:13], 8, v0
	v_cmp_lt_u32_e64 s[14:15], 63, v0
	v_cmp_eq_u32_e64 s[18:19], 0, v0
	v_add_u32_e32 v16, -4, v15
	s_mov_b32 s34, 10
	s_movk_i32 s35, 0xff00
	s_movk_i32 s36, 0x80
	;; [unrolled: 1-line block ×3, first 2 shown]
	v_mov_b32_e32 v6, s27
	v_mov_b32_e32 v8, s29
	;; [unrolled: 1-line block ×3, first 2 shown]
	v_add_u32_e32 v18, v0, v1
	v_mov_b32_e32 v19, 5
	s_branch .LBB286_2
.LBB286_1:                              ;   in Loop: Header=BB286_2 Depth=1
	s_or_b64 exec, exec, s[26:27]
	s_waitcnt lgkmcnt(0)
	v_add_u32_e32 v4, v50, v4
	ds_bpermute_b32 v4, v14, v4
	s_add_i32 s34, s34, -1
	s_cmp_eq_u32 s34, 0
	s_waitcnt lgkmcnt(0)
	v_cndmask_b32_e64 v4, v4, v50, s[16:17]
	v_cndmask_b32_e64 v50, v4, 0, s[18:19]
	v_add_u32_e32 v51, v50, v1
	v_add_u32_e32 v1, v51, v2
	;; [unrolled: 1-line block ×3, first 2 shown]
	ds_write2_b64 v12, v[50:51], v[1:2] offset0:4 offset1:5
	s_waitcnt lgkmcnt(0)
	s_barrier
	ds_read_b32 v1, v29 offset:32
	ds_read_b32 v2, v31 offset:32
	ds_read_b32 v3, v34 offset:32
	ds_read_b32 v4, v37 offset:32
	ds_read_b32 v29, v40 offset:32
	ds_read_b32 v31, v43 offset:32
	ds_read_b32 v34, v46 offset:32
	ds_read_b32 v37, v49 offset:32
	s_waitcnt lgkmcnt(7)
	v_add_u32_e32 v1, v1, v28
	s_waitcnt lgkmcnt(0)
	s_barrier
	ds_write_b8 v1, v27
	v_add3_u32 v1, v32, v30, v2
	ds_write_b8 v1, v26
	v_add3_u32 v1, v35, v33, v3
	;; [unrolled: 2-line block ×7, first 2 shown]
	ds_write_b8 v1, v20
	s_waitcnt lgkmcnt(0)
	s_barrier
	ds_read_u8 v1, v0
	ds_read_u8 v2, v0 offset:512
	ds_read_u8 v3, v0 offset:1024
	;; [unrolled: 1-line block ×7, first 2 shown]
	s_waitcnt lgkmcnt(6)
	v_xor_b32_e32 v2, 0xffffff80, v2
	s_waitcnt lgkmcnt(4)
	v_xor_b32_e32 v20, 0xffffff80, v4
	v_xor_b32_e32 v1, 0xffffff80, v1
	;; [unrolled: 1-line block ×3, first 2 shown]
	v_lshlrev_b16_e32 v3, 8, v2
	v_lshlrev_b16_e32 v4, 8, v20
	s_waitcnt lgkmcnt(2)
	v_xor_b32_e32 v22, 0xffffff80, v22
	s_waitcnt lgkmcnt(0)
	v_xor_b32_e32 v24, 0xffffff80, v24
	v_or_b32_sdwa v3, v1, v3 dst_sel:DWORD dst_unused:UNUSED_PAD src0_sel:BYTE_0 src1_sel:DWORD
	v_or_b32_sdwa v4, v10, v4 dst_sel:WORD_1 dst_unused:UNUSED_PAD src0_sel:BYTE_0 src1_sel:DWORD
	v_xor_b32_e32 v21, 0xffffff80, v21
	v_xor_b32_e32 v23, 0xffffff80, v23
	v_or_b32_sdwa v3, v3, v4 dst_sel:DWORD dst_unused:UNUSED_PAD src0_sel:WORD_0 src1_sel:DWORD
	v_lshlrev_b16_e32 v4, 8, v22
	v_lshlrev_b16_e32 v25, 8, v24
	v_or_b32_sdwa v4, v21, v4 dst_sel:DWORD dst_unused:UNUSED_PAD src0_sel:BYTE_0 src1_sel:DWORD
	v_or_b32_sdwa v25, v23, v25 dst_sel:WORD_1 dst_unused:UNUSED_PAD src0_sel:BYTE_0 src1_sel:DWORD
	v_or_b32_sdwa v4, v4, v25 dst_sel:DWORD dst_unused:UNUSED_PAD src0_sel:WORD_0 src1_sel:DWORD
	s_cbranch_scc1 .LBB286_24
.LBB286_2:                              ; =>This Inner Loop Header: Depth=1
	s_waitcnt vmcnt(0)
	v_and_b32_e32 v1, 0xffffff00, v3
	v_xor_b32_e32 v2, 0x80, v3
	v_or_b32_sdwa v1, v2, v1 dst_sel:DWORD dst_unused:UNUSED_PAD src0_sel:BYTE_0 src1_sel:DWORD
	v_and_b32_sdwa v2, v3, s35 dst_sel:DWORD dst_unused:UNUSED_PAD src0_sel:WORD_1 src1_sel:DWORD
	v_xor_b32_sdwa v3, v3, s36 dst_sel:DWORD dst_unused:UNUSED_PAD src0_sel:WORD_1 src1_sel:DWORD
	v_or_b32_sdwa v2, v3, v2 dst_sel:DWORD dst_unused:UNUSED_PAD src0_sel:BYTE_0 src1_sel:DWORD
	v_add_u16_e32 v1, 0x8000, v1
	v_add_u16_sdwa v2, v2, s37 dst_sel:WORD_1 dst_unused:UNUSED_PAD src0_sel:DWORD src1_sel:DWORD
	v_or_b32_e32 v1, v1, v2
	v_and_b32_e32 v2, 0xffffff00, v4
	v_xor_b32_e32 v3, 0x80, v4
	v_or_b32_sdwa v2, v3, v2 dst_sel:DWORD dst_unused:UNUSED_PAD src0_sel:BYTE_0 src1_sel:DWORD
	v_and_b32_sdwa v3, v4, s35 dst_sel:DWORD dst_unused:UNUSED_PAD src0_sel:WORD_1 src1_sel:DWORD
	v_xor_b32_sdwa v4, v4, s36 dst_sel:DWORD dst_unused:UNUSED_PAD src0_sel:WORD_1 src1_sel:DWORD
	v_or_b32_sdwa v3, v4, v3 dst_sel:DWORD dst_unused:UNUSED_PAD src0_sel:BYTE_0 src1_sel:DWORD
	v_add_u16_e32 v2, 0x8000, v2
	v_add_u16_sdwa v3, v3, s37 dst_sel:WORD_1 dst_unused:UNUSED_PAD src0_sel:DWORD src1_sel:DWORD
	v_or_b32_e32 v2, v2, v3
	ds_write_b64 v11, v[1:2]
	; wave barrier
	ds_read_u8 v27, v17
	ds_read_u8 v26, v17 offset:64
	ds_read_u8 v25, v17 offset:128
	;; [unrolled: 1-line block ×7, first 2 shown]
	s_waitcnt lgkmcnt(7)
	v_and_b32_e32 v1, 1, v27
	v_cmp_ne_u32_e64 s[26:27], 0, v1
	v_add_co_u32_e64 v1, s[28:29], -1, v1
	v_addc_co_u32_e64 v2, s[28:29], 0, -1, s[28:29]
	v_lshlrev_b32_e32 v10, 30, v27
	v_cmp_gt_i64_e64 s[28:29], 0, v[9:10]
	v_not_b32_e32 v3, v10
	v_ashrrev_i32_e32 v3, 31, v3
	v_xor_b32_e32 v1, s26, v1
	v_xor_b32_e32 v4, s29, v3
	v_and_b32_e32 v1, exec_lo, v1
	v_xor_b32_e32 v3, s28, v3
	v_lshlrev_b32_e32 v10, 29, v27
	v_xor_b32_e32 v2, s27, v2
	v_and_b32_e32 v1, v1, v3
	v_cmp_gt_i64_e64 s[26:27], 0, v[9:10]
	v_not_b32_e32 v3, v10
	v_and_b32_e32 v2, exec_hi, v2
	v_ashrrev_i32_e32 v3, 31, v3
	v_and_b32_e32 v2, v2, v4
	v_xor_b32_e32 v4, s27, v3
	v_xor_b32_e32 v3, s26, v3
	v_lshlrev_b32_e32 v10, 28, v27
	v_and_b32_e32 v1, v1, v3
	v_cmp_gt_i64_e64 s[26:27], 0, v[9:10]
	v_not_b32_e32 v3, v10
	v_ashrrev_i32_e32 v3, 31, v3
	v_and_b32_e32 v2, v2, v4
	v_xor_b32_e32 v4, s27, v3
	v_xor_b32_e32 v3, s26, v3
	v_lshlrev_b32_e32 v10, 27, v27
	v_and_b32_e32 v1, v1, v3
	v_cmp_gt_i64_e64 s[26:27], 0, v[9:10]
	v_not_b32_e32 v3, v10
	v_ashrrev_i32_e32 v3, 31, v3
	v_and_b32_e32 v2, v2, v4
	v_xor_b32_e32 v4, s27, v3
	v_xor_b32_e32 v3, s26, v3
	v_lshlrev_b32_e32 v10, 26, v27
	v_and_b32_e32 v1, v1, v3
	v_cmp_gt_i64_e64 s[26:27], 0, v[9:10]
	v_not_b32_e32 v3, v10
	v_ashrrev_i32_e32 v3, 31, v3
	v_and_b32_e32 v2, v2, v4
	v_xor_b32_e32 v4, s27, v3
	v_xor_b32_e32 v3, s26, v3
	v_lshlrev_b32_e32 v10, 25, v27
	v_and_b32_e32 v1, v1, v3
	v_cmp_gt_i64_e64 s[26:27], 0, v[9:10]
	v_not_b32_e32 v3, v10
	v_ashrrev_i32_e32 v3, 31, v3
	v_and_b32_e32 v2, v2, v4
	v_xor_b32_e32 v4, s27, v3
	v_xor_b32_e32 v3, s26, v3
	v_lshlrev_b32_e32 v10, 24, v27
	v_and_b32_e32 v1, v1, v3
	v_cmp_gt_i64_e64 s[26:27], 0, v[9:10]
	v_not_b32_e32 v3, v10
	v_ashrrev_i32_e32 v3, 31, v3
	v_and_b32_e32 v2, v2, v4
	v_xor_b32_e32 v4, s27, v3
	v_xor_b32_e32 v3, s26, v3
	v_and_b32_e32 v1, v1, v3
	v_and_b32_e32 v2, v2, v4
	v_mbcnt_lo_u32_b32 v3, v1, 0
	v_mbcnt_hi_u32_b32 v28, v2, v3
	v_cmp_ne_u64_e64 s[26:27], 0, v[1:2]
	v_cmp_eq_u32_e64 s[28:29], 0, v28
	v_lshlrev_b32_sdwa v3, v19, v27 dst_sel:DWORD dst_unused:UNUSED_PAD src0_sel:DWORD src1_sel:BYTE_0
	s_and_b64 s[28:29], s[26:27], s[28:29]
	v_add_u32_e32 v29, v13, v3
	; wave barrier
	; wave barrier
	s_waitcnt lgkmcnt(0)
	s_barrier
	ds_write2_b64 v12, v[5:6], v[7:8] offset0:4 offset1:5
	s_waitcnt lgkmcnt(0)
	s_barrier
	; wave barrier
	s_and_saveexec_b64 s[26:27], s[28:29]
; %bb.3:                                ;   in Loop: Header=BB286_2 Depth=1
	v_bcnt_u32_b32 v1, v1, 0
	v_bcnt_u32_b32 v1, v2, v1
	ds_write_b32 v29, v1 offset:32
; %bb.4:                                ;   in Loop: Header=BB286_2 Depth=1
	s_or_b64 exec, exec, s[26:27]
	v_lshlrev_b32_sdwa v1, v19, v26 dst_sel:DWORD dst_unused:UNUSED_PAD src0_sel:DWORD src1_sel:BYTE_0
	v_add_u32_e32 v31, v13, v1
	v_and_b32_e32 v1, 1, v26
	v_add_co_u32_e64 v2, s[26:27], -1, v1
	v_addc_co_u32_e64 v3, s[26:27], 0, -1, s[26:27]
	v_cmp_ne_u32_e64 s[26:27], 0, v1
	v_lshlrev_b32_e32 v10, 30, v26
	v_xor_b32_e32 v1, s27, v3
	v_xor_b32_e32 v2, s26, v2
	v_cmp_gt_i64_e64 s[26:27], 0, v[9:10]
	v_not_b32_e32 v3, v10
	v_ashrrev_i32_e32 v3, 31, v3
	v_and_b32_e32 v2, exec_lo, v2
	v_xor_b32_e32 v4, s27, v3
	v_xor_b32_e32 v3, s26, v3
	v_lshlrev_b32_e32 v10, 29, v26
	v_and_b32_e32 v2, v2, v3
	v_cmp_gt_i64_e64 s[26:27], 0, v[9:10]
	v_not_b32_e32 v3, v10
	v_and_b32_e32 v1, exec_hi, v1
	v_ashrrev_i32_e32 v3, 31, v3
	v_and_b32_e32 v1, v1, v4
	v_xor_b32_e32 v4, s27, v3
	v_xor_b32_e32 v3, s26, v3
	v_lshlrev_b32_e32 v10, 28, v26
	v_and_b32_e32 v2, v2, v3
	v_cmp_gt_i64_e64 s[26:27], 0, v[9:10]
	v_not_b32_e32 v3, v10
	v_ashrrev_i32_e32 v3, 31, v3
	v_and_b32_e32 v1, v1, v4
	v_xor_b32_e32 v4, s27, v3
	v_xor_b32_e32 v3, s26, v3
	v_lshlrev_b32_e32 v10, 27, v26
	v_and_b32_e32 v2, v2, v3
	v_cmp_gt_i64_e64 s[26:27], 0, v[9:10]
	v_not_b32_e32 v3, v10
	;; [unrolled: 8-line block ×5, first 2 shown]
	v_ashrrev_i32_e32 v2, 31, v2
	v_and_b32_e32 v1, v1, v4
	v_xor_b32_e32 v4, s27, v2
	v_xor_b32_e32 v10, s26, v2
	; wave barrier
	ds_read_b32 v30, v31 offset:32
	v_and_b32_e32 v2, v1, v4
	v_and_b32_e32 v1, v3, v10
	v_mbcnt_lo_u32_b32 v3, v1, 0
	v_mbcnt_hi_u32_b32 v32, v2, v3
	v_cmp_ne_u64_e64 s[26:27], 0, v[1:2]
	v_cmp_eq_u32_e64 s[28:29], 0, v32
	s_and_b64 s[28:29], s[26:27], s[28:29]
	; wave barrier
	s_and_saveexec_b64 s[26:27], s[28:29]
	s_cbranch_execz .LBB286_6
; %bb.5:                                ;   in Loop: Header=BB286_2 Depth=1
	v_bcnt_u32_b32 v1, v1, 0
	v_bcnt_u32_b32 v1, v2, v1
	s_waitcnt lgkmcnt(0)
	v_add_u32_e32 v1, v30, v1
	ds_write_b32 v31, v1 offset:32
.LBB286_6:                              ;   in Loop: Header=BB286_2 Depth=1
	s_or_b64 exec, exec, s[26:27]
	v_lshlrev_b32_sdwa v1, v19, v25 dst_sel:DWORD dst_unused:UNUSED_PAD src0_sel:DWORD src1_sel:BYTE_0
	v_add_u32_e32 v34, v13, v1
	v_and_b32_e32 v1, 1, v25
	v_add_co_u32_e64 v2, s[26:27], -1, v1
	v_addc_co_u32_e64 v3, s[26:27], 0, -1, s[26:27]
	v_cmp_ne_u32_e64 s[26:27], 0, v1
	v_lshlrev_b32_e32 v10, 30, v25
	v_xor_b32_e32 v1, s27, v3
	v_xor_b32_e32 v2, s26, v2
	v_cmp_gt_i64_e64 s[26:27], 0, v[9:10]
	v_not_b32_e32 v3, v10
	v_ashrrev_i32_e32 v3, 31, v3
	v_and_b32_e32 v2, exec_lo, v2
	v_xor_b32_e32 v4, s27, v3
	v_xor_b32_e32 v3, s26, v3
	v_lshlrev_b32_e32 v10, 29, v25
	v_and_b32_e32 v2, v2, v3
	v_cmp_gt_i64_e64 s[26:27], 0, v[9:10]
	v_not_b32_e32 v3, v10
	v_and_b32_e32 v1, exec_hi, v1
	v_ashrrev_i32_e32 v3, 31, v3
	v_and_b32_e32 v1, v1, v4
	v_xor_b32_e32 v4, s27, v3
	v_xor_b32_e32 v3, s26, v3
	v_lshlrev_b32_e32 v10, 28, v25
	v_and_b32_e32 v2, v2, v3
	v_cmp_gt_i64_e64 s[26:27], 0, v[9:10]
	v_not_b32_e32 v3, v10
	v_ashrrev_i32_e32 v3, 31, v3
	v_and_b32_e32 v1, v1, v4
	v_xor_b32_e32 v4, s27, v3
	v_xor_b32_e32 v3, s26, v3
	v_lshlrev_b32_e32 v10, 27, v25
	v_and_b32_e32 v2, v2, v3
	v_cmp_gt_i64_e64 s[26:27], 0, v[9:10]
	v_not_b32_e32 v3, v10
	;; [unrolled: 8-line block ×5, first 2 shown]
	v_ashrrev_i32_e32 v2, 31, v2
	v_and_b32_e32 v1, v1, v4
	v_xor_b32_e32 v4, s27, v2
	v_xor_b32_e32 v10, s26, v2
	; wave barrier
	ds_read_b32 v33, v34 offset:32
	v_and_b32_e32 v2, v1, v4
	v_and_b32_e32 v1, v3, v10
	v_mbcnt_lo_u32_b32 v3, v1, 0
	v_mbcnt_hi_u32_b32 v35, v2, v3
	v_cmp_ne_u64_e64 s[26:27], 0, v[1:2]
	v_cmp_eq_u32_e64 s[28:29], 0, v35
	s_and_b64 s[28:29], s[26:27], s[28:29]
	; wave barrier
	s_and_saveexec_b64 s[26:27], s[28:29]
	s_cbranch_execz .LBB286_8
; %bb.7:                                ;   in Loop: Header=BB286_2 Depth=1
	v_bcnt_u32_b32 v1, v1, 0
	v_bcnt_u32_b32 v1, v2, v1
	s_waitcnt lgkmcnt(0)
	v_add_u32_e32 v1, v33, v1
	ds_write_b32 v34, v1 offset:32
.LBB286_8:                              ;   in Loop: Header=BB286_2 Depth=1
	s_or_b64 exec, exec, s[26:27]
	v_lshlrev_b32_sdwa v1, v19, v24 dst_sel:DWORD dst_unused:UNUSED_PAD src0_sel:DWORD src1_sel:BYTE_0
	v_add_u32_e32 v37, v13, v1
	v_and_b32_e32 v1, 1, v24
	v_add_co_u32_e64 v2, s[26:27], -1, v1
	v_addc_co_u32_e64 v3, s[26:27], 0, -1, s[26:27]
	v_cmp_ne_u32_e64 s[26:27], 0, v1
	v_lshlrev_b32_e32 v10, 30, v24
	v_xor_b32_e32 v1, s27, v3
	v_xor_b32_e32 v2, s26, v2
	v_cmp_gt_i64_e64 s[26:27], 0, v[9:10]
	v_not_b32_e32 v3, v10
	v_ashrrev_i32_e32 v3, 31, v3
	v_and_b32_e32 v2, exec_lo, v2
	v_xor_b32_e32 v4, s27, v3
	v_xor_b32_e32 v3, s26, v3
	v_lshlrev_b32_e32 v10, 29, v24
	v_and_b32_e32 v2, v2, v3
	v_cmp_gt_i64_e64 s[26:27], 0, v[9:10]
	v_not_b32_e32 v3, v10
	v_and_b32_e32 v1, exec_hi, v1
	v_ashrrev_i32_e32 v3, 31, v3
	v_and_b32_e32 v1, v1, v4
	v_xor_b32_e32 v4, s27, v3
	v_xor_b32_e32 v3, s26, v3
	v_lshlrev_b32_e32 v10, 28, v24
	v_and_b32_e32 v2, v2, v3
	v_cmp_gt_i64_e64 s[26:27], 0, v[9:10]
	v_not_b32_e32 v3, v10
	v_ashrrev_i32_e32 v3, 31, v3
	v_and_b32_e32 v1, v1, v4
	v_xor_b32_e32 v4, s27, v3
	v_xor_b32_e32 v3, s26, v3
	v_lshlrev_b32_e32 v10, 27, v24
	v_and_b32_e32 v2, v2, v3
	v_cmp_gt_i64_e64 s[26:27], 0, v[9:10]
	v_not_b32_e32 v3, v10
	;; [unrolled: 8-line block ×5, first 2 shown]
	v_ashrrev_i32_e32 v2, 31, v2
	v_and_b32_e32 v1, v1, v4
	v_xor_b32_e32 v4, s27, v2
	v_xor_b32_e32 v10, s26, v2
	; wave barrier
	ds_read_b32 v36, v37 offset:32
	v_and_b32_e32 v2, v1, v4
	v_and_b32_e32 v1, v3, v10
	v_mbcnt_lo_u32_b32 v3, v1, 0
	v_mbcnt_hi_u32_b32 v38, v2, v3
	v_cmp_ne_u64_e64 s[26:27], 0, v[1:2]
	v_cmp_eq_u32_e64 s[28:29], 0, v38
	s_and_b64 s[28:29], s[26:27], s[28:29]
	; wave barrier
	s_and_saveexec_b64 s[26:27], s[28:29]
	s_cbranch_execz .LBB286_10
; %bb.9:                                ;   in Loop: Header=BB286_2 Depth=1
	v_bcnt_u32_b32 v1, v1, 0
	v_bcnt_u32_b32 v1, v2, v1
	s_waitcnt lgkmcnt(0)
	v_add_u32_e32 v1, v36, v1
	ds_write_b32 v37, v1 offset:32
.LBB286_10:                             ;   in Loop: Header=BB286_2 Depth=1
	s_or_b64 exec, exec, s[26:27]
	v_lshlrev_b32_sdwa v1, v19, v23 dst_sel:DWORD dst_unused:UNUSED_PAD src0_sel:DWORD src1_sel:BYTE_0
	v_add_u32_e32 v40, v13, v1
	v_and_b32_e32 v1, 1, v23
	v_add_co_u32_e64 v2, s[26:27], -1, v1
	v_addc_co_u32_e64 v3, s[26:27], 0, -1, s[26:27]
	v_cmp_ne_u32_e64 s[26:27], 0, v1
	v_lshlrev_b32_e32 v10, 30, v23
	v_xor_b32_e32 v1, s27, v3
	v_xor_b32_e32 v2, s26, v2
	v_cmp_gt_i64_e64 s[26:27], 0, v[9:10]
	v_not_b32_e32 v3, v10
	v_ashrrev_i32_e32 v3, 31, v3
	v_and_b32_e32 v2, exec_lo, v2
	v_xor_b32_e32 v4, s27, v3
	v_xor_b32_e32 v3, s26, v3
	v_lshlrev_b32_e32 v10, 29, v23
	v_and_b32_e32 v2, v2, v3
	v_cmp_gt_i64_e64 s[26:27], 0, v[9:10]
	v_not_b32_e32 v3, v10
	v_and_b32_e32 v1, exec_hi, v1
	v_ashrrev_i32_e32 v3, 31, v3
	v_and_b32_e32 v1, v1, v4
	v_xor_b32_e32 v4, s27, v3
	v_xor_b32_e32 v3, s26, v3
	v_lshlrev_b32_e32 v10, 28, v23
	v_and_b32_e32 v2, v2, v3
	v_cmp_gt_i64_e64 s[26:27], 0, v[9:10]
	v_not_b32_e32 v3, v10
	v_ashrrev_i32_e32 v3, 31, v3
	v_and_b32_e32 v1, v1, v4
	v_xor_b32_e32 v4, s27, v3
	v_xor_b32_e32 v3, s26, v3
	v_lshlrev_b32_e32 v10, 27, v23
	v_and_b32_e32 v2, v2, v3
	v_cmp_gt_i64_e64 s[26:27], 0, v[9:10]
	v_not_b32_e32 v3, v10
	;; [unrolled: 8-line block ×5, first 2 shown]
	v_ashrrev_i32_e32 v2, 31, v2
	v_and_b32_e32 v1, v1, v4
	v_xor_b32_e32 v4, s27, v2
	v_xor_b32_e32 v10, s26, v2
	; wave barrier
	ds_read_b32 v39, v40 offset:32
	v_and_b32_e32 v2, v1, v4
	v_and_b32_e32 v1, v3, v10
	v_mbcnt_lo_u32_b32 v3, v1, 0
	v_mbcnt_hi_u32_b32 v41, v2, v3
	v_cmp_ne_u64_e64 s[26:27], 0, v[1:2]
	v_cmp_eq_u32_e64 s[28:29], 0, v41
	s_and_b64 s[28:29], s[26:27], s[28:29]
	; wave barrier
	s_and_saveexec_b64 s[26:27], s[28:29]
	s_cbranch_execz .LBB286_12
; %bb.11:                               ;   in Loop: Header=BB286_2 Depth=1
	v_bcnt_u32_b32 v1, v1, 0
	v_bcnt_u32_b32 v1, v2, v1
	s_waitcnt lgkmcnt(0)
	v_add_u32_e32 v1, v39, v1
	ds_write_b32 v40, v1 offset:32
.LBB286_12:                             ;   in Loop: Header=BB286_2 Depth=1
	s_or_b64 exec, exec, s[26:27]
	v_lshlrev_b32_sdwa v1, v19, v22 dst_sel:DWORD dst_unused:UNUSED_PAD src0_sel:DWORD src1_sel:BYTE_0
	v_add_u32_e32 v43, v13, v1
	v_and_b32_e32 v1, 1, v22
	v_add_co_u32_e64 v2, s[26:27], -1, v1
	v_addc_co_u32_e64 v3, s[26:27], 0, -1, s[26:27]
	v_cmp_ne_u32_e64 s[26:27], 0, v1
	v_lshlrev_b32_e32 v10, 30, v22
	v_xor_b32_e32 v1, s27, v3
	v_xor_b32_e32 v2, s26, v2
	v_cmp_gt_i64_e64 s[26:27], 0, v[9:10]
	v_not_b32_e32 v3, v10
	v_ashrrev_i32_e32 v3, 31, v3
	v_and_b32_e32 v2, exec_lo, v2
	v_xor_b32_e32 v4, s27, v3
	v_xor_b32_e32 v3, s26, v3
	v_lshlrev_b32_e32 v10, 29, v22
	v_and_b32_e32 v2, v2, v3
	v_cmp_gt_i64_e64 s[26:27], 0, v[9:10]
	v_not_b32_e32 v3, v10
	v_and_b32_e32 v1, exec_hi, v1
	v_ashrrev_i32_e32 v3, 31, v3
	v_and_b32_e32 v1, v1, v4
	v_xor_b32_e32 v4, s27, v3
	v_xor_b32_e32 v3, s26, v3
	v_lshlrev_b32_e32 v10, 28, v22
	v_and_b32_e32 v2, v2, v3
	v_cmp_gt_i64_e64 s[26:27], 0, v[9:10]
	v_not_b32_e32 v3, v10
	v_ashrrev_i32_e32 v3, 31, v3
	v_and_b32_e32 v1, v1, v4
	v_xor_b32_e32 v4, s27, v3
	v_xor_b32_e32 v3, s26, v3
	v_lshlrev_b32_e32 v10, 27, v22
	v_and_b32_e32 v2, v2, v3
	v_cmp_gt_i64_e64 s[26:27], 0, v[9:10]
	v_not_b32_e32 v3, v10
	;; [unrolled: 8-line block ×5, first 2 shown]
	v_ashrrev_i32_e32 v2, 31, v2
	v_and_b32_e32 v1, v1, v4
	v_xor_b32_e32 v4, s27, v2
	v_xor_b32_e32 v10, s26, v2
	; wave barrier
	ds_read_b32 v42, v43 offset:32
	v_and_b32_e32 v2, v1, v4
	v_and_b32_e32 v1, v3, v10
	v_mbcnt_lo_u32_b32 v3, v1, 0
	v_mbcnt_hi_u32_b32 v44, v2, v3
	v_cmp_ne_u64_e64 s[26:27], 0, v[1:2]
	v_cmp_eq_u32_e64 s[28:29], 0, v44
	s_and_b64 s[28:29], s[26:27], s[28:29]
	; wave barrier
	s_and_saveexec_b64 s[26:27], s[28:29]
	s_cbranch_execz .LBB286_14
; %bb.13:                               ;   in Loop: Header=BB286_2 Depth=1
	v_bcnt_u32_b32 v1, v1, 0
	v_bcnt_u32_b32 v1, v2, v1
	s_waitcnt lgkmcnt(0)
	v_add_u32_e32 v1, v42, v1
	ds_write_b32 v43, v1 offset:32
.LBB286_14:                             ;   in Loop: Header=BB286_2 Depth=1
	s_or_b64 exec, exec, s[26:27]
	v_lshlrev_b32_sdwa v1, v19, v21 dst_sel:DWORD dst_unused:UNUSED_PAD src0_sel:DWORD src1_sel:BYTE_0
	v_add_u32_e32 v46, v13, v1
	v_and_b32_e32 v1, 1, v21
	v_add_co_u32_e64 v2, s[26:27], -1, v1
	v_addc_co_u32_e64 v3, s[26:27], 0, -1, s[26:27]
	v_cmp_ne_u32_e64 s[26:27], 0, v1
	v_lshlrev_b32_e32 v10, 30, v21
	v_xor_b32_e32 v1, s27, v3
	v_xor_b32_e32 v2, s26, v2
	v_cmp_gt_i64_e64 s[26:27], 0, v[9:10]
	v_not_b32_e32 v3, v10
	v_ashrrev_i32_e32 v3, 31, v3
	v_and_b32_e32 v2, exec_lo, v2
	v_xor_b32_e32 v4, s27, v3
	v_xor_b32_e32 v3, s26, v3
	v_lshlrev_b32_e32 v10, 29, v21
	v_and_b32_e32 v2, v2, v3
	v_cmp_gt_i64_e64 s[26:27], 0, v[9:10]
	v_not_b32_e32 v3, v10
	v_and_b32_e32 v1, exec_hi, v1
	v_ashrrev_i32_e32 v3, 31, v3
	v_and_b32_e32 v1, v1, v4
	v_xor_b32_e32 v4, s27, v3
	v_xor_b32_e32 v3, s26, v3
	v_lshlrev_b32_e32 v10, 28, v21
	v_and_b32_e32 v2, v2, v3
	v_cmp_gt_i64_e64 s[26:27], 0, v[9:10]
	v_not_b32_e32 v3, v10
	v_ashrrev_i32_e32 v3, 31, v3
	v_and_b32_e32 v1, v1, v4
	v_xor_b32_e32 v4, s27, v3
	v_xor_b32_e32 v3, s26, v3
	v_lshlrev_b32_e32 v10, 27, v21
	v_and_b32_e32 v2, v2, v3
	v_cmp_gt_i64_e64 s[26:27], 0, v[9:10]
	v_not_b32_e32 v3, v10
	;; [unrolled: 8-line block ×5, first 2 shown]
	v_ashrrev_i32_e32 v2, 31, v2
	v_and_b32_e32 v1, v1, v4
	v_xor_b32_e32 v4, s27, v2
	v_xor_b32_e32 v10, s26, v2
	; wave barrier
	ds_read_b32 v45, v46 offset:32
	v_and_b32_e32 v2, v1, v4
	v_and_b32_e32 v1, v3, v10
	v_mbcnt_lo_u32_b32 v3, v1, 0
	v_mbcnt_hi_u32_b32 v47, v2, v3
	v_cmp_ne_u64_e64 s[26:27], 0, v[1:2]
	v_cmp_eq_u32_e64 s[28:29], 0, v47
	s_and_b64 s[28:29], s[26:27], s[28:29]
	; wave barrier
	s_and_saveexec_b64 s[26:27], s[28:29]
	s_cbranch_execz .LBB286_16
; %bb.15:                               ;   in Loop: Header=BB286_2 Depth=1
	v_bcnt_u32_b32 v1, v1, 0
	v_bcnt_u32_b32 v1, v2, v1
	s_waitcnt lgkmcnt(0)
	v_add_u32_e32 v1, v45, v1
	ds_write_b32 v46, v1 offset:32
.LBB286_16:                             ;   in Loop: Header=BB286_2 Depth=1
	s_or_b64 exec, exec, s[26:27]
	v_lshlrev_b32_sdwa v1, v19, v20 dst_sel:DWORD dst_unused:UNUSED_PAD src0_sel:DWORD src1_sel:BYTE_0
	v_add_u32_e32 v49, v13, v1
	v_and_b32_e32 v1, 1, v20
	v_add_co_u32_e64 v2, s[26:27], -1, v1
	v_addc_co_u32_e64 v3, s[26:27], 0, -1, s[26:27]
	v_cmp_ne_u32_e64 s[26:27], 0, v1
	v_lshlrev_b32_e32 v10, 30, v20
	v_xor_b32_e32 v1, s27, v3
	v_xor_b32_e32 v2, s26, v2
	v_cmp_gt_i64_e64 s[26:27], 0, v[9:10]
	v_not_b32_e32 v3, v10
	v_ashrrev_i32_e32 v3, 31, v3
	v_and_b32_e32 v2, exec_lo, v2
	v_xor_b32_e32 v4, s27, v3
	v_xor_b32_e32 v3, s26, v3
	v_lshlrev_b32_e32 v10, 29, v20
	v_and_b32_e32 v2, v2, v3
	v_cmp_gt_i64_e64 s[26:27], 0, v[9:10]
	v_not_b32_e32 v3, v10
	v_and_b32_e32 v1, exec_hi, v1
	v_ashrrev_i32_e32 v3, 31, v3
	v_and_b32_e32 v1, v1, v4
	v_xor_b32_e32 v4, s27, v3
	v_xor_b32_e32 v3, s26, v3
	v_lshlrev_b32_e32 v10, 28, v20
	v_and_b32_e32 v2, v2, v3
	v_cmp_gt_i64_e64 s[26:27], 0, v[9:10]
	v_not_b32_e32 v3, v10
	v_ashrrev_i32_e32 v3, 31, v3
	v_and_b32_e32 v1, v1, v4
	v_xor_b32_e32 v4, s27, v3
	v_xor_b32_e32 v3, s26, v3
	v_lshlrev_b32_e32 v10, 27, v20
	v_and_b32_e32 v2, v2, v3
	v_cmp_gt_i64_e64 s[26:27], 0, v[9:10]
	v_not_b32_e32 v3, v10
	;; [unrolled: 8-line block ×5, first 2 shown]
	v_ashrrev_i32_e32 v2, 31, v2
	v_and_b32_e32 v1, v1, v4
	v_xor_b32_e32 v4, s27, v2
	v_xor_b32_e32 v10, s26, v2
	; wave barrier
	ds_read_b32 v48, v49 offset:32
	v_and_b32_e32 v2, v1, v4
	v_and_b32_e32 v1, v3, v10
	v_mbcnt_lo_u32_b32 v3, v1, 0
	v_mbcnt_hi_u32_b32 v10, v2, v3
	v_cmp_ne_u64_e64 s[26:27], 0, v[1:2]
	v_cmp_eq_u32_e64 s[28:29], 0, v10
	s_and_b64 s[28:29], s[26:27], s[28:29]
	; wave barrier
	s_and_saveexec_b64 s[26:27], s[28:29]
	s_cbranch_execz .LBB286_18
; %bb.17:                               ;   in Loop: Header=BB286_2 Depth=1
	v_bcnt_u32_b32 v1, v1, 0
	v_bcnt_u32_b32 v1, v2, v1
	s_waitcnt lgkmcnt(0)
	v_add_u32_e32 v1, v48, v1
	ds_write_b32 v49, v1 offset:32
.LBB286_18:                             ;   in Loop: Header=BB286_2 Depth=1
	s_or_b64 exec, exec, s[26:27]
	; wave barrier
	s_waitcnt lgkmcnt(0)
	s_barrier
	ds_read2_b64 v[1:4], v12 offset0:4 offset1:5
	s_waitcnt lgkmcnt(0)
	v_add_u32_e32 v50, v2, v1
	v_add3_u32 v4, v50, v3, v4
	s_nop 1
	v_mov_b32_dpp v50, v4 row_shr:1 row_mask:0xf bank_mask:0xf
	v_cndmask_b32_e64 v50, v50, 0, vcc
	v_add_u32_e32 v4, v50, v4
	s_nop 1
	v_mov_b32_dpp v50, v4 row_shr:2 row_mask:0xf bank_mask:0xf
	v_cndmask_b32_e64 v50, 0, v50, s[0:1]
	v_add_u32_e32 v4, v4, v50
	s_nop 1
	v_mov_b32_dpp v50, v4 row_shr:4 row_mask:0xf bank_mask:0xf
	v_cndmask_b32_e64 v50, 0, v50, s[2:3]
	;; [unrolled: 4-line block ×3, first 2 shown]
	v_add_u32_e32 v4, v4, v50
	s_nop 1
	v_mov_b32_dpp v50, v4 row_bcast:15 row_mask:0xf bank_mask:0xf
	v_cndmask_b32_e64 v50, v50, 0, s[6:7]
	v_add_u32_e32 v4, v4, v50
	s_nop 1
	v_mov_b32_dpp v50, v4 row_bcast:31 row_mask:0xf bank_mask:0xf
	v_cndmask_b32_e64 v50, 0, v50, s[8:9]
	v_add_u32_e32 v4, v4, v50
	s_and_saveexec_b64 s[26:27], s[10:11]
; %bb.19:                               ;   in Loop: Header=BB286_2 Depth=1
	ds_write_b32 v15, v4
; %bb.20:                               ;   in Loop: Header=BB286_2 Depth=1
	s_or_b64 exec, exec, s[26:27]
	s_waitcnt lgkmcnt(0)
	s_barrier
	s_and_saveexec_b64 s[26:27], s[12:13]
	s_cbranch_execz .LBB286_22
; %bb.21:                               ;   in Loop: Header=BB286_2 Depth=1
	ds_read_b32 v50, v18
	s_waitcnt lgkmcnt(0)
	s_nop 0
	v_mov_b32_dpp v51, v50 row_shr:1 row_mask:0xf bank_mask:0xf
	v_cndmask_b32_e64 v51, v51, 0, s[20:21]
	v_add_u32_e32 v50, v51, v50
	s_nop 1
	v_mov_b32_dpp v51, v50 row_shr:2 row_mask:0xf bank_mask:0xf
	v_cndmask_b32_e64 v51, 0, v51, s[22:23]
	v_add_u32_e32 v50, v50, v51
	s_nop 1
	v_mov_b32_dpp v51, v50 row_shr:4 row_mask:0xf bank_mask:0xf
	v_cndmask_b32_e64 v51, 0, v51, s[24:25]
	v_add_u32_e32 v50, v50, v51
	ds_write_b32 v18, v50
.LBB286_22:                             ;   in Loop: Header=BB286_2 Depth=1
	s_or_b64 exec, exec, s[26:27]
	v_mov_b32_e32 v50, 0
	s_waitcnt lgkmcnt(0)
	s_barrier
	s_and_saveexec_b64 s[26:27], s[14:15]
	s_cbranch_execz .LBB286_1
; %bb.23:                               ;   in Loop: Header=BB286_2 Depth=1
	ds_read_b32 v50, v16
	s_branch .LBB286_1
.LBB286_24:
	s_add_u32 s0, s30, s33
	s_addc_u32 s1, s31, 0
	global_store_byte v0, v1, s[0:1]
	global_store_byte v0, v2, s[0:1] offset:512
	global_store_byte v0, v10, s[0:1] offset:1024
	;; [unrolled: 1-line block ×7, first 2 shown]
	s_endpgm
	.section	.rodata,"a",@progbits
	.p2align	6, 0x0
	.amdhsa_kernel _Z16sort_keys_kernelI22helper_blocked_stripedaLj512ELj8ELj10EEvPKT0_PS1_
		.amdhsa_group_segment_fixed_size 8224
		.amdhsa_private_segment_fixed_size 0
		.amdhsa_kernarg_size 272
		.amdhsa_user_sgpr_count 6
		.amdhsa_user_sgpr_private_segment_buffer 1
		.amdhsa_user_sgpr_dispatch_ptr 0
		.amdhsa_user_sgpr_queue_ptr 0
		.amdhsa_user_sgpr_kernarg_segment_ptr 1
		.amdhsa_user_sgpr_dispatch_id 0
		.amdhsa_user_sgpr_flat_scratch_init 0
		.amdhsa_user_sgpr_private_segment_size 0
		.amdhsa_uses_dynamic_stack 0
		.amdhsa_system_sgpr_private_segment_wavefront_offset 0
		.amdhsa_system_sgpr_workgroup_id_x 1
		.amdhsa_system_sgpr_workgroup_id_y 0
		.amdhsa_system_sgpr_workgroup_id_z 0
		.amdhsa_system_sgpr_workgroup_info 0
		.amdhsa_system_vgpr_workitem_id 2
		.amdhsa_next_free_vgpr 52
		.amdhsa_next_free_sgpr 38
		.amdhsa_reserve_vcc 1
		.amdhsa_reserve_flat_scratch 0
		.amdhsa_float_round_mode_32 0
		.amdhsa_float_round_mode_16_64 0
		.amdhsa_float_denorm_mode_32 3
		.amdhsa_float_denorm_mode_16_64 3
		.amdhsa_dx10_clamp 1
		.amdhsa_ieee_mode 1
		.amdhsa_fp16_overflow 0
		.amdhsa_exception_fp_ieee_invalid_op 0
		.amdhsa_exception_fp_denorm_src 0
		.amdhsa_exception_fp_ieee_div_zero 0
		.amdhsa_exception_fp_ieee_overflow 0
		.amdhsa_exception_fp_ieee_underflow 0
		.amdhsa_exception_fp_ieee_inexact 0
		.amdhsa_exception_int_div_zero 0
	.end_amdhsa_kernel
	.section	.text._Z16sort_keys_kernelI22helper_blocked_stripedaLj512ELj8ELj10EEvPKT0_PS1_,"axG",@progbits,_Z16sort_keys_kernelI22helper_blocked_stripedaLj512ELj8ELj10EEvPKT0_PS1_,comdat
.Lfunc_end286:
	.size	_Z16sort_keys_kernelI22helper_blocked_stripedaLj512ELj8ELj10EEvPKT0_PS1_, .Lfunc_end286-_Z16sort_keys_kernelI22helper_blocked_stripedaLj512ELj8ELj10EEvPKT0_PS1_
                                        ; -- End function
	.set _Z16sort_keys_kernelI22helper_blocked_stripedaLj512ELj8ELj10EEvPKT0_PS1_.num_vgpr, 52
	.set _Z16sort_keys_kernelI22helper_blocked_stripedaLj512ELj8ELj10EEvPKT0_PS1_.num_agpr, 0
	.set _Z16sort_keys_kernelI22helper_blocked_stripedaLj512ELj8ELj10EEvPKT0_PS1_.numbered_sgpr, 38
	.set _Z16sort_keys_kernelI22helper_blocked_stripedaLj512ELj8ELj10EEvPKT0_PS1_.num_named_barrier, 0
	.set _Z16sort_keys_kernelI22helper_blocked_stripedaLj512ELj8ELj10EEvPKT0_PS1_.private_seg_size, 0
	.set _Z16sort_keys_kernelI22helper_blocked_stripedaLj512ELj8ELj10EEvPKT0_PS1_.uses_vcc, 1
	.set _Z16sort_keys_kernelI22helper_blocked_stripedaLj512ELj8ELj10EEvPKT0_PS1_.uses_flat_scratch, 0
	.set _Z16sort_keys_kernelI22helper_blocked_stripedaLj512ELj8ELj10EEvPKT0_PS1_.has_dyn_sized_stack, 0
	.set _Z16sort_keys_kernelI22helper_blocked_stripedaLj512ELj8ELj10EEvPKT0_PS1_.has_recursion, 0
	.set _Z16sort_keys_kernelI22helper_blocked_stripedaLj512ELj8ELj10EEvPKT0_PS1_.has_indirect_call, 0
	.section	.AMDGPU.csdata,"",@progbits
; Kernel info:
; codeLenInByte = 4656
; TotalNumSgprs: 42
; NumVgprs: 52
; ScratchSize: 0
; MemoryBound: 0
; FloatMode: 240
; IeeeMode: 1
; LDSByteSize: 8224 bytes/workgroup (compile time only)
; SGPRBlocks: 5
; VGPRBlocks: 12
; NumSGPRsForWavesPerEU: 42
; NumVGPRsForWavesPerEU: 52
; Occupancy: 4
; WaveLimiterHint : 1
; COMPUTE_PGM_RSRC2:SCRATCH_EN: 0
; COMPUTE_PGM_RSRC2:USER_SGPR: 6
; COMPUTE_PGM_RSRC2:TRAP_HANDLER: 0
; COMPUTE_PGM_RSRC2:TGID_X_EN: 1
; COMPUTE_PGM_RSRC2:TGID_Y_EN: 0
; COMPUTE_PGM_RSRC2:TGID_Z_EN: 0
; COMPUTE_PGM_RSRC2:TIDIG_COMP_CNT: 2
	.section	.text._Z17sort_pairs_kernelI22helper_blocked_stripedaLj512ELj8ELj10EEvPKT0_PS1_,"axG",@progbits,_Z17sort_pairs_kernelI22helper_blocked_stripedaLj512ELj8ELj10EEvPKT0_PS1_,comdat
	.protected	_Z17sort_pairs_kernelI22helper_blocked_stripedaLj512ELj8ELj10EEvPKT0_PS1_ ; -- Begin function _Z17sort_pairs_kernelI22helper_blocked_stripedaLj512ELj8ELj10EEvPKT0_PS1_
	.globl	_Z17sort_pairs_kernelI22helper_blocked_stripedaLj512ELj8ELj10EEvPKT0_PS1_
	.p2align	8
	.type	_Z17sort_pairs_kernelI22helper_blocked_stripedaLj512ELj8ELj10EEvPKT0_PS1_,@function
_Z17sort_pairs_kernelI22helper_blocked_stripedaLj512ELj8ELj10EEvPKT0_PS1_: ; @_Z17sort_pairs_kernelI22helper_blocked_stripedaLj512ELj8ELj10EEvPKT0_PS1_
; %bb.0:
	s_load_dwordx4 s[28:31], s[4:5], 0x0
	s_load_dword s26, s[4:5], 0x1c
	s_lshl_b32 s33, s6, 12
	v_lshlrev_b32_e32 v6, 3, v0
	v_mbcnt_lo_u32_b32 v7, -1, 0
	s_waitcnt lgkmcnt(0)
	s_add_u32 s0, s28, s33
	s_addc_u32 s1, s29, 0
	global_load_dwordx2 v[3:4], v6, s[0:1]
	s_lshr_b32 s27, s26, 16
	s_and_b32 s26, s26, 0xffff
	v_mad_u32_u24 v1, v2, s27, v1
	v_mad_u64_u32 v[1:2], s[26:27], v1, s26, v[0:1]
	v_mbcnt_hi_u32_b32 v15, -1, v7
	v_and_b32_e32 v7, 0x1c0, v0
	v_subrev_co_u32_e64 v20, s[6:7], 1, v15
	v_and_b32_e32 v21, 64, v15
	s_movk_i32 s34, 0xff00
	v_mov_b32_e32 v19, 1
	v_and_b32_e32 v6, 0xe00, v6
	v_and_b32_e32 v17, 16, v15
	v_or_b32_e32 v18, 63, v7
	v_and_b32_e32 v22, 7, v15
	v_cmp_lt_i32_e64 s[20:21], v20, v21
	v_lshrrev_b32_e32 v1, 4, v1
	s_mov_b32 s8, 0
	v_add_lshl_u32 v12, v15, v7, 3
	v_and_b32_e32 v16, 15, v15
	v_cmp_lt_u32_e64 s[4:5], 31, v15
	v_cmp_eq_u32_e64 s[16:17], 0, v17
	v_cmp_eq_u32_e64 s[18:19], v0, v18
	v_cndmask_b32_e64 v17, v20, v15, s[20:21]
	v_cmp_eq_u32_e64 s[20:21], 0, v22
	v_cmp_lt_u32_e64 s[22:23], 1, v22
	v_cmp_lt_u32_e64 s[24:25], 3, v22
	v_add_u32_e32 v15, v15, v6
	v_and_b32_e32 v18, 0xffffffc, v1
	s_movk_i32 s28, 0x100
	v_lshrrev_b32_e32 v8, 4, v0
	s_mov_b32 s10, s8
	v_mul_u32_u24_e32 v14, 3, v0
	s_mov_b32 s9, s8
	s_mov_b32 s11, s8
	v_and_b32_e32 v13, 28, v8
	v_mov_b32_e32 v7, s8
	v_mov_b32_e32 v9, s10
	s_mov_b32 s35, 10
	s_movk_i32 s36, 0x80
	s_movk_i32 s37, 0x8000
	v_mov_b32_e32 v5, 0
	s_mov_b32 s38, 0xc0c0004
	v_lshlrev_b32_e32 v11, 4, v0
	v_cmp_gt_u32_e32 vcc, 8, v0
	v_cmp_lt_u32_e64 s[0:1], 63, v0
	v_cmp_eq_u32_e64 s[2:3], 0, v0
	v_mov_b32_e32 v8, s9
	v_mov_b32_e32 v10, s11
	v_add_u32_e32 v14, v0, v14
	v_cmp_eq_u32_e64 s[8:9], 0, v16
	v_cmp_lt_u32_e64 s[10:11], 1, v16
	v_cmp_lt_u32_e64 s[12:13], 3, v16
	;; [unrolled: 1-line block ×3, first 2 shown]
	v_add_u32_e32 v16, -4, v13
	v_lshlrev_b32_e32 v17, 2, v17
	s_waitcnt vmcnt(0)
	v_and_b32_e32 v1, 0xffffff00, v3
	v_add_u16_e32 v2, 1, v3
	v_and_b32_sdwa v6, v3, s34 dst_sel:DWORD dst_unused:UNUSED_PAD src0_sel:WORD_1 src1_sel:DWORD
	v_add_u16_sdwa v20, v3, v19 dst_sel:DWORD dst_unused:UNUSED_PAD src0_sel:WORD_1 src1_sel:DWORD
	v_and_b32_e32 v21, 0xffffff00, v4
	v_add_u16_e32 v22, 1, v4
	v_and_b32_sdwa v23, v4, s34 dst_sel:DWORD dst_unused:UNUSED_PAD src0_sel:WORD_1 src1_sel:DWORD
	v_add_u16_sdwa v19, v4, v19 dst_sel:DWORD dst_unused:UNUSED_PAD src0_sel:WORD_1 src1_sel:DWORD
	v_or_b32_sdwa v1, v1, v2 dst_sel:DWORD dst_unused:UNUSED_PAD src0_sel:DWORD src1_sel:BYTE_0
	v_or_b32_sdwa v2, v6, v20 dst_sel:DWORD dst_unused:UNUSED_PAD src0_sel:DWORD src1_sel:BYTE_0
	;; [unrolled: 1-line block ×4, first 2 shown]
	v_add_u16_e32 v1, 0x100, v1
	v_add_u16_sdwa v2, v2, s28 dst_sel:WORD_1 dst_unused:UNUSED_PAD src0_sel:DWORD src1_sel:DWORD
	v_add_u16_e32 v6, 0x100, v6
	v_add_u16_sdwa v19, v19, s28 dst_sel:WORD_1 dst_unused:UNUSED_PAD src0_sel:DWORD src1_sel:DWORD
	v_or_b32_e32 v1, v1, v2
	v_or_b32_e32 v2, v6, v19
	v_mov_b32_e32 v19, 5
	s_branch .LBB287_2
.LBB287_1:                              ;   in Loop: Header=BB287_2 Depth=1
	s_or_b64 exec, exec, s[26:27]
	s_waitcnt lgkmcnt(0)
	v_add_u32_e32 v4, v58, v4
	ds_bpermute_b32 v4, v17, v4
	s_add_i32 s35, s35, -1
	s_cmp_eq_u32 s35, 0
	s_waitcnt lgkmcnt(0)
	v_cndmask_b32_e64 v4, v4, v58, s[6:7]
	v_cndmask_b32_e64 v58, v4, 0, s[2:3]
	v_add_u32_e32 v59, v58, v1
	v_add_u32_e32 v1, v59, v2
	v_add_u32_e32 v2, v1, v3
	ds_write2_b64 v11, v[58:59], v[1:2] offset0:4 offset1:5
	s_waitcnt lgkmcnt(0)
	s_barrier
	ds_read_b32 v1, v37 offset:32
	ds_read_b32 v2, v39 offset:32
	ds_read_b32 v3, v42 offset:32
	ds_read_b32 v4, v45 offset:32
	ds_read_b32 v37, v48 offset:32
	ds_read_b32 v39, v51 offset:32
	ds_read_b32 v42, v54 offset:32
	ds_read_b32 v45, v57 offset:32
	s_waitcnt lgkmcnt(7)
	v_add_u32_e32 v1, v1, v36
	s_waitcnt lgkmcnt(6)
	v_add3_u32 v2, v40, v38, v2
	s_waitcnt lgkmcnt(5)
	v_add3_u32 v3, v43, v41, v3
	s_waitcnt lgkmcnt(4)
	v_add3_u32 v4, v46, v44, v4
	s_waitcnt lgkmcnt(0)
	s_barrier
	ds_write_b8 v1, v27
	ds_write_b8 v2, v26
	;; [unrolled: 1-line block ×4, first 2 shown]
	v_add3_u32 v24, v49, v47, v37
	ds_write_b8 v24, v23
	v_add3_u32 v23, v52, v50, v39
	ds_write_b8 v23, v22
	v_add3_u32 v22, v55, v53, v42
	v_add3_u32 v6, v6, v56, v45
	ds_write_b8 v22, v21
	ds_write_b8 v6, v20
	s_waitcnt lgkmcnt(0)
	s_barrier
	ds_read_u8 v27, v0
	ds_read_u8 v36, v0 offset:512
	ds_read_u8 v37, v0 offset:1024
	;; [unrolled: 1-line block ×7, first 2 shown]
	s_waitcnt lgkmcnt(0)
	s_barrier
	ds_write_b8 v1, v28
	ds_write_b8 v2, v29
	;; [unrolled: 1-line block ×8, first 2 shown]
	v_xor_b32_e32 v28, 0xffffff80, v36
	v_xor_b32_e32 v30, 0xffffff80, v38
	s_waitcnt lgkmcnt(0)
	s_barrier
	ds_read_u8 v6, v0
	ds_read_u8 v20, v0 offset:512
	ds_read_u8 v21, v0 offset:1024
	;; [unrolled: 1-line block ×7, first 2 shown]
	v_xor_b32_e32 v27, 0xffffff80, v27
	v_xor_b32_e32 v29, 0xffffff80, v37
	v_lshlrev_b16_e32 v1, 8, v28
	v_lshlrev_b16_e32 v2, 8, v30
	v_xor_b32_e32 v32, 0xffffff80, v40
	v_xor_b32_e32 v34, 0xffffff80, v42
	v_or_b32_sdwa v1, v27, v1 dst_sel:DWORD dst_unused:UNUSED_PAD src0_sel:BYTE_0 src1_sel:DWORD
	v_or_b32_sdwa v2, v29, v2 dst_sel:WORD_1 dst_unused:UNUSED_PAD src0_sel:BYTE_0 src1_sel:DWORD
	v_xor_b32_e32 v31, 0xffffff80, v39
	v_xor_b32_e32 v33, 0xffffff80, v41
	v_or_b32_sdwa v3, v1, v2 dst_sel:DWORD dst_unused:UNUSED_PAD src0_sel:WORD_0 src1_sel:DWORD
	v_lshlrev_b16_e32 v1, 8, v32
	v_lshlrev_b16_e32 v2, 8, v34
	v_or_b32_sdwa v1, v31, v1 dst_sel:DWORD dst_unused:UNUSED_PAD src0_sel:BYTE_0 src1_sel:DWORD
	v_or_b32_sdwa v2, v33, v2 dst_sel:WORD_1 dst_unused:UNUSED_PAD src0_sel:BYTE_0 src1_sel:DWORD
	v_or_b32_sdwa v4, v1, v2 dst_sel:DWORD dst_unused:UNUSED_PAD src0_sel:WORD_0 src1_sel:DWORD
	s_waitcnt lgkmcnt(6)
	v_perm_b32 v1, v6, v20, s38
	s_waitcnt lgkmcnt(4)
	v_perm_b32 v2, v21, v22, s38
	v_lshl_or_b32 v1, v2, 16, v1
	s_waitcnt lgkmcnt(2)
	v_perm_b32 v2, v23, v24, s38
	s_waitcnt lgkmcnt(0)
	v_perm_b32 v35, v25, v26, s38
	v_lshl_or_b32 v2, v35, 16, v2
	s_cbranch_scc1 .LBB287_24
.LBB287_2:                              ; =>This Inner Loop Header: Depth=1
	v_and_b32_e32 v6, 0xffffff00, v3
	v_xor_b32_e32 v20, 0x80, v3
	v_or_b32_sdwa v6, v20, v6 dst_sel:DWORD dst_unused:UNUSED_PAD src0_sel:BYTE_0 src1_sel:DWORD
	v_and_b32_sdwa v20, v3, s34 dst_sel:DWORD dst_unused:UNUSED_PAD src0_sel:WORD_1 src1_sel:DWORD
	v_xor_b32_sdwa v3, v3, s36 dst_sel:DWORD dst_unused:UNUSED_PAD src0_sel:WORD_1 src1_sel:DWORD
	v_or_b32_sdwa v3, v3, v20 dst_sel:DWORD dst_unused:UNUSED_PAD src0_sel:BYTE_0 src1_sel:DWORD
	v_add_u16_e32 v6, 0x8000, v6
	v_add_u16_sdwa v3, v3, s37 dst_sel:WORD_1 dst_unused:UNUSED_PAD src0_sel:DWORD src1_sel:DWORD
	v_or_b32_e32 v3, v6, v3
	v_and_b32_e32 v6, 0xffffff00, v4
	v_xor_b32_e32 v20, 0x80, v4
	v_or_b32_sdwa v6, v20, v6 dst_sel:DWORD dst_unused:UNUSED_PAD src0_sel:BYTE_0 src1_sel:DWORD
	v_and_b32_sdwa v20, v4, s34 dst_sel:DWORD dst_unused:UNUSED_PAD src0_sel:WORD_1 src1_sel:DWORD
	v_xor_b32_sdwa v4, v4, s36 dst_sel:DWORD dst_unused:UNUSED_PAD src0_sel:WORD_1 src1_sel:DWORD
	v_or_b32_sdwa v4, v4, v20 dst_sel:DWORD dst_unused:UNUSED_PAD src0_sel:BYTE_0 src1_sel:DWORD
	v_add_u16_e32 v6, 0x8000, v6
	v_add_u16_sdwa v4, v4, s37 dst_sel:WORD_1 dst_unused:UNUSED_PAD src0_sel:DWORD src1_sel:DWORD
	v_or_b32_e32 v4, v6, v4
	ds_write_b64 v12, v[3:4]
	; wave barrier
	ds_read_u8 v27, v15
	ds_read_u8 v26, v15 offset:64
	ds_read_u8 v25, v15 offset:128
	;; [unrolled: 1-line block ×7, first 2 shown]
	; wave barrier
	ds_write_b64 v12, v[1:2]
	s_waitcnt lgkmcnt(8)
	v_and_b32_e32 v1, 1, v27
	v_cmp_ne_u32_e64 s[26:27], 0, v1
	v_add_co_u32_e64 v1, s[28:29], -1, v1
	v_addc_co_u32_e64 v2, s[28:29], 0, -1, s[28:29]
	v_lshlrev_b32_e32 v6, 30, v27
	v_cmp_gt_i64_e64 s[28:29], 0, v[5:6]
	v_not_b32_e32 v3, v6
	v_ashrrev_i32_e32 v3, 31, v3
	v_xor_b32_e32 v1, s26, v1
	v_xor_b32_e32 v4, s29, v3
	v_and_b32_e32 v1, exec_lo, v1
	v_xor_b32_e32 v3, s28, v3
	v_lshlrev_b32_e32 v6, 29, v27
	v_xor_b32_e32 v2, s27, v2
	v_and_b32_e32 v1, v1, v3
	v_cmp_gt_i64_e64 s[26:27], 0, v[5:6]
	v_not_b32_e32 v3, v6
	v_and_b32_e32 v2, exec_hi, v2
	v_ashrrev_i32_e32 v3, 31, v3
	v_and_b32_e32 v2, v2, v4
	v_xor_b32_e32 v4, s27, v3
	v_xor_b32_e32 v3, s26, v3
	v_lshlrev_b32_e32 v6, 28, v27
	v_and_b32_e32 v1, v1, v3
	v_cmp_gt_i64_e64 s[26:27], 0, v[5:6]
	v_not_b32_e32 v3, v6
	v_ashrrev_i32_e32 v3, 31, v3
	v_and_b32_e32 v2, v2, v4
	v_xor_b32_e32 v4, s27, v3
	v_xor_b32_e32 v3, s26, v3
	v_lshlrev_b32_e32 v6, 27, v27
	v_and_b32_e32 v1, v1, v3
	v_cmp_gt_i64_e64 s[26:27], 0, v[5:6]
	v_not_b32_e32 v3, v6
	v_ashrrev_i32_e32 v3, 31, v3
	v_and_b32_e32 v2, v2, v4
	v_xor_b32_e32 v4, s27, v3
	v_xor_b32_e32 v3, s26, v3
	v_lshlrev_b32_e32 v6, 26, v27
	v_and_b32_e32 v1, v1, v3
	v_cmp_gt_i64_e64 s[26:27], 0, v[5:6]
	v_not_b32_e32 v3, v6
	v_ashrrev_i32_e32 v3, 31, v3
	v_and_b32_e32 v2, v2, v4
	v_xor_b32_e32 v4, s27, v3
	v_xor_b32_e32 v3, s26, v3
	v_lshlrev_b32_e32 v6, 25, v27
	v_and_b32_e32 v1, v1, v3
	v_cmp_gt_i64_e64 s[26:27], 0, v[5:6]
	v_not_b32_e32 v3, v6
	; wave barrier
	ds_read_u8 v28, v15
	ds_read_u8 v29, v15 offset:64
	ds_read_u8 v30, v15 offset:128
	ds_read_u8 v31, v15 offset:192
	ds_read_u8 v32, v15 offset:256
	ds_read_u8 v33, v15 offset:320
	ds_read_u8 v34, v15 offset:384
	ds_read_u8 v35, v15 offset:448
	v_ashrrev_i32_e32 v3, 31, v3
	v_and_b32_e32 v2, v2, v4
	v_xor_b32_e32 v4, s27, v3
	v_xor_b32_e32 v3, s26, v3
	v_lshlrev_b32_e32 v6, 24, v27
	v_and_b32_e32 v1, v1, v3
	v_cmp_gt_i64_e64 s[26:27], 0, v[5:6]
	v_not_b32_e32 v3, v6
	v_ashrrev_i32_e32 v3, 31, v3
	v_and_b32_e32 v2, v2, v4
	v_xor_b32_e32 v4, s27, v3
	v_xor_b32_e32 v3, s26, v3
	v_and_b32_e32 v1, v1, v3
	v_and_b32_e32 v2, v2, v4
	v_mbcnt_lo_u32_b32 v3, v1, 0
	v_mbcnt_hi_u32_b32 v36, v2, v3
	v_cmp_ne_u64_e64 s[26:27], 0, v[1:2]
	v_cmp_eq_u32_e64 s[28:29], 0, v36
	v_lshlrev_b32_sdwa v3, v19, v27 dst_sel:DWORD dst_unused:UNUSED_PAD src0_sel:DWORD src1_sel:BYTE_0
	s_and_b64 s[28:29], s[26:27], s[28:29]
	v_add_u32_e32 v37, v18, v3
	s_waitcnt lgkmcnt(0)
	s_barrier
	ds_write2_b64 v11, v[7:8], v[9:10] offset0:4 offset1:5
	s_waitcnt lgkmcnt(0)
	s_barrier
	; wave barrier
	s_and_saveexec_b64 s[26:27], s[28:29]
; %bb.3:                                ;   in Loop: Header=BB287_2 Depth=1
	v_bcnt_u32_b32 v1, v1, 0
	v_bcnt_u32_b32 v1, v2, v1
	ds_write_b32 v37, v1 offset:32
; %bb.4:                                ;   in Loop: Header=BB287_2 Depth=1
	s_or_b64 exec, exec, s[26:27]
	v_lshlrev_b32_sdwa v1, v19, v26 dst_sel:DWORD dst_unused:UNUSED_PAD src0_sel:DWORD src1_sel:BYTE_0
	v_add_u32_e32 v39, v18, v1
	v_and_b32_e32 v1, 1, v26
	v_add_co_u32_e64 v2, s[26:27], -1, v1
	v_addc_co_u32_e64 v3, s[26:27], 0, -1, s[26:27]
	v_cmp_ne_u32_e64 s[26:27], 0, v1
	v_lshlrev_b32_e32 v6, 30, v26
	v_xor_b32_e32 v1, s27, v3
	v_xor_b32_e32 v2, s26, v2
	v_cmp_gt_i64_e64 s[26:27], 0, v[5:6]
	v_not_b32_e32 v3, v6
	v_ashrrev_i32_e32 v3, 31, v3
	v_and_b32_e32 v2, exec_lo, v2
	v_xor_b32_e32 v4, s27, v3
	v_xor_b32_e32 v3, s26, v3
	v_lshlrev_b32_e32 v6, 29, v26
	v_and_b32_e32 v2, v2, v3
	v_cmp_gt_i64_e64 s[26:27], 0, v[5:6]
	v_not_b32_e32 v3, v6
	v_and_b32_e32 v1, exec_hi, v1
	v_ashrrev_i32_e32 v3, 31, v3
	v_and_b32_e32 v1, v1, v4
	v_xor_b32_e32 v4, s27, v3
	v_xor_b32_e32 v3, s26, v3
	v_lshlrev_b32_e32 v6, 28, v26
	v_and_b32_e32 v2, v2, v3
	v_cmp_gt_i64_e64 s[26:27], 0, v[5:6]
	v_not_b32_e32 v3, v6
	v_ashrrev_i32_e32 v3, 31, v3
	v_and_b32_e32 v1, v1, v4
	v_xor_b32_e32 v4, s27, v3
	v_xor_b32_e32 v3, s26, v3
	v_lshlrev_b32_e32 v6, 27, v26
	v_and_b32_e32 v2, v2, v3
	v_cmp_gt_i64_e64 s[26:27], 0, v[5:6]
	v_not_b32_e32 v3, v6
	;; [unrolled: 8-line block ×5, first 2 shown]
	v_ashrrev_i32_e32 v2, 31, v2
	v_and_b32_e32 v1, v1, v4
	v_xor_b32_e32 v4, s27, v2
	v_xor_b32_e32 v6, s26, v2
	; wave barrier
	ds_read_b32 v38, v39 offset:32
	v_and_b32_e32 v2, v1, v4
	v_and_b32_e32 v1, v3, v6
	v_mbcnt_lo_u32_b32 v3, v1, 0
	v_mbcnt_hi_u32_b32 v40, v2, v3
	v_cmp_ne_u64_e64 s[26:27], 0, v[1:2]
	v_cmp_eq_u32_e64 s[28:29], 0, v40
	s_and_b64 s[28:29], s[26:27], s[28:29]
	; wave barrier
	s_and_saveexec_b64 s[26:27], s[28:29]
	s_cbranch_execz .LBB287_6
; %bb.5:                                ;   in Loop: Header=BB287_2 Depth=1
	v_bcnt_u32_b32 v1, v1, 0
	v_bcnt_u32_b32 v1, v2, v1
	s_waitcnt lgkmcnt(0)
	v_add_u32_e32 v1, v38, v1
	ds_write_b32 v39, v1 offset:32
.LBB287_6:                              ;   in Loop: Header=BB287_2 Depth=1
	s_or_b64 exec, exec, s[26:27]
	v_lshlrev_b32_sdwa v1, v19, v25 dst_sel:DWORD dst_unused:UNUSED_PAD src0_sel:DWORD src1_sel:BYTE_0
	v_add_u32_e32 v42, v18, v1
	v_and_b32_e32 v1, 1, v25
	v_add_co_u32_e64 v2, s[26:27], -1, v1
	v_addc_co_u32_e64 v3, s[26:27], 0, -1, s[26:27]
	v_cmp_ne_u32_e64 s[26:27], 0, v1
	v_lshlrev_b32_e32 v6, 30, v25
	v_xor_b32_e32 v1, s27, v3
	v_xor_b32_e32 v2, s26, v2
	v_cmp_gt_i64_e64 s[26:27], 0, v[5:6]
	v_not_b32_e32 v3, v6
	v_ashrrev_i32_e32 v3, 31, v3
	v_and_b32_e32 v2, exec_lo, v2
	v_xor_b32_e32 v4, s27, v3
	v_xor_b32_e32 v3, s26, v3
	v_lshlrev_b32_e32 v6, 29, v25
	v_and_b32_e32 v2, v2, v3
	v_cmp_gt_i64_e64 s[26:27], 0, v[5:6]
	v_not_b32_e32 v3, v6
	v_and_b32_e32 v1, exec_hi, v1
	v_ashrrev_i32_e32 v3, 31, v3
	v_and_b32_e32 v1, v1, v4
	v_xor_b32_e32 v4, s27, v3
	v_xor_b32_e32 v3, s26, v3
	v_lshlrev_b32_e32 v6, 28, v25
	v_and_b32_e32 v2, v2, v3
	v_cmp_gt_i64_e64 s[26:27], 0, v[5:6]
	v_not_b32_e32 v3, v6
	v_ashrrev_i32_e32 v3, 31, v3
	v_and_b32_e32 v1, v1, v4
	v_xor_b32_e32 v4, s27, v3
	v_xor_b32_e32 v3, s26, v3
	v_lshlrev_b32_e32 v6, 27, v25
	v_and_b32_e32 v2, v2, v3
	v_cmp_gt_i64_e64 s[26:27], 0, v[5:6]
	v_not_b32_e32 v3, v6
	;; [unrolled: 8-line block ×5, first 2 shown]
	v_ashrrev_i32_e32 v2, 31, v2
	v_and_b32_e32 v1, v1, v4
	v_xor_b32_e32 v4, s27, v2
	v_xor_b32_e32 v6, s26, v2
	; wave barrier
	ds_read_b32 v41, v42 offset:32
	v_and_b32_e32 v2, v1, v4
	v_and_b32_e32 v1, v3, v6
	v_mbcnt_lo_u32_b32 v3, v1, 0
	v_mbcnt_hi_u32_b32 v43, v2, v3
	v_cmp_ne_u64_e64 s[26:27], 0, v[1:2]
	v_cmp_eq_u32_e64 s[28:29], 0, v43
	s_and_b64 s[28:29], s[26:27], s[28:29]
	; wave barrier
	s_and_saveexec_b64 s[26:27], s[28:29]
	s_cbranch_execz .LBB287_8
; %bb.7:                                ;   in Loop: Header=BB287_2 Depth=1
	v_bcnt_u32_b32 v1, v1, 0
	v_bcnt_u32_b32 v1, v2, v1
	s_waitcnt lgkmcnt(0)
	v_add_u32_e32 v1, v41, v1
	ds_write_b32 v42, v1 offset:32
.LBB287_8:                              ;   in Loop: Header=BB287_2 Depth=1
	s_or_b64 exec, exec, s[26:27]
	v_lshlrev_b32_sdwa v1, v19, v24 dst_sel:DWORD dst_unused:UNUSED_PAD src0_sel:DWORD src1_sel:BYTE_0
	v_add_u32_e32 v45, v18, v1
	v_and_b32_e32 v1, 1, v24
	v_add_co_u32_e64 v2, s[26:27], -1, v1
	v_addc_co_u32_e64 v3, s[26:27], 0, -1, s[26:27]
	v_cmp_ne_u32_e64 s[26:27], 0, v1
	v_lshlrev_b32_e32 v6, 30, v24
	v_xor_b32_e32 v1, s27, v3
	v_xor_b32_e32 v2, s26, v2
	v_cmp_gt_i64_e64 s[26:27], 0, v[5:6]
	v_not_b32_e32 v3, v6
	v_ashrrev_i32_e32 v3, 31, v3
	v_and_b32_e32 v2, exec_lo, v2
	v_xor_b32_e32 v4, s27, v3
	v_xor_b32_e32 v3, s26, v3
	v_lshlrev_b32_e32 v6, 29, v24
	v_and_b32_e32 v2, v2, v3
	v_cmp_gt_i64_e64 s[26:27], 0, v[5:6]
	v_not_b32_e32 v3, v6
	v_and_b32_e32 v1, exec_hi, v1
	v_ashrrev_i32_e32 v3, 31, v3
	v_and_b32_e32 v1, v1, v4
	v_xor_b32_e32 v4, s27, v3
	v_xor_b32_e32 v3, s26, v3
	v_lshlrev_b32_e32 v6, 28, v24
	v_and_b32_e32 v2, v2, v3
	v_cmp_gt_i64_e64 s[26:27], 0, v[5:6]
	v_not_b32_e32 v3, v6
	v_ashrrev_i32_e32 v3, 31, v3
	v_and_b32_e32 v1, v1, v4
	v_xor_b32_e32 v4, s27, v3
	v_xor_b32_e32 v3, s26, v3
	v_lshlrev_b32_e32 v6, 27, v24
	v_and_b32_e32 v2, v2, v3
	v_cmp_gt_i64_e64 s[26:27], 0, v[5:6]
	v_not_b32_e32 v3, v6
	;; [unrolled: 8-line block ×5, first 2 shown]
	v_ashrrev_i32_e32 v2, 31, v2
	v_and_b32_e32 v1, v1, v4
	v_xor_b32_e32 v4, s27, v2
	v_xor_b32_e32 v6, s26, v2
	; wave barrier
	ds_read_b32 v44, v45 offset:32
	v_and_b32_e32 v2, v1, v4
	v_and_b32_e32 v1, v3, v6
	v_mbcnt_lo_u32_b32 v3, v1, 0
	v_mbcnt_hi_u32_b32 v46, v2, v3
	v_cmp_ne_u64_e64 s[26:27], 0, v[1:2]
	v_cmp_eq_u32_e64 s[28:29], 0, v46
	s_and_b64 s[28:29], s[26:27], s[28:29]
	; wave barrier
	s_and_saveexec_b64 s[26:27], s[28:29]
	s_cbranch_execz .LBB287_10
; %bb.9:                                ;   in Loop: Header=BB287_2 Depth=1
	v_bcnt_u32_b32 v1, v1, 0
	v_bcnt_u32_b32 v1, v2, v1
	s_waitcnt lgkmcnt(0)
	v_add_u32_e32 v1, v44, v1
	ds_write_b32 v45, v1 offset:32
.LBB287_10:                             ;   in Loop: Header=BB287_2 Depth=1
	s_or_b64 exec, exec, s[26:27]
	v_lshlrev_b32_sdwa v1, v19, v23 dst_sel:DWORD dst_unused:UNUSED_PAD src0_sel:DWORD src1_sel:BYTE_0
	v_add_u32_e32 v48, v18, v1
	v_and_b32_e32 v1, 1, v23
	v_add_co_u32_e64 v2, s[26:27], -1, v1
	v_addc_co_u32_e64 v3, s[26:27], 0, -1, s[26:27]
	v_cmp_ne_u32_e64 s[26:27], 0, v1
	v_lshlrev_b32_e32 v6, 30, v23
	v_xor_b32_e32 v1, s27, v3
	v_xor_b32_e32 v2, s26, v2
	v_cmp_gt_i64_e64 s[26:27], 0, v[5:6]
	v_not_b32_e32 v3, v6
	v_ashrrev_i32_e32 v3, 31, v3
	v_and_b32_e32 v2, exec_lo, v2
	v_xor_b32_e32 v4, s27, v3
	v_xor_b32_e32 v3, s26, v3
	v_lshlrev_b32_e32 v6, 29, v23
	v_and_b32_e32 v2, v2, v3
	v_cmp_gt_i64_e64 s[26:27], 0, v[5:6]
	v_not_b32_e32 v3, v6
	v_and_b32_e32 v1, exec_hi, v1
	v_ashrrev_i32_e32 v3, 31, v3
	v_and_b32_e32 v1, v1, v4
	v_xor_b32_e32 v4, s27, v3
	v_xor_b32_e32 v3, s26, v3
	v_lshlrev_b32_e32 v6, 28, v23
	v_and_b32_e32 v2, v2, v3
	v_cmp_gt_i64_e64 s[26:27], 0, v[5:6]
	v_not_b32_e32 v3, v6
	v_ashrrev_i32_e32 v3, 31, v3
	v_and_b32_e32 v1, v1, v4
	v_xor_b32_e32 v4, s27, v3
	v_xor_b32_e32 v3, s26, v3
	v_lshlrev_b32_e32 v6, 27, v23
	v_and_b32_e32 v2, v2, v3
	v_cmp_gt_i64_e64 s[26:27], 0, v[5:6]
	v_not_b32_e32 v3, v6
	;; [unrolled: 8-line block ×5, first 2 shown]
	v_ashrrev_i32_e32 v2, 31, v2
	v_and_b32_e32 v1, v1, v4
	v_xor_b32_e32 v4, s27, v2
	v_xor_b32_e32 v6, s26, v2
	; wave barrier
	ds_read_b32 v47, v48 offset:32
	v_and_b32_e32 v2, v1, v4
	v_and_b32_e32 v1, v3, v6
	v_mbcnt_lo_u32_b32 v3, v1, 0
	v_mbcnt_hi_u32_b32 v49, v2, v3
	v_cmp_ne_u64_e64 s[26:27], 0, v[1:2]
	v_cmp_eq_u32_e64 s[28:29], 0, v49
	s_and_b64 s[28:29], s[26:27], s[28:29]
	; wave barrier
	s_and_saveexec_b64 s[26:27], s[28:29]
	s_cbranch_execz .LBB287_12
; %bb.11:                               ;   in Loop: Header=BB287_2 Depth=1
	v_bcnt_u32_b32 v1, v1, 0
	v_bcnt_u32_b32 v1, v2, v1
	s_waitcnt lgkmcnt(0)
	v_add_u32_e32 v1, v47, v1
	ds_write_b32 v48, v1 offset:32
.LBB287_12:                             ;   in Loop: Header=BB287_2 Depth=1
	s_or_b64 exec, exec, s[26:27]
	v_lshlrev_b32_sdwa v1, v19, v22 dst_sel:DWORD dst_unused:UNUSED_PAD src0_sel:DWORD src1_sel:BYTE_0
	v_add_u32_e32 v51, v18, v1
	v_and_b32_e32 v1, 1, v22
	v_add_co_u32_e64 v2, s[26:27], -1, v1
	v_addc_co_u32_e64 v3, s[26:27], 0, -1, s[26:27]
	v_cmp_ne_u32_e64 s[26:27], 0, v1
	v_lshlrev_b32_e32 v6, 30, v22
	v_xor_b32_e32 v1, s27, v3
	v_xor_b32_e32 v2, s26, v2
	v_cmp_gt_i64_e64 s[26:27], 0, v[5:6]
	v_not_b32_e32 v3, v6
	v_ashrrev_i32_e32 v3, 31, v3
	v_and_b32_e32 v2, exec_lo, v2
	v_xor_b32_e32 v4, s27, v3
	v_xor_b32_e32 v3, s26, v3
	v_lshlrev_b32_e32 v6, 29, v22
	v_and_b32_e32 v2, v2, v3
	v_cmp_gt_i64_e64 s[26:27], 0, v[5:6]
	v_not_b32_e32 v3, v6
	v_and_b32_e32 v1, exec_hi, v1
	v_ashrrev_i32_e32 v3, 31, v3
	v_and_b32_e32 v1, v1, v4
	v_xor_b32_e32 v4, s27, v3
	v_xor_b32_e32 v3, s26, v3
	v_lshlrev_b32_e32 v6, 28, v22
	v_and_b32_e32 v2, v2, v3
	v_cmp_gt_i64_e64 s[26:27], 0, v[5:6]
	v_not_b32_e32 v3, v6
	v_ashrrev_i32_e32 v3, 31, v3
	v_and_b32_e32 v1, v1, v4
	v_xor_b32_e32 v4, s27, v3
	v_xor_b32_e32 v3, s26, v3
	v_lshlrev_b32_e32 v6, 27, v22
	v_and_b32_e32 v2, v2, v3
	v_cmp_gt_i64_e64 s[26:27], 0, v[5:6]
	v_not_b32_e32 v3, v6
	;; [unrolled: 8-line block ×5, first 2 shown]
	v_ashrrev_i32_e32 v2, 31, v2
	v_and_b32_e32 v1, v1, v4
	v_xor_b32_e32 v4, s27, v2
	v_xor_b32_e32 v6, s26, v2
	; wave barrier
	ds_read_b32 v50, v51 offset:32
	v_and_b32_e32 v2, v1, v4
	v_and_b32_e32 v1, v3, v6
	v_mbcnt_lo_u32_b32 v3, v1, 0
	v_mbcnt_hi_u32_b32 v52, v2, v3
	v_cmp_ne_u64_e64 s[26:27], 0, v[1:2]
	v_cmp_eq_u32_e64 s[28:29], 0, v52
	s_and_b64 s[28:29], s[26:27], s[28:29]
	; wave barrier
	s_and_saveexec_b64 s[26:27], s[28:29]
	s_cbranch_execz .LBB287_14
; %bb.13:                               ;   in Loop: Header=BB287_2 Depth=1
	v_bcnt_u32_b32 v1, v1, 0
	v_bcnt_u32_b32 v1, v2, v1
	s_waitcnt lgkmcnt(0)
	v_add_u32_e32 v1, v50, v1
	ds_write_b32 v51, v1 offset:32
.LBB287_14:                             ;   in Loop: Header=BB287_2 Depth=1
	s_or_b64 exec, exec, s[26:27]
	v_lshlrev_b32_sdwa v1, v19, v21 dst_sel:DWORD dst_unused:UNUSED_PAD src0_sel:DWORD src1_sel:BYTE_0
	v_add_u32_e32 v54, v18, v1
	v_and_b32_e32 v1, 1, v21
	v_add_co_u32_e64 v2, s[26:27], -1, v1
	v_addc_co_u32_e64 v3, s[26:27], 0, -1, s[26:27]
	v_cmp_ne_u32_e64 s[26:27], 0, v1
	v_lshlrev_b32_e32 v6, 30, v21
	v_xor_b32_e32 v1, s27, v3
	v_xor_b32_e32 v2, s26, v2
	v_cmp_gt_i64_e64 s[26:27], 0, v[5:6]
	v_not_b32_e32 v3, v6
	v_ashrrev_i32_e32 v3, 31, v3
	v_and_b32_e32 v2, exec_lo, v2
	v_xor_b32_e32 v4, s27, v3
	v_xor_b32_e32 v3, s26, v3
	v_lshlrev_b32_e32 v6, 29, v21
	v_and_b32_e32 v2, v2, v3
	v_cmp_gt_i64_e64 s[26:27], 0, v[5:6]
	v_not_b32_e32 v3, v6
	v_and_b32_e32 v1, exec_hi, v1
	v_ashrrev_i32_e32 v3, 31, v3
	v_and_b32_e32 v1, v1, v4
	v_xor_b32_e32 v4, s27, v3
	v_xor_b32_e32 v3, s26, v3
	v_lshlrev_b32_e32 v6, 28, v21
	v_and_b32_e32 v2, v2, v3
	v_cmp_gt_i64_e64 s[26:27], 0, v[5:6]
	v_not_b32_e32 v3, v6
	v_ashrrev_i32_e32 v3, 31, v3
	v_and_b32_e32 v1, v1, v4
	v_xor_b32_e32 v4, s27, v3
	v_xor_b32_e32 v3, s26, v3
	v_lshlrev_b32_e32 v6, 27, v21
	v_and_b32_e32 v2, v2, v3
	v_cmp_gt_i64_e64 s[26:27], 0, v[5:6]
	v_not_b32_e32 v3, v6
	;; [unrolled: 8-line block ×5, first 2 shown]
	v_ashrrev_i32_e32 v2, 31, v2
	v_and_b32_e32 v1, v1, v4
	v_xor_b32_e32 v4, s27, v2
	v_xor_b32_e32 v6, s26, v2
	; wave barrier
	ds_read_b32 v53, v54 offset:32
	v_and_b32_e32 v2, v1, v4
	v_and_b32_e32 v1, v3, v6
	v_mbcnt_lo_u32_b32 v3, v1, 0
	v_mbcnt_hi_u32_b32 v55, v2, v3
	v_cmp_ne_u64_e64 s[26:27], 0, v[1:2]
	v_cmp_eq_u32_e64 s[28:29], 0, v55
	s_and_b64 s[28:29], s[26:27], s[28:29]
	; wave barrier
	s_and_saveexec_b64 s[26:27], s[28:29]
	s_cbranch_execz .LBB287_16
; %bb.15:                               ;   in Loop: Header=BB287_2 Depth=1
	v_bcnt_u32_b32 v1, v1, 0
	v_bcnt_u32_b32 v1, v2, v1
	s_waitcnt lgkmcnt(0)
	v_add_u32_e32 v1, v53, v1
	ds_write_b32 v54, v1 offset:32
.LBB287_16:                             ;   in Loop: Header=BB287_2 Depth=1
	s_or_b64 exec, exec, s[26:27]
	v_lshlrev_b32_sdwa v1, v19, v20 dst_sel:DWORD dst_unused:UNUSED_PAD src0_sel:DWORD src1_sel:BYTE_0
	v_add_u32_e32 v57, v18, v1
	v_and_b32_e32 v1, 1, v20
	v_add_co_u32_e64 v2, s[26:27], -1, v1
	v_addc_co_u32_e64 v3, s[26:27], 0, -1, s[26:27]
	v_cmp_ne_u32_e64 s[26:27], 0, v1
	v_lshlrev_b32_e32 v6, 30, v20
	v_xor_b32_e32 v1, s27, v3
	v_xor_b32_e32 v2, s26, v2
	v_cmp_gt_i64_e64 s[26:27], 0, v[5:6]
	v_not_b32_e32 v3, v6
	v_ashrrev_i32_e32 v3, 31, v3
	v_and_b32_e32 v2, exec_lo, v2
	v_xor_b32_e32 v4, s27, v3
	v_xor_b32_e32 v3, s26, v3
	v_lshlrev_b32_e32 v6, 29, v20
	v_and_b32_e32 v2, v2, v3
	v_cmp_gt_i64_e64 s[26:27], 0, v[5:6]
	v_not_b32_e32 v3, v6
	v_and_b32_e32 v1, exec_hi, v1
	v_ashrrev_i32_e32 v3, 31, v3
	v_and_b32_e32 v1, v1, v4
	v_xor_b32_e32 v4, s27, v3
	v_xor_b32_e32 v3, s26, v3
	v_lshlrev_b32_e32 v6, 28, v20
	v_and_b32_e32 v2, v2, v3
	v_cmp_gt_i64_e64 s[26:27], 0, v[5:6]
	v_not_b32_e32 v3, v6
	v_ashrrev_i32_e32 v3, 31, v3
	v_and_b32_e32 v1, v1, v4
	v_xor_b32_e32 v4, s27, v3
	v_xor_b32_e32 v3, s26, v3
	v_lshlrev_b32_e32 v6, 27, v20
	v_and_b32_e32 v2, v2, v3
	v_cmp_gt_i64_e64 s[26:27], 0, v[5:6]
	v_not_b32_e32 v3, v6
	;; [unrolled: 8-line block ×5, first 2 shown]
	v_ashrrev_i32_e32 v2, 31, v2
	v_and_b32_e32 v1, v1, v4
	v_xor_b32_e32 v4, s27, v2
	v_xor_b32_e32 v6, s26, v2
	; wave barrier
	ds_read_b32 v56, v57 offset:32
	v_and_b32_e32 v2, v1, v4
	v_and_b32_e32 v1, v3, v6
	v_mbcnt_lo_u32_b32 v3, v1, 0
	v_mbcnt_hi_u32_b32 v6, v2, v3
	v_cmp_ne_u64_e64 s[26:27], 0, v[1:2]
	v_cmp_eq_u32_e64 s[28:29], 0, v6
	s_and_b64 s[28:29], s[26:27], s[28:29]
	; wave barrier
	s_and_saveexec_b64 s[26:27], s[28:29]
	s_cbranch_execz .LBB287_18
; %bb.17:                               ;   in Loop: Header=BB287_2 Depth=1
	v_bcnt_u32_b32 v1, v1, 0
	v_bcnt_u32_b32 v1, v2, v1
	s_waitcnt lgkmcnt(0)
	v_add_u32_e32 v1, v56, v1
	ds_write_b32 v57, v1 offset:32
.LBB287_18:                             ;   in Loop: Header=BB287_2 Depth=1
	s_or_b64 exec, exec, s[26:27]
	; wave barrier
	s_waitcnt lgkmcnt(0)
	s_barrier
	ds_read2_b64 v[1:4], v11 offset0:4 offset1:5
	s_waitcnt lgkmcnt(0)
	v_add_u32_e32 v58, v2, v1
	v_add3_u32 v4, v58, v3, v4
	s_nop 1
	v_mov_b32_dpp v58, v4 row_shr:1 row_mask:0xf bank_mask:0xf
	v_cndmask_b32_e64 v58, v58, 0, s[8:9]
	v_add_u32_e32 v4, v58, v4
	s_nop 1
	v_mov_b32_dpp v58, v4 row_shr:2 row_mask:0xf bank_mask:0xf
	v_cndmask_b32_e64 v58, 0, v58, s[10:11]
	v_add_u32_e32 v4, v4, v58
	s_nop 1
	v_mov_b32_dpp v58, v4 row_shr:4 row_mask:0xf bank_mask:0xf
	v_cndmask_b32_e64 v58, 0, v58, s[12:13]
	v_add_u32_e32 v4, v4, v58
	s_nop 1
	v_mov_b32_dpp v58, v4 row_shr:8 row_mask:0xf bank_mask:0xf
	v_cndmask_b32_e64 v58, 0, v58, s[14:15]
	v_add_u32_e32 v4, v4, v58
	s_nop 1
	v_mov_b32_dpp v58, v4 row_bcast:15 row_mask:0xf bank_mask:0xf
	v_cndmask_b32_e64 v58, v58, 0, s[16:17]
	v_add_u32_e32 v4, v4, v58
	s_nop 1
	v_mov_b32_dpp v58, v4 row_bcast:31 row_mask:0xf bank_mask:0xf
	v_cndmask_b32_e64 v58, 0, v58, s[4:5]
	v_add_u32_e32 v4, v4, v58
	s_and_saveexec_b64 s[26:27], s[18:19]
; %bb.19:                               ;   in Loop: Header=BB287_2 Depth=1
	ds_write_b32 v13, v4
; %bb.20:                               ;   in Loop: Header=BB287_2 Depth=1
	s_or_b64 exec, exec, s[26:27]
	s_waitcnt lgkmcnt(0)
	s_barrier
	s_and_saveexec_b64 s[26:27], vcc
	s_cbranch_execz .LBB287_22
; %bb.21:                               ;   in Loop: Header=BB287_2 Depth=1
	ds_read_b32 v58, v14
	s_waitcnt lgkmcnt(0)
	s_nop 0
	v_mov_b32_dpp v59, v58 row_shr:1 row_mask:0xf bank_mask:0xf
	v_cndmask_b32_e64 v59, v59, 0, s[20:21]
	v_add_u32_e32 v58, v59, v58
	s_nop 1
	v_mov_b32_dpp v59, v58 row_shr:2 row_mask:0xf bank_mask:0xf
	v_cndmask_b32_e64 v59, 0, v59, s[22:23]
	v_add_u32_e32 v58, v58, v59
	;; [unrolled: 4-line block ×3, first 2 shown]
	ds_write_b32 v14, v58
.LBB287_22:                             ;   in Loop: Header=BB287_2 Depth=1
	s_or_b64 exec, exec, s[26:27]
	v_mov_b32_e32 v58, 0
	s_waitcnt lgkmcnt(0)
	s_barrier
	s_and_saveexec_b64 s[26:27], s[0:1]
	s_cbranch_execz .LBB287_1
; %bb.23:                               ;   in Loop: Header=BB287_2 Depth=1
	ds_read_b32 v58, v16
	s_branch .LBB287_1
.LBB287_24:
	s_add_u32 s0, s30, s33
	v_add_u16_e32 v1, v27, v6
	s_addc_u32 s1, s31, 0
	v_add_u16_e32 v2, v28, v20
	v_add_u16_e32 v3, v29, v21
	;; [unrolled: 1-line block ×7, first 2 shown]
	global_store_byte v0, v1, s[0:1]
	global_store_byte v0, v2, s[0:1] offset:512
	global_store_byte v0, v3, s[0:1] offset:1024
	global_store_byte v0, v4, s[0:1] offset:1536
	global_store_byte v0, v5, s[0:1] offset:2048
	global_store_byte v0, v6, s[0:1] offset:2560
	global_store_byte v0, v7, s[0:1] offset:3072
	global_store_byte v0, v8, s[0:1] offset:3584
	s_endpgm
	.section	.rodata,"a",@progbits
	.p2align	6, 0x0
	.amdhsa_kernel _Z17sort_pairs_kernelI22helper_blocked_stripedaLj512ELj8ELj10EEvPKT0_PS1_
		.amdhsa_group_segment_fixed_size 8224
		.amdhsa_private_segment_fixed_size 0
		.amdhsa_kernarg_size 272
		.amdhsa_user_sgpr_count 6
		.amdhsa_user_sgpr_private_segment_buffer 1
		.amdhsa_user_sgpr_dispatch_ptr 0
		.amdhsa_user_sgpr_queue_ptr 0
		.amdhsa_user_sgpr_kernarg_segment_ptr 1
		.amdhsa_user_sgpr_dispatch_id 0
		.amdhsa_user_sgpr_flat_scratch_init 0
		.amdhsa_user_sgpr_private_segment_size 0
		.amdhsa_uses_dynamic_stack 0
		.amdhsa_system_sgpr_private_segment_wavefront_offset 0
		.amdhsa_system_sgpr_workgroup_id_x 1
		.amdhsa_system_sgpr_workgroup_id_y 0
		.amdhsa_system_sgpr_workgroup_id_z 0
		.amdhsa_system_sgpr_workgroup_info 0
		.amdhsa_system_vgpr_workitem_id 2
		.amdhsa_next_free_vgpr 60
		.amdhsa_next_free_sgpr 39
		.amdhsa_reserve_vcc 1
		.amdhsa_reserve_flat_scratch 0
		.amdhsa_float_round_mode_32 0
		.amdhsa_float_round_mode_16_64 0
		.amdhsa_float_denorm_mode_32 3
		.amdhsa_float_denorm_mode_16_64 3
		.amdhsa_dx10_clamp 1
		.amdhsa_ieee_mode 1
		.amdhsa_fp16_overflow 0
		.amdhsa_exception_fp_ieee_invalid_op 0
		.amdhsa_exception_fp_denorm_src 0
		.amdhsa_exception_fp_ieee_div_zero 0
		.amdhsa_exception_fp_ieee_overflow 0
		.amdhsa_exception_fp_ieee_underflow 0
		.amdhsa_exception_fp_ieee_inexact 0
		.amdhsa_exception_int_div_zero 0
	.end_amdhsa_kernel
	.section	.text._Z17sort_pairs_kernelI22helper_blocked_stripedaLj512ELj8ELj10EEvPKT0_PS1_,"axG",@progbits,_Z17sort_pairs_kernelI22helper_blocked_stripedaLj512ELj8ELj10EEvPKT0_PS1_,comdat
.Lfunc_end287:
	.size	_Z17sort_pairs_kernelI22helper_blocked_stripedaLj512ELj8ELj10EEvPKT0_PS1_, .Lfunc_end287-_Z17sort_pairs_kernelI22helper_blocked_stripedaLj512ELj8ELj10EEvPKT0_PS1_
                                        ; -- End function
	.set _Z17sort_pairs_kernelI22helper_blocked_stripedaLj512ELj8ELj10EEvPKT0_PS1_.num_vgpr, 60
	.set _Z17sort_pairs_kernelI22helper_blocked_stripedaLj512ELj8ELj10EEvPKT0_PS1_.num_agpr, 0
	.set _Z17sort_pairs_kernelI22helper_blocked_stripedaLj512ELj8ELj10EEvPKT0_PS1_.numbered_sgpr, 39
	.set _Z17sort_pairs_kernelI22helper_blocked_stripedaLj512ELj8ELj10EEvPKT0_PS1_.num_named_barrier, 0
	.set _Z17sort_pairs_kernelI22helper_blocked_stripedaLj512ELj8ELj10EEvPKT0_PS1_.private_seg_size, 0
	.set _Z17sort_pairs_kernelI22helper_blocked_stripedaLj512ELj8ELj10EEvPKT0_PS1_.uses_vcc, 1
	.set _Z17sort_pairs_kernelI22helper_blocked_stripedaLj512ELj8ELj10EEvPKT0_PS1_.uses_flat_scratch, 0
	.set _Z17sort_pairs_kernelI22helper_blocked_stripedaLj512ELj8ELj10EEvPKT0_PS1_.has_dyn_sized_stack, 0
	.set _Z17sort_pairs_kernelI22helper_blocked_stripedaLj512ELj8ELj10EEvPKT0_PS1_.has_recursion, 0
	.set _Z17sort_pairs_kernelI22helper_blocked_stripedaLj512ELj8ELj10EEvPKT0_PS1_.has_indirect_call, 0
	.section	.AMDGPU.csdata,"",@progbits
; Kernel info:
; codeLenInByte = 5108
; TotalNumSgprs: 43
; NumVgprs: 60
; ScratchSize: 0
; MemoryBound: 0
; FloatMode: 240
; IeeeMode: 1
; LDSByteSize: 8224 bytes/workgroup (compile time only)
; SGPRBlocks: 5
; VGPRBlocks: 14
; NumSGPRsForWavesPerEU: 43
; NumVGPRsForWavesPerEU: 60
; Occupancy: 4
; WaveLimiterHint : 1
; COMPUTE_PGM_RSRC2:SCRATCH_EN: 0
; COMPUTE_PGM_RSRC2:USER_SGPR: 6
; COMPUTE_PGM_RSRC2:TRAP_HANDLER: 0
; COMPUTE_PGM_RSRC2:TGID_X_EN: 1
; COMPUTE_PGM_RSRC2:TGID_Y_EN: 0
; COMPUTE_PGM_RSRC2:TGID_Z_EN: 0
; COMPUTE_PGM_RSRC2:TIDIG_COMP_CNT: 2
	.section	.text._Z16sort_keys_kernelI22helper_blocked_stripedxLj64ELj1ELj10EEvPKT0_PS1_,"axG",@progbits,_Z16sort_keys_kernelI22helper_blocked_stripedxLj64ELj1ELj10EEvPKT0_PS1_,comdat
	.protected	_Z16sort_keys_kernelI22helper_blocked_stripedxLj64ELj1ELj10EEvPKT0_PS1_ ; -- Begin function _Z16sort_keys_kernelI22helper_blocked_stripedxLj64ELj1ELj10EEvPKT0_PS1_
	.globl	_Z16sort_keys_kernelI22helper_blocked_stripedxLj64ELj1ELj10EEvPKT0_PS1_
	.p2align	8
	.type	_Z16sort_keys_kernelI22helper_blocked_stripedxLj64ELj1ELj10EEvPKT0_PS1_,@function
_Z16sort_keys_kernelI22helper_blocked_stripedxLj64ELj1ELj10EEvPKT0_PS1_: ; @_Z16sort_keys_kernelI22helper_blocked_stripedxLj64ELj1ELj10EEvPKT0_PS1_
; %bb.0:
	s_load_dwordx4 s[16:19], s[4:5], 0x0
	s_load_dword s24, s[4:5], 0x1c
	s_lshl_b32 s22, s6, 6
	s_mov_b32 s23, 0
	s_lshl_b64 s[20:21], s[22:23], 3
	s_waitcnt lgkmcnt(0)
	s_add_u32 s0, s16, s20
	s_addc_u32 s1, s17, s21
	v_lshlrev_b32_e32 v4, 3, v0
	global_load_dwordx2 v[7:8], v4, s[0:1]
	v_mbcnt_lo_u32_b32 v5, -1, 0
	v_mbcnt_hi_u32_b32 v5, -1, v5
	s_lshr_b32 s22, s24, 16
	v_subrev_co_u32_e64 v10, s[14:15], 1, v5
	v_and_b32_e32 v13, 64, v5
	s_and_b32 s24, s24, 0xffff
	v_mad_u32_u24 v1, v2, s22, v1
	v_cmp_lt_i32_e64 s[16:17], v10, v13
	v_mad_u32_u24 v1, v1, s24, v0
	v_lshlrev_b32_e32 v11, 4, v0
	v_cmp_eq_u32_e32 vcc, 0, v0
	v_and_b32_e32 v6, 15, v5
	v_and_b32_e32 v9, 16, v5
	v_cmp_lt_u32_e64 s[2:3], 31, v5
	v_lshlrev_b32_e32 v12, 3, v5
	v_sub_u32_e32 v4, 0, v4
	v_cndmask_b32_e64 v5, v10, v5, s[16:17]
	v_lshrrev_b32_e32 v1, 4, v1
	v_mov_b32_e32 v3, 0
	v_cmp_eq_u32_e64 s[0:1], 63, v0
	v_cmp_eq_u32_e64 s[4:5], 0, v6
	v_cmp_lt_u32_e64 s[6:7], 1, v6
	v_cmp_lt_u32_e64 s[8:9], 3, v6
	;; [unrolled: 1-line block ×3, first 2 shown]
	v_cmp_eq_u32_e64 s[12:13], 0, v9
	v_lshlrev_b32_e32 v13, 2, v5
	s_or_b64 s[16:17], vcc, s[14:15]
	v_and_b32_e32 v14, 0xffffffc, v1
	v_add_u32_e32 v15, v11, v4
	s_waitcnt vmcnt(0)
	v_xor_b32_e32 v8, 0x80000000, v8
	s_branch .LBB288_2
.LBB288_1:                              ;   in Loop: Header=BB288_2 Depth=1
	v_lshlrev_b32_e32 v1, 3, v4
	; wave barrier
	ds_write_b64 v1, v[5:6]
	s_waitcnt lgkmcnt(0)
	; wave barrier
	ds_read_b64 v[7:8], v15
	s_add_i32 s23, s23, 1
	s_cmp_eq_u32 s23, 10
	s_cbranch_scc1 .LBB288_10
.LBB288_2:                              ; =>This Loop Header: Depth=1
                                        ;     Child Loop BB288_4 Depth 2
	v_mov_b32_e32 v1, 0
	v_mov_b32_e32 v2, 0
	s_branch .LBB288_4
.LBB288_3:                              ;   in Loop: Header=BB288_4 Depth=2
	s_andn2_b64 vcc, exec, s[14:15]
	s_cbranch_vccz .LBB288_1
.LBB288_4:                              ;   Parent Loop BB288_2 Depth=1
                                        ; =>  This Inner Loop Header: Depth=2
	s_waitcnt lgkmcnt(0)
	v_mov_b32_e32 v5, v7
	v_mov_b32_e32 v6, v8
	v_lshrrev_b64 v[7:8], v1, v[5:6]
	ds_write2_b32 v11, v3, v3 offset0:1 offset1:2
	ds_write2_b32 v11, v3, v3 offset0:3 offset1:4
	v_and_b32_e32 v4, 0xff, v7
	v_lshl_add_u32 v16, v4, 2, v14
	v_and_b32_e32 v4, 1, v7
	v_add_co_u32_e32 v8, vcc, -1, v4
	v_addc_co_u32_e64 v9, s[14:15], 0, -1, vcc
	v_cmp_ne_u32_e32 vcc, 0, v4
	v_xor_b32_e32 v4, vcc_hi, v9
	v_and_b32_e32 v9, exec_hi, v4
	v_lshlrev_b32_e32 v4, 30, v7
	v_xor_b32_e32 v8, vcc_lo, v8
	v_cmp_gt_i64_e32 vcc, 0, v[3:4]
	v_not_b32_e32 v4, v4
	v_ashrrev_i32_e32 v4, 31, v4
	v_and_b32_e32 v8, exec_lo, v8
	v_xor_b32_e32 v10, vcc_hi, v4
	v_xor_b32_e32 v4, vcc_lo, v4
	v_and_b32_e32 v8, v8, v4
	v_lshlrev_b32_e32 v4, 29, v7
	v_cmp_gt_i64_e32 vcc, 0, v[3:4]
	v_not_b32_e32 v4, v4
	v_ashrrev_i32_e32 v4, 31, v4
	v_and_b32_e32 v9, v9, v10
	v_xor_b32_e32 v10, vcc_hi, v4
	v_xor_b32_e32 v4, vcc_lo, v4
	v_and_b32_e32 v8, v8, v4
	v_lshlrev_b32_e32 v4, 28, v7
	v_cmp_gt_i64_e32 vcc, 0, v[3:4]
	v_not_b32_e32 v4, v4
	v_ashrrev_i32_e32 v4, 31, v4
	v_and_b32_e32 v9, v9, v10
	;; [unrolled: 8-line block ×5, first 2 shown]
	v_xor_b32_e32 v10, vcc_hi, v4
	v_xor_b32_e32 v4, vcc_lo, v4
	v_and_b32_e32 v9, v9, v10
	v_and_b32_e32 v10, v8, v4
	v_lshlrev_b32_e32 v4, 24, v7
	v_cmp_gt_i64_e32 vcc, 0, v[3:4]
	v_not_b32_e32 v4, v4
	v_ashrrev_i32_e32 v4, 31, v4
	v_xor_b32_e32 v7, vcc_hi, v4
	v_xor_b32_e32 v4, vcc_lo, v4
	v_and_b32_e32 v8, v9, v7
	v_and_b32_e32 v7, v10, v4
	v_mbcnt_lo_u32_b32 v4, v7, 0
	v_mbcnt_hi_u32_b32 v4, v8, v4
	v_cmp_ne_u64_e32 vcc, 0, v[7:8]
	v_cmp_eq_u32_e64 s[14:15], 0, v4
	s_and_b64 s[24:25], vcc, s[14:15]
	s_waitcnt lgkmcnt(0)
	; wave barrier
	; wave barrier
	s_and_saveexec_b64 s[14:15], s[24:25]
; %bb.5:                                ;   in Loop: Header=BB288_4 Depth=2
	v_bcnt_u32_b32 v7, v7, 0
	v_bcnt_u32_b32 v7, v8, v7
	ds_write_b32 v16, v7 offset:4
; %bb.6:                                ;   in Loop: Header=BB288_4 Depth=2
	s_or_b64 exec, exec, s[14:15]
	; wave barrier
	s_waitcnt lgkmcnt(0)
	; wave barrier
	ds_read2_b32 v[9:10], v11 offset0:1 offset1:2
	ds_read2_b32 v[7:8], v11 offset0:3 offset1:4
	s_waitcnt lgkmcnt(1)
	v_add_u32_e32 v17, v10, v9
	s_waitcnt lgkmcnt(0)
	v_add3_u32 v8, v17, v7, v8
	s_nop 1
	v_mov_b32_dpp v17, v8 row_shr:1 row_mask:0xf bank_mask:0xf
	v_cndmask_b32_e64 v17, v17, 0, s[4:5]
	v_add_u32_e32 v8, v17, v8
	s_nop 1
	v_mov_b32_dpp v17, v8 row_shr:2 row_mask:0xf bank_mask:0xf
	v_cndmask_b32_e64 v17, 0, v17, s[6:7]
	v_add_u32_e32 v8, v8, v17
	;; [unrolled: 4-line block ×4, first 2 shown]
	s_nop 1
	v_mov_b32_dpp v17, v8 row_bcast:15 row_mask:0xf bank_mask:0xf
	v_cndmask_b32_e64 v17, v17, 0, s[12:13]
	v_add_u32_e32 v8, v8, v17
	s_nop 1
	v_mov_b32_dpp v17, v8 row_bcast:31 row_mask:0xf bank_mask:0xf
	v_cndmask_b32_e64 v17, 0, v17, s[2:3]
	v_add_u32_e32 v8, v8, v17
	s_and_saveexec_b64 s[14:15], s[0:1]
; %bb.7:                                ;   in Loop: Header=BB288_4 Depth=2
	ds_write_b32 v3, v8
; %bb.8:                                ;   in Loop: Header=BB288_4 Depth=2
	s_or_b64 exec, exec, s[14:15]
	ds_bpermute_b32 v8, v13, v8
	s_waitcnt lgkmcnt(0)
	; wave barrier
	v_cmp_lt_u32_e32 vcc, 55, v1
	s_and_b64 vcc, exec, vcc
	v_cndmask_b32_e64 v8, v8, 0, s[16:17]
	v_add_u32_e32 v9, v8, v9
	v_add_u32_e32 v10, v9, v10
	;; [unrolled: 1-line block ×3, first 2 shown]
	ds_write2_b32 v11, v8, v9 offset0:1 offset1:2
	ds_write2_b32 v11, v10, v7 offset0:3 offset1:4
	s_waitcnt lgkmcnt(0)
	; wave barrier
	ds_read_b32 v7, v16 offset:4
	s_mov_b64 s[14:15], -1
	s_waitcnt lgkmcnt(0)
	v_add_u32_e32 v4, v7, v4
                                        ; implicit-def: $vgpr7_vgpr8
	s_cbranch_vccnz .LBB288_3
; %bb.9:                                ;   in Loop: Header=BB288_4 Depth=2
	v_lshlrev_b32_e32 v7, 3, v4
	; wave barrier
	ds_write_b64 v7, v[5:6]
	s_waitcnt lgkmcnt(0)
	; wave barrier
	ds_read_b64 v[7:8], v12
	v_add_co_u32_e32 v1, vcc, 8, v1
	v_addc_co_u32_e32 v2, vcc, 0, v2, vcc
	s_mov_b64 s[14:15], 0
	s_waitcnt lgkmcnt(0)
	; wave barrier
	s_branch .LBB288_3
.LBB288_10:
	s_add_u32 s0, s18, s20
	s_waitcnt lgkmcnt(0)
	v_xor_b32_e32 v8, 0x80000000, v8
	s_addc_u32 s1, s19, s21
	v_lshlrev_b32_e32 v0, 3, v0
	global_store_dwordx2 v0, v[7:8], s[0:1]
	s_endpgm
	.section	.rodata,"a",@progbits
	.p2align	6, 0x0
	.amdhsa_kernel _Z16sort_keys_kernelI22helper_blocked_stripedxLj64ELj1ELj10EEvPKT0_PS1_
		.amdhsa_group_segment_fixed_size 1040
		.amdhsa_private_segment_fixed_size 0
		.amdhsa_kernarg_size 272
		.amdhsa_user_sgpr_count 6
		.amdhsa_user_sgpr_private_segment_buffer 1
		.amdhsa_user_sgpr_dispatch_ptr 0
		.amdhsa_user_sgpr_queue_ptr 0
		.amdhsa_user_sgpr_kernarg_segment_ptr 1
		.amdhsa_user_sgpr_dispatch_id 0
		.amdhsa_user_sgpr_flat_scratch_init 0
		.amdhsa_user_sgpr_private_segment_size 0
		.amdhsa_uses_dynamic_stack 0
		.amdhsa_system_sgpr_private_segment_wavefront_offset 0
		.amdhsa_system_sgpr_workgroup_id_x 1
		.amdhsa_system_sgpr_workgroup_id_y 0
		.amdhsa_system_sgpr_workgroup_id_z 0
		.amdhsa_system_sgpr_workgroup_info 0
		.amdhsa_system_vgpr_workitem_id 2
		.amdhsa_next_free_vgpr 18
		.amdhsa_next_free_sgpr 26
		.amdhsa_reserve_vcc 1
		.amdhsa_reserve_flat_scratch 0
		.amdhsa_float_round_mode_32 0
		.amdhsa_float_round_mode_16_64 0
		.amdhsa_float_denorm_mode_32 3
		.amdhsa_float_denorm_mode_16_64 3
		.amdhsa_dx10_clamp 1
		.amdhsa_ieee_mode 1
		.amdhsa_fp16_overflow 0
		.amdhsa_exception_fp_ieee_invalid_op 0
		.amdhsa_exception_fp_denorm_src 0
		.amdhsa_exception_fp_ieee_div_zero 0
		.amdhsa_exception_fp_ieee_overflow 0
		.amdhsa_exception_fp_ieee_underflow 0
		.amdhsa_exception_fp_ieee_inexact 0
		.amdhsa_exception_int_div_zero 0
	.end_amdhsa_kernel
	.section	.text._Z16sort_keys_kernelI22helper_blocked_stripedxLj64ELj1ELj10EEvPKT0_PS1_,"axG",@progbits,_Z16sort_keys_kernelI22helper_blocked_stripedxLj64ELj1ELj10EEvPKT0_PS1_,comdat
.Lfunc_end288:
	.size	_Z16sort_keys_kernelI22helper_blocked_stripedxLj64ELj1ELj10EEvPKT0_PS1_, .Lfunc_end288-_Z16sort_keys_kernelI22helper_blocked_stripedxLj64ELj1ELj10EEvPKT0_PS1_
                                        ; -- End function
	.set _Z16sort_keys_kernelI22helper_blocked_stripedxLj64ELj1ELj10EEvPKT0_PS1_.num_vgpr, 18
	.set _Z16sort_keys_kernelI22helper_blocked_stripedxLj64ELj1ELj10EEvPKT0_PS1_.num_agpr, 0
	.set _Z16sort_keys_kernelI22helper_blocked_stripedxLj64ELj1ELj10EEvPKT0_PS1_.numbered_sgpr, 26
	.set _Z16sort_keys_kernelI22helper_blocked_stripedxLj64ELj1ELj10EEvPKT0_PS1_.num_named_barrier, 0
	.set _Z16sort_keys_kernelI22helper_blocked_stripedxLj64ELj1ELj10EEvPKT0_PS1_.private_seg_size, 0
	.set _Z16sort_keys_kernelI22helper_blocked_stripedxLj64ELj1ELj10EEvPKT0_PS1_.uses_vcc, 1
	.set _Z16sort_keys_kernelI22helper_blocked_stripedxLj64ELj1ELj10EEvPKT0_PS1_.uses_flat_scratch, 0
	.set _Z16sort_keys_kernelI22helper_blocked_stripedxLj64ELj1ELj10EEvPKT0_PS1_.has_dyn_sized_stack, 0
	.set _Z16sort_keys_kernelI22helper_blocked_stripedxLj64ELj1ELj10EEvPKT0_PS1_.has_recursion, 0
	.set _Z16sort_keys_kernelI22helper_blocked_stripedxLj64ELj1ELj10EEvPKT0_PS1_.has_indirect_call, 0
	.section	.AMDGPU.csdata,"",@progbits
; Kernel info:
; codeLenInByte = 1048
; TotalNumSgprs: 30
; NumVgprs: 18
; ScratchSize: 0
; MemoryBound: 0
; FloatMode: 240
; IeeeMode: 1
; LDSByteSize: 1040 bytes/workgroup (compile time only)
; SGPRBlocks: 3
; VGPRBlocks: 4
; NumSGPRsForWavesPerEU: 30
; NumVGPRsForWavesPerEU: 18
; Occupancy: 10
; WaveLimiterHint : 0
; COMPUTE_PGM_RSRC2:SCRATCH_EN: 0
; COMPUTE_PGM_RSRC2:USER_SGPR: 6
; COMPUTE_PGM_RSRC2:TRAP_HANDLER: 0
; COMPUTE_PGM_RSRC2:TGID_X_EN: 1
; COMPUTE_PGM_RSRC2:TGID_Y_EN: 0
; COMPUTE_PGM_RSRC2:TGID_Z_EN: 0
; COMPUTE_PGM_RSRC2:TIDIG_COMP_CNT: 2
	.section	.text._Z17sort_pairs_kernelI22helper_blocked_stripedxLj64ELj1ELj10EEvPKT0_PS1_,"axG",@progbits,_Z17sort_pairs_kernelI22helper_blocked_stripedxLj64ELj1ELj10EEvPKT0_PS1_,comdat
	.protected	_Z17sort_pairs_kernelI22helper_blocked_stripedxLj64ELj1ELj10EEvPKT0_PS1_ ; -- Begin function _Z17sort_pairs_kernelI22helper_blocked_stripedxLj64ELj1ELj10EEvPKT0_PS1_
	.globl	_Z17sort_pairs_kernelI22helper_blocked_stripedxLj64ELj1ELj10EEvPKT0_PS1_
	.p2align	8
	.type	_Z17sort_pairs_kernelI22helper_blocked_stripedxLj64ELj1ELj10EEvPKT0_PS1_,@function
_Z17sort_pairs_kernelI22helper_blocked_stripedxLj64ELj1ELj10EEvPKT0_PS1_: ; @_Z17sort_pairs_kernelI22helper_blocked_stripedxLj64ELj1ELj10EEvPKT0_PS1_
; %bb.0:
	s_load_dwordx4 s[16:19], s[4:5], 0x0
	s_load_dword s24, s[4:5], 0x1c
	s_lshl_b32 s22, s6, 6
	s_mov_b32 s23, 0
	s_lshl_b64 s[20:21], s[22:23], 3
	s_waitcnt lgkmcnt(0)
	s_add_u32 s0, s16, s20
	s_addc_u32 s1, s17, s21
	v_lshlrev_b32_e32 v4, 3, v0
	global_load_dwordx2 v[9:10], v4, s[0:1]
	v_mbcnt_lo_u32_b32 v5, -1, 0
	v_mbcnt_hi_u32_b32 v5, -1, v5
	s_lshr_b32 s22, s24, 16
	v_subrev_co_u32_e64 v8, s[14:15], 1, v5
	v_and_b32_e32 v11, 64, v5
	s_and_b32 s24, s24, 0xffff
	v_mad_u32_u24 v1, v2, s22, v1
	v_cmp_eq_u32_e32 vcc, 0, v0
	v_cmp_lt_i32_e64 s[16:17], v8, v11
	v_mad_u32_u24 v1, v1, s24, v0
	v_lshlrev_b32_e32 v13, 4, v0
	v_and_b32_e32 v6, 15, v5
	v_and_b32_e32 v7, 16, v5
	v_cmp_lt_u32_e64 s[2:3], 31, v5
	v_lshlrev_b32_e32 v14, 3, v5
	v_sub_u32_e32 v4, 0, v4
	v_cndmask_b32_e64 v5, v8, v5, s[16:17]
	s_or_b64 s[16:17], vcc, s[14:15]
	v_lshrrev_b32_e32 v1, 4, v1
	v_mov_b32_e32 v3, 0
	v_cmp_eq_u32_e64 s[0:1], 63, v0
	v_cmp_eq_u32_e64 s[4:5], 0, v6
	v_cmp_lt_u32_e64 s[6:7], 1, v6
	v_cmp_lt_u32_e64 s[8:9], 3, v6
	v_cmp_lt_u32_e64 s[10:11], 7, v6
	v_cmp_eq_u32_e64 s[12:13], 0, v7
	v_lshlrev_b32_e32 v15, 2, v5
	v_and_b32_e32 v16, 0xffffffc, v1
	v_add_u32_e32 v17, v13, v4
	s_waitcnt vmcnt(0)
	v_add_co_u32_e32 v11, vcc, 1, v9
	v_addc_co_u32_e32 v12, vcc, 0, v10, vcc
	v_xor_b32_e32 v10, 0x80000000, v10
	s_branch .LBB289_2
.LBB289_1:                              ;   in Loop: Header=BB289_2 Depth=1
	v_lshlrev_b32_e32 v4, 3, v4
	; wave barrier
	ds_write_b64 v4, v[7:8]
	s_waitcnt lgkmcnt(0)
	; wave barrier
	ds_read_b64 v[9:10], v17
	s_waitcnt lgkmcnt(0)
	; wave barrier
	ds_write_b64 v4, v[1:2]
	s_waitcnt lgkmcnt(0)
	; wave barrier
	ds_read_b64 v[11:12], v17
	s_add_i32 s23, s23, 1
	s_cmp_eq_u32 s23, 10
	s_cbranch_scc1 .LBB289_10
.LBB289_2:                              ; =>This Loop Header: Depth=1
                                        ;     Child Loop BB289_4 Depth 2
	v_mov_b32_e32 v5, 0
	v_mov_b32_e32 v6, 0
	s_branch .LBB289_4
.LBB289_3:                              ;   in Loop: Header=BB289_4 Depth=2
	s_andn2_b64 vcc, exec, s[14:15]
	s_cbranch_vccz .LBB289_1
.LBB289_4:                              ;   Parent Loop BB289_2 Depth=1
                                        ; =>  This Inner Loop Header: Depth=2
	v_mov_b32_e32 v7, v9
	v_mov_b32_e32 v8, v10
	v_lshrrev_b64 v[9:10], v5, v[7:8]
	s_waitcnt lgkmcnt(0)
	v_mov_b32_e32 v1, v11
	v_and_b32_e32 v4, 0xff, v9
	v_lshl_add_u32 v18, v4, 2, v16
	v_and_b32_e32 v4, 1, v9
	v_add_co_u32_e32 v10, vcc, -1, v4
	v_mov_b32_e32 v2, v12
	v_addc_co_u32_e64 v11, s[14:15], 0, -1, vcc
	v_cmp_ne_u32_e32 vcc, 0, v4
	v_xor_b32_e32 v4, vcc_hi, v11
	v_and_b32_e32 v11, exec_hi, v4
	v_lshlrev_b32_e32 v4, 30, v9
	v_xor_b32_e32 v10, vcc_lo, v10
	v_cmp_gt_i64_e32 vcc, 0, v[3:4]
	v_not_b32_e32 v4, v4
	v_ashrrev_i32_e32 v4, 31, v4
	v_and_b32_e32 v10, exec_lo, v10
	v_xor_b32_e32 v12, vcc_hi, v4
	v_xor_b32_e32 v4, vcc_lo, v4
	v_and_b32_e32 v10, v10, v4
	v_lshlrev_b32_e32 v4, 29, v9
	v_cmp_gt_i64_e32 vcc, 0, v[3:4]
	v_not_b32_e32 v4, v4
	v_ashrrev_i32_e32 v4, 31, v4
	v_and_b32_e32 v11, v11, v12
	v_xor_b32_e32 v12, vcc_hi, v4
	v_xor_b32_e32 v4, vcc_lo, v4
	v_and_b32_e32 v10, v10, v4
	v_lshlrev_b32_e32 v4, 28, v9
	v_cmp_gt_i64_e32 vcc, 0, v[3:4]
	v_not_b32_e32 v4, v4
	v_ashrrev_i32_e32 v4, 31, v4
	v_and_b32_e32 v11, v11, v12
	;; [unrolled: 8-line block ×5, first 2 shown]
	v_xor_b32_e32 v12, vcc_hi, v4
	v_xor_b32_e32 v4, vcc_lo, v4
	v_and_b32_e32 v11, v11, v12
	v_and_b32_e32 v12, v10, v4
	v_lshlrev_b32_e32 v4, 24, v9
	v_cmp_gt_i64_e32 vcc, 0, v[3:4]
	v_not_b32_e32 v4, v4
	v_ashrrev_i32_e32 v4, 31, v4
	v_xor_b32_e32 v9, vcc_hi, v4
	v_xor_b32_e32 v4, vcc_lo, v4
	v_and_b32_e32 v10, v11, v9
	v_and_b32_e32 v9, v12, v4
	v_mbcnt_lo_u32_b32 v4, v9, 0
	v_mbcnt_hi_u32_b32 v4, v10, v4
	v_cmp_ne_u64_e32 vcc, 0, v[9:10]
	v_cmp_eq_u32_e64 s[14:15], 0, v4
	s_and_b64 s[24:25], vcc, s[14:15]
	ds_write2_b32 v13, v3, v3 offset0:1 offset1:2
	ds_write2_b32 v13, v3, v3 offset0:3 offset1:4
	s_waitcnt lgkmcnt(0)
	; wave barrier
	; wave barrier
	s_and_saveexec_b64 s[14:15], s[24:25]
; %bb.5:                                ;   in Loop: Header=BB289_4 Depth=2
	v_bcnt_u32_b32 v9, v9, 0
	v_bcnt_u32_b32 v9, v10, v9
	ds_write_b32 v18, v9 offset:4
; %bb.6:                                ;   in Loop: Header=BB289_4 Depth=2
	s_or_b64 exec, exec, s[14:15]
	; wave barrier
	s_waitcnt lgkmcnt(0)
	; wave barrier
	ds_read2_b32 v[11:12], v13 offset0:1 offset1:2
	ds_read2_b32 v[9:10], v13 offset0:3 offset1:4
	s_waitcnt lgkmcnt(1)
	v_add_u32_e32 v19, v12, v11
	s_waitcnt lgkmcnt(0)
	v_add3_u32 v10, v19, v9, v10
	s_nop 1
	v_mov_b32_dpp v19, v10 row_shr:1 row_mask:0xf bank_mask:0xf
	v_cndmask_b32_e64 v19, v19, 0, s[4:5]
	v_add_u32_e32 v10, v19, v10
	s_nop 1
	v_mov_b32_dpp v19, v10 row_shr:2 row_mask:0xf bank_mask:0xf
	v_cndmask_b32_e64 v19, 0, v19, s[6:7]
	v_add_u32_e32 v10, v10, v19
	;; [unrolled: 4-line block ×4, first 2 shown]
	s_nop 1
	v_mov_b32_dpp v19, v10 row_bcast:15 row_mask:0xf bank_mask:0xf
	v_cndmask_b32_e64 v19, v19, 0, s[12:13]
	v_add_u32_e32 v10, v10, v19
	s_nop 1
	v_mov_b32_dpp v19, v10 row_bcast:31 row_mask:0xf bank_mask:0xf
	v_cndmask_b32_e64 v19, 0, v19, s[2:3]
	v_add_u32_e32 v10, v10, v19
	s_and_saveexec_b64 s[14:15], s[0:1]
; %bb.7:                                ;   in Loop: Header=BB289_4 Depth=2
	ds_write_b32 v3, v10
; %bb.8:                                ;   in Loop: Header=BB289_4 Depth=2
	s_or_b64 exec, exec, s[14:15]
	ds_bpermute_b32 v10, v15, v10
	s_waitcnt lgkmcnt(0)
	; wave barrier
	v_cmp_lt_u32_e32 vcc, 55, v5
	s_and_b64 vcc, exec, vcc
	v_cndmask_b32_e64 v10, v10, 0, s[16:17]
	v_add_u32_e32 v11, v10, v11
	v_add_u32_e32 v12, v11, v12
	v_add_u32_e32 v9, v12, v9
	ds_write2_b32 v13, v10, v11 offset0:1 offset1:2
	ds_write2_b32 v13, v12, v9 offset0:3 offset1:4
	s_waitcnt lgkmcnt(0)
	; wave barrier
	ds_read_b32 v9, v18 offset:4
	s_mov_b64 s[14:15], -1
                                        ; implicit-def: $vgpr11_vgpr12
	s_waitcnt lgkmcnt(0)
	v_add_u32_e32 v4, v9, v4
                                        ; implicit-def: $vgpr9_vgpr10
	s_cbranch_vccnz .LBB289_3
; %bb.9:                                ;   in Loop: Header=BB289_4 Depth=2
	v_lshlrev_b32_e32 v11, 3, v4
	; wave barrier
	ds_write_b64 v11, v[7:8]
	s_waitcnt lgkmcnt(0)
	; wave barrier
	ds_read_b64 v[9:10], v14
	s_waitcnt lgkmcnt(0)
	; wave barrier
	ds_write_b64 v11, v[1:2]
	s_waitcnt lgkmcnt(0)
	; wave barrier
	ds_read_b64 v[11:12], v14
	v_add_co_u32_e32 v5, vcc, 8, v5
	v_addc_co_u32_e32 v6, vcc, 0, v6, vcc
	s_mov_b64 s[14:15], 0
	s_waitcnt lgkmcnt(0)
	; wave barrier
	s_branch .LBB289_3
.LBB289_10:
	s_waitcnt lgkmcnt(0)
	v_add_co_u32_e32 v1, vcc, v11, v9
	v_addc_co_u32_e32 v2, vcc, v12, v10, vcc
	s_add_u32 s0, s18, s20
	v_add_u32_e32 v2, 0x80000000, v2
	s_addc_u32 s1, s19, s21
	v_lshlrev_b32_e32 v0, 3, v0
	global_store_dwordx2 v0, v[1:2], s[0:1]
	s_endpgm
	.section	.rodata,"a",@progbits
	.p2align	6, 0x0
	.amdhsa_kernel _Z17sort_pairs_kernelI22helper_blocked_stripedxLj64ELj1ELj10EEvPKT0_PS1_
		.amdhsa_group_segment_fixed_size 1040
		.amdhsa_private_segment_fixed_size 0
		.amdhsa_kernarg_size 272
		.amdhsa_user_sgpr_count 6
		.amdhsa_user_sgpr_private_segment_buffer 1
		.amdhsa_user_sgpr_dispatch_ptr 0
		.amdhsa_user_sgpr_queue_ptr 0
		.amdhsa_user_sgpr_kernarg_segment_ptr 1
		.amdhsa_user_sgpr_dispatch_id 0
		.amdhsa_user_sgpr_flat_scratch_init 0
		.amdhsa_user_sgpr_private_segment_size 0
		.amdhsa_uses_dynamic_stack 0
		.amdhsa_system_sgpr_private_segment_wavefront_offset 0
		.amdhsa_system_sgpr_workgroup_id_x 1
		.amdhsa_system_sgpr_workgroup_id_y 0
		.amdhsa_system_sgpr_workgroup_id_z 0
		.amdhsa_system_sgpr_workgroup_info 0
		.amdhsa_system_vgpr_workitem_id 2
		.amdhsa_next_free_vgpr 20
		.amdhsa_next_free_sgpr 26
		.amdhsa_reserve_vcc 1
		.amdhsa_reserve_flat_scratch 0
		.amdhsa_float_round_mode_32 0
		.amdhsa_float_round_mode_16_64 0
		.amdhsa_float_denorm_mode_32 3
		.amdhsa_float_denorm_mode_16_64 3
		.amdhsa_dx10_clamp 1
		.amdhsa_ieee_mode 1
		.amdhsa_fp16_overflow 0
		.amdhsa_exception_fp_ieee_invalid_op 0
		.amdhsa_exception_fp_denorm_src 0
		.amdhsa_exception_fp_ieee_div_zero 0
		.amdhsa_exception_fp_ieee_overflow 0
		.amdhsa_exception_fp_ieee_underflow 0
		.amdhsa_exception_fp_ieee_inexact 0
		.amdhsa_exception_int_div_zero 0
	.end_amdhsa_kernel
	.section	.text._Z17sort_pairs_kernelI22helper_blocked_stripedxLj64ELj1ELj10EEvPKT0_PS1_,"axG",@progbits,_Z17sort_pairs_kernelI22helper_blocked_stripedxLj64ELj1ELj10EEvPKT0_PS1_,comdat
.Lfunc_end289:
	.size	_Z17sort_pairs_kernelI22helper_blocked_stripedxLj64ELj1ELj10EEvPKT0_PS1_, .Lfunc_end289-_Z17sort_pairs_kernelI22helper_blocked_stripedxLj64ELj1ELj10EEvPKT0_PS1_
                                        ; -- End function
	.set _Z17sort_pairs_kernelI22helper_blocked_stripedxLj64ELj1ELj10EEvPKT0_PS1_.num_vgpr, 20
	.set _Z17sort_pairs_kernelI22helper_blocked_stripedxLj64ELj1ELj10EEvPKT0_PS1_.num_agpr, 0
	.set _Z17sort_pairs_kernelI22helper_blocked_stripedxLj64ELj1ELj10EEvPKT0_PS1_.numbered_sgpr, 26
	.set _Z17sort_pairs_kernelI22helper_blocked_stripedxLj64ELj1ELj10EEvPKT0_PS1_.num_named_barrier, 0
	.set _Z17sort_pairs_kernelI22helper_blocked_stripedxLj64ELj1ELj10EEvPKT0_PS1_.private_seg_size, 0
	.set _Z17sort_pairs_kernelI22helper_blocked_stripedxLj64ELj1ELj10EEvPKT0_PS1_.uses_vcc, 1
	.set _Z17sort_pairs_kernelI22helper_blocked_stripedxLj64ELj1ELj10EEvPKT0_PS1_.uses_flat_scratch, 0
	.set _Z17sort_pairs_kernelI22helper_blocked_stripedxLj64ELj1ELj10EEvPKT0_PS1_.has_dyn_sized_stack, 0
	.set _Z17sort_pairs_kernelI22helper_blocked_stripedxLj64ELj1ELj10EEvPKT0_PS1_.has_recursion, 0
	.set _Z17sort_pairs_kernelI22helper_blocked_stripedxLj64ELj1ELj10EEvPKT0_PS1_.has_indirect_call, 0
	.section	.AMDGPU.csdata,"",@progbits
; Kernel info:
; codeLenInByte = 1120
; TotalNumSgprs: 30
; NumVgprs: 20
; ScratchSize: 0
; MemoryBound: 0
; FloatMode: 240
; IeeeMode: 1
; LDSByteSize: 1040 bytes/workgroup (compile time only)
; SGPRBlocks: 3
; VGPRBlocks: 4
; NumSGPRsForWavesPerEU: 30
; NumVGPRsForWavesPerEU: 20
; Occupancy: 10
; WaveLimiterHint : 0
; COMPUTE_PGM_RSRC2:SCRATCH_EN: 0
; COMPUTE_PGM_RSRC2:USER_SGPR: 6
; COMPUTE_PGM_RSRC2:TRAP_HANDLER: 0
; COMPUTE_PGM_RSRC2:TGID_X_EN: 1
; COMPUTE_PGM_RSRC2:TGID_Y_EN: 0
; COMPUTE_PGM_RSRC2:TGID_Z_EN: 0
; COMPUTE_PGM_RSRC2:TIDIG_COMP_CNT: 2
	.section	.text._Z16sort_keys_kernelI22helper_blocked_stripedxLj64ELj3ELj10EEvPKT0_PS1_,"axG",@progbits,_Z16sort_keys_kernelI22helper_blocked_stripedxLj64ELj3ELj10EEvPKT0_PS1_,comdat
	.protected	_Z16sort_keys_kernelI22helper_blocked_stripedxLj64ELj3ELj10EEvPKT0_PS1_ ; -- Begin function _Z16sort_keys_kernelI22helper_blocked_stripedxLj64ELj3ELj10EEvPKT0_PS1_
	.globl	_Z16sort_keys_kernelI22helper_blocked_stripedxLj64ELj3ELj10EEvPKT0_PS1_
	.p2align	8
	.type	_Z16sort_keys_kernelI22helper_blocked_stripedxLj64ELj3ELj10EEvPKT0_PS1_,@function
_Z16sort_keys_kernelI22helper_blocked_stripedxLj64ELj3ELj10EEvPKT0_PS1_: ; @_Z16sort_keys_kernelI22helper_blocked_stripedxLj64ELj3ELj10EEvPKT0_PS1_
; %bb.0:
	s_load_dwordx4 s[16:19], s[4:5], 0x0
	s_load_dword s2, s[4:5], 0x1c
	s_mul_i32 s20, s6, 0xc0
	s_mov_b32 s21, 0
	s_lshl_b64 s[22:23], s[20:21], 3
	s_waitcnt lgkmcnt(0)
	s_add_u32 s0, s16, s22
	v_mul_u32_u24_e32 v3, 3, v0
	s_addc_u32 s1, s17, s23
	v_lshlrev_b32_e32 v7, 3, v3
	global_load_dwordx2 v[8:9], v7, s[0:1] offset:16
	global_load_dwordx4 v[3:6], v7, s[0:1]
	v_mbcnt_lo_u32_b32 v7, -1, 0
	v_mbcnt_hi_u32_b32 v7, -1, v7
	s_lshr_b32 s0, s2, 16
	s_and_b32 s1, s2, 0xffff
	v_mad_u32_u24 v1, v2, s0, v1
	v_and_b32_e32 v2, 15, v7
	v_mad_u32_u24 v1, v1, s1, v0
	v_cmp_eq_u32_e64 s[0:1], 0, v2
	v_cmp_lt_u32_e64 s[2:3], 1, v2
	v_cmp_lt_u32_e64 s[4:5], 3, v2
	;; [unrolled: 1-line block ×3, first 2 shown]
	v_and_b32_e32 v2, 16, v7
	v_cmp_eq_u32_e64 s[8:9], 0, v2
	v_subrev_co_u32_e32 v2, vcc, 1, v7
	v_and_b32_e32 v10, 64, v7
	v_cmp_lt_i32_e64 s[14:15], v2, v10
	v_lshlrev_b32_e32 v20, 3, v0
	v_lshlrev_b32_e32 v19, 4, v0
	v_cmp_eq_u32_e64 s[12:13], 63, v0
	v_cndmask_b32_e64 v2, v2, v7, s[14:15]
	v_cmp_eq_u32_e64 s[14:15], 0, v0
	v_lshrrev_b32_e32 v1, 4, v1
	v_sub_u32_e32 v0, 0, v20
	v_mul_u32_u24_e32 v17, 24, v7
	v_lshlrev_b32_e32 v18, 3, v7
	v_cmp_lt_u32_e64 s[10:11], 31, v7
	v_lshlrev_b32_e32 v21, 2, v2
	s_or_b64 s[16:17], s[14:15], vcc
	v_and_b32_e32 v22, 0xffffffc, v1
	v_mov_b32_e32 v7, 0
	v_add_u32_e32 v23, v19, v0
	s_branch .LBB290_2
.LBB290_1:                              ;   in Loop: Header=BB290_2 Depth=1
	v_lshlrev_b32_e32 v0, 3, v27
	; wave barrier
	ds_write_b64 v0, v[13:14]
	v_lshlrev_b32_e32 v0, 3, v24
	ds_write_b64 v0, v[11:12]
	v_lshlrev_b32_e32 v0, 3, v6
	ds_write_b64 v0, v[4:5]
	s_waitcnt lgkmcnt(0)
	; wave barrier
	ds_read2st64_b64 v[3:6], v23 offset1:1
	ds_read_b64 v[8:9], v23 offset:1024
	s_add_i32 s21, s21, 1
	s_cmp_eq_u32 s21, 10
	s_waitcnt lgkmcnt(1)
	v_xor_b32_e32 v4, 0x80000000, v4
	v_xor_b32_e32 v6, 0x80000000, v6
	s_waitcnt lgkmcnt(0)
	v_xor_b32_e32 v9, 0x80000000, v9
	s_cbranch_scc1 .LBB290_14
.LBB290_2:                              ; =>This Loop Header: Depth=1
                                        ;     Child Loop BB290_4 Depth 2
	s_waitcnt vmcnt(0)
	v_xor_b32_e32 v4, 0x80000000, v4
	v_xor_b32_e32 v6, 0x80000000, v6
	;; [unrolled: 1-line block ×3, first 2 shown]
	ds_write2_b64 v17, v[3:4], v[5:6] offset1:1
	ds_write_b64 v17, v[8:9] offset:16
	; wave barrier
	ds_read2st64_b64 v[0:3], v18 offset1:1
	ds_read_b64 v[15:16], v18 offset:1024
	v_mov_b32_e32 v9, 0
	v_mov_b32_e32 v10, 0
	s_waitcnt lgkmcnt(0)
	; wave barrier
	; wave barrier
	;; [unrolled: 1-line block ×3, first 2 shown]
	s_branch .LBB290_4
.LBB290_3:                              ;   in Loop: Header=BB290_4 Depth=2
	s_andn2_b64 vcc, exec, s[14:15]
	s_cbranch_vccz .LBB290_1
.LBB290_4:                              ;   Parent Loop BB290_2 Depth=1
                                        ; =>  This Inner Loop Header: Depth=2
	v_mov_b32_e32 v14, v1
	v_mov_b32_e32 v13, v0
	v_lshrrev_b64 v[0:1], v9, v[13:14]
	v_mov_b32_e32 v12, v3
	v_and_b32_e32 v1, 0xff, v0
	v_lshl_add_u32 v6, v1, 2, v22
	v_and_b32_e32 v1, 1, v0
	v_mov_b32_e32 v11, v2
	v_add_co_u32_e32 v2, vcc, -1, v1
	v_addc_co_u32_e64 v3, s[14:15], 0, -1, vcc
	v_cmp_ne_u32_e32 vcc, 0, v1
	v_lshlrev_b32_e32 v8, 30, v0
	v_xor_b32_e32 v1, vcc_hi, v3
	v_xor_b32_e32 v2, vcc_lo, v2
	v_cmp_gt_i64_e32 vcc, 0, v[7:8]
	v_not_b32_e32 v3, v8
	v_ashrrev_i32_e32 v3, 31, v3
	v_and_b32_e32 v1, exec_hi, v1
	v_xor_b32_e32 v8, vcc_hi, v3
	v_and_b32_e32 v2, exec_lo, v2
	v_xor_b32_e32 v3, vcc_lo, v3
	v_and_b32_e32 v1, v1, v8
	v_lshlrev_b32_e32 v8, 29, v0
	v_and_b32_e32 v2, v2, v3
	v_cmp_gt_i64_e32 vcc, 0, v[7:8]
	v_not_b32_e32 v3, v8
	v_ashrrev_i32_e32 v3, 31, v3
	v_xor_b32_e32 v8, vcc_hi, v3
	v_xor_b32_e32 v3, vcc_lo, v3
	v_and_b32_e32 v1, v1, v8
	v_lshlrev_b32_e32 v8, 28, v0
	v_and_b32_e32 v2, v2, v3
	v_cmp_gt_i64_e32 vcc, 0, v[7:8]
	v_not_b32_e32 v3, v8
	v_ashrrev_i32_e32 v3, 31, v3
	v_xor_b32_e32 v8, vcc_hi, v3
	;; [unrolled: 8-line block ×5, first 2 shown]
	v_and_b32_e32 v1, v1, v8
	v_lshlrev_b32_e32 v8, 24, v0
	v_xor_b32_e32 v3, vcc_lo, v3
	v_cmp_gt_i64_e32 vcc, 0, v[7:8]
	v_not_b32_e32 v0, v8
	v_ashrrev_i32_e32 v0, 31, v0
	v_and_b32_e32 v2, v2, v3
	v_xor_b32_e32 v3, vcc_hi, v0
	v_xor_b32_e32 v0, vcc_lo, v0
	v_and_b32_e32 v0, v2, v0
	v_mov_b32_e32 v4, v15
	v_and_b32_e32 v1, v1, v3
	v_mbcnt_lo_u32_b32 v2, v0, 0
	v_mov_b32_e32 v5, v16
	v_mbcnt_hi_u32_b32 v15, v1, v2
	v_cmp_ne_u64_e32 vcc, 0, v[0:1]
	v_cmp_eq_u32_e64 s[14:15], 0, v15
	s_and_b64 s[24:25], vcc, s[14:15]
	ds_write2_b32 v19, v7, v7 offset0:1 offset1:2
	ds_write2_b32 v19, v7, v7 offset0:3 offset1:4
	s_waitcnt lgkmcnt(0)
	; wave barrier
	; wave barrier
	s_and_saveexec_b64 s[14:15], s[24:25]
; %bb.5:                                ;   in Loop: Header=BB290_4 Depth=2
	v_bcnt_u32_b32 v0, v0, 0
	v_bcnt_u32_b32 v0, v1, v0
	ds_write_b32 v6, v0 offset:4
; %bb.6:                                ;   in Loop: Header=BB290_4 Depth=2
	s_or_b64 exec, exec, s[14:15]
	v_lshrrev_b64 v[0:1], v9, v[11:12]
	v_and_b32_e32 v1, 0xff, v0
	v_lshl_add_u32 v24, v1, 2, v22
	v_and_b32_e32 v1, 1, v0
	v_add_co_u32_e32 v2, vcc, -1, v1
	v_addc_co_u32_e64 v3, s[14:15], 0, -1, vcc
	v_cmp_ne_u32_e32 vcc, 0, v1
	v_lshlrev_b32_e32 v8, 30, v0
	v_xor_b32_e32 v1, vcc_hi, v3
	v_xor_b32_e32 v2, vcc_lo, v2
	v_cmp_gt_i64_e32 vcc, 0, v[7:8]
	v_not_b32_e32 v3, v8
	v_ashrrev_i32_e32 v3, 31, v3
	v_and_b32_e32 v1, exec_hi, v1
	v_xor_b32_e32 v8, vcc_hi, v3
	v_and_b32_e32 v2, exec_lo, v2
	v_xor_b32_e32 v3, vcc_lo, v3
	v_and_b32_e32 v1, v1, v8
	v_lshlrev_b32_e32 v8, 29, v0
	v_and_b32_e32 v2, v2, v3
	v_cmp_gt_i64_e32 vcc, 0, v[7:8]
	v_not_b32_e32 v3, v8
	v_ashrrev_i32_e32 v3, 31, v3
	v_xor_b32_e32 v8, vcc_hi, v3
	v_xor_b32_e32 v3, vcc_lo, v3
	v_and_b32_e32 v1, v1, v8
	v_lshlrev_b32_e32 v8, 28, v0
	v_and_b32_e32 v2, v2, v3
	v_cmp_gt_i64_e32 vcc, 0, v[7:8]
	v_not_b32_e32 v3, v8
	v_ashrrev_i32_e32 v3, 31, v3
	v_xor_b32_e32 v8, vcc_hi, v3
	;; [unrolled: 8-line block ×5, first 2 shown]
	v_and_b32_e32 v1, v1, v8
	v_lshlrev_b32_e32 v8, 24, v0
	v_xor_b32_e32 v3, vcc_lo, v3
	v_cmp_gt_i64_e32 vcc, 0, v[7:8]
	v_not_b32_e32 v0, v8
	v_ashrrev_i32_e32 v0, 31, v0
	v_and_b32_e32 v2, v2, v3
	v_xor_b32_e32 v3, vcc_hi, v0
	v_xor_b32_e32 v0, vcc_lo, v0
	; wave barrier
	ds_read_b32 v16, v24 offset:4
	v_and_b32_e32 v0, v2, v0
	v_and_b32_e32 v1, v1, v3
	v_mbcnt_lo_u32_b32 v2, v0, 0
	v_mbcnt_hi_u32_b32 v25, v1, v2
	v_cmp_ne_u64_e32 vcc, 0, v[0:1]
	v_cmp_eq_u32_e64 s[14:15], 0, v25
	s_and_b64 s[24:25], vcc, s[14:15]
	; wave barrier
	s_and_saveexec_b64 s[14:15], s[24:25]
	s_cbranch_execz .LBB290_8
; %bb.7:                                ;   in Loop: Header=BB290_4 Depth=2
	v_bcnt_u32_b32 v0, v0, 0
	v_bcnt_u32_b32 v0, v1, v0
	s_waitcnt lgkmcnt(0)
	v_add_u32_e32 v0, v16, v0
	ds_write_b32 v24, v0 offset:4
.LBB290_8:                              ;   in Loop: Header=BB290_4 Depth=2
	s_or_b64 exec, exec, s[14:15]
	v_lshrrev_b64 v[0:1], v9, v[4:5]
	v_and_b32_e32 v1, 0xff, v0
	v_lshl_add_u32 v27, v1, 2, v22
	v_and_b32_e32 v1, 1, v0
	v_add_co_u32_e32 v2, vcc, -1, v1
	v_addc_co_u32_e64 v3, s[14:15], 0, -1, vcc
	v_cmp_ne_u32_e32 vcc, 0, v1
	v_lshlrev_b32_e32 v8, 30, v0
	v_xor_b32_e32 v1, vcc_hi, v3
	v_xor_b32_e32 v2, vcc_lo, v2
	v_cmp_gt_i64_e32 vcc, 0, v[7:8]
	v_not_b32_e32 v3, v8
	v_ashrrev_i32_e32 v3, 31, v3
	v_and_b32_e32 v1, exec_hi, v1
	v_xor_b32_e32 v8, vcc_hi, v3
	v_and_b32_e32 v2, exec_lo, v2
	v_xor_b32_e32 v3, vcc_lo, v3
	v_and_b32_e32 v1, v1, v8
	v_lshlrev_b32_e32 v8, 29, v0
	v_and_b32_e32 v2, v2, v3
	v_cmp_gt_i64_e32 vcc, 0, v[7:8]
	v_not_b32_e32 v3, v8
	v_ashrrev_i32_e32 v3, 31, v3
	v_xor_b32_e32 v8, vcc_hi, v3
	v_xor_b32_e32 v3, vcc_lo, v3
	v_and_b32_e32 v1, v1, v8
	v_lshlrev_b32_e32 v8, 28, v0
	v_and_b32_e32 v2, v2, v3
	v_cmp_gt_i64_e32 vcc, 0, v[7:8]
	v_not_b32_e32 v3, v8
	v_ashrrev_i32_e32 v3, 31, v3
	v_xor_b32_e32 v8, vcc_hi, v3
	v_xor_b32_e32 v3, vcc_lo, v3
	v_and_b32_e32 v1, v1, v8
	v_lshlrev_b32_e32 v8, 27, v0
	v_and_b32_e32 v2, v2, v3
	v_cmp_gt_i64_e32 vcc, 0, v[7:8]
	v_not_b32_e32 v3, v8
	v_ashrrev_i32_e32 v3, 31, v3
	v_xor_b32_e32 v8, vcc_hi, v3
	v_xor_b32_e32 v3, vcc_lo, v3
	v_and_b32_e32 v1, v1, v8
	v_lshlrev_b32_e32 v8, 26, v0
	v_and_b32_e32 v2, v2, v3
	v_cmp_gt_i64_e32 vcc, 0, v[7:8]
	v_not_b32_e32 v3, v8
	v_ashrrev_i32_e32 v3, 31, v3
	v_xor_b32_e32 v8, vcc_hi, v3
	v_xor_b32_e32 v3, vcc_lo, v3
	v_and_b32_e32 v1, v1, v8
	v_lshlrev_b32_e32 v8, 25, v0
	v_and_b32_e32 v2, v2, v3
	v_cmp_gt_i64_e32 vcc, 0, v[7:8]
	v_not_b32_e32 v3, v8
	v_ashrrev_i32_e32 v3, 31, v3
	v_xor_b32_e32 v8, vcc_hi, v3
	v_and_b32_e32 v1, v1, v8
	v_lshlrev_b32_e32 v8, 24, v0
	v_xor_b32_e32 v3, vcc_lo, v3
	v_cmp_gt_i64_e32 vcc, 0, v[7:8]
	v_not_b32_e32 v0, v8
	v_ashrrev_i32_e32 v0, 31, v0
	v_and_b32_e32 v2, v2, v3
	v_xor_b32_e32 v3, vcc_hi, v0
	v_xor_b32_e32 v0, vcc_lo, v0
	; wave barrier
	ds_read_b32 v26, v27 offset:4
	v_and_b32_e32 v0, v2, v0
	v_and_b32_e32 v1, v1, v3
	v_mbcnt_lo_u32_b32 v2, v0, 0
	v_mbcnt_hi_u32_b32 v8, v1, v2
	v_cmp_ne_u64_e32 vcc, 0, v[0:1]
	v_cmp_eq_u32_e64 s[14:15], 0, v8
	s_and_b64 s[24:25], vcc, s[14:15]
	; wave barrier
	s_and_saveexec_b64 s[14:15], s[24:25]
	s_cbranch_execz .LBB290_10
; %bb.9:                                ;   in Loop: Header=BB290_4 Depth=2
	v_bcnt_u32_b32 v0, v0, 0
	v_bcnt_u32_b32 v0, v1, v0
	s_waitcnt lgkmcnt(0)
	v_add_u32_e32 v0, v26, v0
	ds_write_b32 v27, v0 offset:4
.LBB290_10:                             ;   in Loop: Header=BB290_4 Depth=2
	s_or_b64 exec, exec, s[14:15]
	; wave barrier
	s_waitcnt lgkmcnt(0)
	; wave barrier
	ds_read2_b32 v[2:3], v19 offset0:1 offset1:2
	ds_read2_b32 v[0:1], v19 offset0:3 offset1:4
	s_waitcnt lgkmcnt(1)
	v_add_u32_e32 v28, v3, v2
	s_waitcnt lgkmcnt(0)
	v_add3_u32 v1, v28, v0, v1
	s_nop 1
	v_mov_b32_dpp v28, v1 row_shr:1 row_mask:0xf bank_mask:0xf
	v_cndmask_b32_e64 v28, v28, 0, s[0:1]
	v_add_u32_e32 v1, v28, v1
	s_nop 1
	v_mov_b32_dpp v28, v1 row_shr:2 row_mask:0xf bank_mask:0xf
	v_cndmask_b32_e64 v28, 0, v28, s[2:3]
	v_add_u32_e32 v1, v1, v28
	;; [unrolled: 4-line block ×4, first 2 shown]
	s_nop 1
	v_mov_b32_dpp v28, v1 row_bcast:15 row_mask:0xf bank_mask:0xf
	v_cndmask_b32_e64 v28, v28, 0, s[8:9]
	v_add_u32_e32 v1, v1, v28
	s_nop 1
	v_mov_b32_dpp v28, v1 row_bcast:31 row_mask:0xf bank_mask:0xf
	v_cndmask_b32_e64 v28, 0, v28, s[10:11]
	v_add_u32_e32 v1, v1, v28
	s_and_saveexec_b64 s[14:15], s[12:13]
; %bb.11:                               ;   in Loop: Header=BB290_4 Depth=2
	ds_write_b32 v7, v1
; %bb.12:                               ;   in Loop: Header=BB290_4 Depth=2
	s_or_b64 exec, exec, s[14:15]
	ds_bpermute_b32 v1, v21, v1
	s_waitcnt lgkmcnt(0)
	; wave barrier
	v_cmp_lt_u32_e32 vcc, 55, v9
	s_and_b64 vcc, exec, vcc
	v_cndmask_b32_e64 v1, v1, 0, s[16:17]
	v_add_u32_e32 v2, v1, v2
	v_add_u32_e32 v3, v2, v3
	;; [unrolled: 1-line block ×3, first 2 shown]
	ds_write2_b32 v19, v1, v2 offset0:1 offset1:2
	ds_write2_b32 v19, v3, v0 offset0:3 offset1:4
	s_waitcnt lgkmcnt(0)
	; wave barrier
	ds_read_b32 v0, v6 offset:4
	ds_read_b32 v1, v24 offset:4
	;; [unrolled: 1-line block ×3, first 2 shown]
	s_mov_b64 s[14:15], -1
	s_waitcnt lgkmcnt(2)
	v_add_u32_e32 v27, v0, v15
	s_waitcnt lgkmcnt(1)
	v_add3_u32 v24, v25, v16, v1
	s_waitcnt lgkmcnt(0)
	v_add3_u32 v6, v8, v26, v2
                                        ; implicit-def: $vgpr15_vgpr16
                                        ; implicit-def: $vgpr2_vgpr3
	s_cbranch_vccnz .LBB290_3
; %bb.13:                               ;   in Loop: Header=BB290_4 Depth=2
	v_lshlrev_b32_e32 v0, 3, v27
	; wave barrier
	ds_write_b64 v0, v[13:14]
	v_lshlrev_b32_e32 v0, 3, v24
	ds_write_b64 v0, v[11:12]
	v_lshlrev_b32_e32 v0, 3, v6
	ds_write_b64 v0, v[4:5]
	s_waitcnt lgkmcnt(0)
	; wave barrier
	ds_read2st64_b64 v[0:3], v18 offset1:1
	ds_read_b64 v[15:16], v18 offset:1024
	v_add_co_u32_e32 v9, vcc, 8, v9
	v_addc_co_u32_e32 v10, vcc, 0, v10, vcc
	s_mov_b64 s[14:15], 0
	s_waitcnt lgkmcnt(0)
	; wave barrier
	s_branch .LBB290_3
.LBB290_14:
	s_add_u32 s0, s18, s22
	s_addc_u32 s1, s19, s23
	global_store_dwordx2 v20, v[3:4], s[0:1]
	global_store_dwordx2 v20, v[5:6], s[0:1] offset:512
	global_store_dwordx2 v20, v[8:9], s[0:1] offset:1024
	s_endpgm
	.section	.rodata,"a",@progbits
	.p2align	6, 0x0
	.amdhsa_kernel _Z16sort_keys_kernelI22helper_blocked_stripedxLj64ELj3ELj10EEvPKT0_PS1_
		.amdhsa_group_segment_fixed_size 1536
		.amdhsa_private_segment_fixed_size 0
		.amdhsa_kernarg_size 272
		.amdhsa_user_sgpr_count 6
		.amdhsa_user_sgpr_private_segment_buffer 1
		.amdhsa_user_sgpr_dispatch_ptr 0
		.amdhsa_user_sgpr_queue_ptr 0
		.amdhsa_user_sgpr_kernarg_segment_ptr 1
		.amdhsa_user_sgpr_dispatch_id 0
		.amdhsa_user_sgpr_flat_scratch_init 0
		.amdhsa_user_sgpr_private_segment_size 0
		.amdhsa_uses_dynamic_stack 0
		.amdhsa_system_sgpr_private_segment_wavefront_offset 0
		.amdhsa_system_sgpr_workgroup_id_x 1
		.amdhsa_system_sgpr_workgroup_id_y 0
		.amdhsa_system_sgpr_workgroup_id_z 0
		.amdhsa_system_sgpr_workgroup_info 0
		.amdhsa_system_vgpr_workitem_id 2
		.amdhsa_next_free_vgpr 29
		.amdhsa_next_free_sgpr 26
		.amdhsa_reserve_vcc 1
		.amdhsa_reserve_flat_scratch 0
		.amdhsa_float_round_mode_32 0
		.amdhsa_float_round_mode_16_64 0
		.amdhsa_float_denorm_mode_32 3
		.amdhsa_float_denorm_mode_16_64 3
		.amdhsa_dx10_clamp 1
		.amdhsa_ieee_mode 1
		.amdhsa_fp16_overflow 0
		.amdhsa_exception_fp_ieee_invalid_op 0
		.amdhsa_exception_fp_denorm_src 0
		.amdhsa_exception_fp_ieee_div_zero 0
		.amdhsa_exception_fp_ieee_overflow 0
		.amdhsa_exception_fp_ieee_underflow 0
		.amdhsa_exception_fp_ieee_inexact 0
		.amdhsa_exception_int_div_zero 0
	.end_amdhsa_kernel
	.section	.text._Z16sort_keys_kernelI22helper_blocked_stripedxLj64ELj3ELj10EEvPKT0_PS1_,"axG",@progbits,_Z16sort_keys_kernelI22helper_blocked_stripedxLj64ELj3ELj10EEvPKT0_PS1_,comdat
.Lfunc_end290:
	.size	_Z16sort_keys_kernelI22helper_blocked_stripedxLj64ELj3ELj10EEvPKT0_PS1_, .Lfunc_end290-_Z16sort_keys_kernelI22helper_blocked_stripedxLj64ELj3ELj10EEvPKT0_PS1_
                                        ; -- End function
	.set _Z16sort_keys_kernelI22helper_blocked_stripedxLj64ELj3ELj10EEvPKT0_PS1_.num_vgpr, 29
	.set _Z16sort_keys_kernelI22helper_blocked_stripedxLj64ELj3ELj10EEvPKT0_PS1_.num_agpr, 0
	.set _Z16sort_keys_kernelI22helper_blocked_stripedxLj64ELj3ELj10EEvPKT0_PS1_.numbered_sgpr, 26
	.set _Z16sort_keys_kernelI22helper_blocked_stripedxLj64ELj3ELj10EEvPKT0_PS1_.num_named_barrier, 0
	.set _Z16sort_keys_kernelI22helper_blocked_stripedxLj64ELj3ELj10EEvPKT0_PS1_.private_seg_size, 0
	.set _Z16sort_keys_kernelI22helper_blocked_stripedxLj64ELj3ELj10EEvPKT0_PS1_.uses_vcc, 1
	.set _Z16sort_keys_kernelI22helper_blocked_stripedxLj64ELj3ELj10EEvPKT0_PS1_.uses_flat_scratch, 0
	.set _Z16sort_keys_kernelI22helper_blocked_stripedxLj64ELj3ELj10EEvPKT0_PS1_.has_dyn_sized_stack, 0
	.set _Z16sort_keys_kernelI22helper_blocked_stripedxLj64ELj3ELj10EEvPKT0_PS1_.has_recursion, 0
	.set _Z16sort_keys_kernelI22helper_blocked_stripedxLj64ELj3ELj10EEvPKT0_PS1_.has_indirect_call, 0
	.section	.AMDGPU.csdata,"",@progbits
; Kernel info:
; codeLenInByte = 2008
; TotalNumSgprs: 30
; NumVgprs: 29
; ScratchSize: 0
; MemoryBound: 0
; FloatMode: 240
; IeeeMode: 1
; LDSByteSize: 1536 bytes/workgroup (compile time only)
; SGPRBlocks: 3
; VGPRBlocks: 7
; NumSGPRsForWavesPerEU: 30
; NumVGPRsForWavesPerEU: 29
; Occupancy: 8
; WaveLimiterHint : 1
; COMPUTE_PGM_RSRC2:SCRATCH_EN: 0
; COMPUTE_PGM_RSRC2:USER_SGPR: 6
; COMPUTE_PGM_RSRC2:TRAP_HANDLER: 0
; COMPUTE_PGM_RSRC2:TGID_X_EN: 1
; COMPUTE_PGM_RSRC2:TGID_Y_EN: 0
; COMPUTE_PGM_RSRC2:TGID_Z_EN: 0
; COMPUTE_PGM_RSRC2:TIDIG_COMP_CNT: 2
	.section	.text._Z17sort_pairs_kernelI22helper_blocked_stripedxLj64ELj3ELj10EEvPKT0_PS1_,"axG",@progbits,_Z17sort_pairs_kernelI22helper_blocked_stripedxLj64ELj3ELj10EEvPKT0_PS1_,comdat
	.protected	_Z17sort_pairs_kernelI22helper_blocked_stripedxLj64ELj3ELj10EEvPKT0_PS1_ ; -- Begin function _Z17sort_pairs_kernelI22helper_blocked_stripedxLj64ELj3ELj10EEvPKT0_PS1_
	.globl	_Z17sort_pairs_kernelI22helper_blocked_stripedxLj64ELj3ELj10EEvPKT0_PS1_
	.p2align	8
	.type	_Z17sort_pairs_kernelI22helper_blocked_stripedxLj64ELj3ELj10EEvPKT0_PS1_,@function
_Z17sort_pairs_kernelI22helper_blocked_stripedxLj64ELj3ELj10EEvPKT0_PS1_: ; @_Z17sort_pairs_kernelI22helper_blocked_stripedxLj64ELj3ELj10EEvPKT0_PS1_
; %bb.0:
	s_load_dwordx4 s[16:19], s[4:5], 0x0
	s_load_dword s24, s[4:5], 0x1c
	s_mul_i32 s22, s6, 0xc0
	s_mov_b32 s23, 0
	s_lshl_b64 s[20:21], s[22:23], 3
	s_waitcnt lgkmcnt(0)
	s_add_u32 s0, s16, s20
	v_mul_u32_u24_e32 v3, 3, v0
	s_addc_u32 s1, s17, s21
	v_lshlrev_b32_e32 v7, 3, v3
	global_load_dwordx4 v[3:6], v7, s[0:1]
	global_load_dwordx2 v[12:13], v7, s[0:1] offset:16
	v_mbcnt_lo_u32_b32 v7, -1, 0
	v_mbcnt_hi_u32_b32 v7, -1, v7
	v_subrev_co_u32_e64 v10, s[14:15], 1, v7
	v_and_b32_e32 v11, 64, v7
	v_cmp_lt_i32_e64 s[16:17], v10, v11
	v_cmp_eq_u32_e32 vcc, 0, v0
	v_mul_u32_u24_e32 v31, 24, v7
	v_lshlrev_b32_e32 v32, 3, v7
	v_and_b32_e32 v8, 15, v7
	v_and_b32_e32 v9, 16, v7
	v_cmp_lt_u32_e64 s[2:3], 31, v7
	v_cndmask_b32_e64 v7, v10, v7, s[16:17]
	v_lshlrev_b32_e32 v34, 2, v7
	s_or_b64 s[16:17], vcc, s[14:15]
	v_cmp_eq_u32_e64 s[4:5], 0, v8
	v_cmp_lt_u32_e64 s[6:7], 1, v8
	v_cmp_lt_u32_e64 s[8:9], 3, v8
	;; [unrolled: 1-line block ×3, first 2 shown]
	s_lshr_b32 s22, s24, 16
	v_lshlrev_b32_e32 v29, 3, v0
	v_cmp_eq_u32_e64 s[12:13], 0, v9
	s_and_b32 s24, s24, 0xffff
	v_mad_u32_u24 v1, v2, s22, v1
	v_lshlrev_b32_e32 v30, 4, v0
	v_cmp_eq_u32_e64 s[0:1], 63, v0
	v_sub_u32_e32 v14, 0, v29
	v_mad_u32_u24 v0, v1, s24, v0
	v_add_u32_e32 v33, v30, v14
	v_lshrrev_b32_e32 v0, 4, v0
	v_and_b32_e32 v35, 0xffffffc, v0
	v_mov_b32_e32 v11, 0
	s_waitcnt vmcnt(1)
	v_add_co_u32_e32 v7, vcc, 1, v3
	v_addc_co_u32_e32 v8, vcc, 0, v4, vcc
	v_add_co_u32_e32 v9, vcc, 1, v5
	v_addc_co_u32_e32 v10, vcc, 0, v6, vcc
	s_waitcnt vmcnt(0)
	v_add_co_u32_e32 v14, vcc, 1, v12
	v_addc_co_u32_e32 v15, vcc, 0, v13, vcc
	s_branch .LBB291_2
.LBB291_1:                              ;   in Loop: Header=BB291_2 Depth=1
	v_lshlrev_b32_e32 v0, 3, v36
	v_lshlrev_b32_e32 v1, 3, v12
	;; [unrolled: 1-line block ×3, first 2 shown]
	; wave barrier
	ds_write_b64 v0, v[19:20]
	ds_write_b64 v1, v[17:18]
	;; [unrolled: 1-line block ×3, first 2 shown]
	s_waitcnt lgkmcnt(0)
	; wave barrier
	ds_read2st64_b64 v[3:6], v33 offset1:1
	ds_read_b64 v[12:13], v33 offset:1024
	s_waitcnt lgkmcnt(0)
	; wave barrier
	ds_write_b64 v0, v[15:16]
	ds_write_b64 v1, v[8:9]
	;; [unrolled: 1-line block ×3, first 2 shown]
	s_waitcnt lgkmcnt(0)
	; wave barrier
	ds_read2st64_b64 v[7:10], v33 offset1:1
	ds_read_b64 v[14:15], v33 offset:1024
	s_add_i32 s23, s23, 1
	v_xor_b32_e32 v4, 0x80000000, v4
	v_xor_b32_e32 v6, 0x80000000, v6
	s_cmp_eq_u32 s23, 10
	v_xor_b32_e32 v13, 0x80000000, v13
	s_cbranch_scc1 .LBB291_14
.LBB291_2:                              ; =>This Loop Header: Depth=1
                                        ;     Child Loop BB291_4 Depth 2
	v_xor_b32_e32 v4, 0x80000000, v4
	v_xor_b32_e32 v6, 0x80000000, v6
	;; [unrolled: 1-line block ×3, first 2 shown]
	ds_write2_b64 v31, v[3:4], v[5:6] offset1:1
	ds_write_b64 v31, v[12:13] offset:16
	; wave barrier
	ds_read2st64_b64 v[0:3], v32 offset1:1
	ds_read_b64 v[25:26], v32 offset:1024
	; wave barrier
	s_waitcnt lgkmcnt(5)
	ds_write2_b64 v31, v[7:8], v[9:10] offset1:1
	s_waitcnt lgkmcnt(5)
	ds_write_b64 v31, v[14:15] offset:16
	; wave barrier
	ds_read2st64_b64 v[4:7], v32 offset1:1
	ds_read_b64 v[27:28], v32 offset:1024
	v_mov_b32_e32 v13, 0
	v_mov_b32_e32 v14, 0
	s_waitcnt lgkmcnt(0)
	; wave barrier
	s_branch .LBB291_4
.LBB291_3:                              ;   in Loop: Header=BB291_4 Depth=2
	s_andn2_b64 vcc, exec, s[14:15]
	s_cbranch_vccz .LBB291_1
.LBB291_4:                              ;   Parent Loop BB291_2 Depth=1
                                        ; =>  This Inner Loop Header: Depth=2
	v_mov_b32_e32 v20, v1
	v_mov_b32_e32 v18, v3
	;; [unrolled: 1-line block ×4, first 2 shown]
	v_lshrrev_b64 v[2:3], v13, v[19:20]
	v_mov_b32_e32 v16, v5
	v_and_b32_e32 v0, 1, v2
	v_cmp_ne_u32_e32 vcc, 0, v0
	v_add_co_u32_e64 v0, s[14:15], -1, v0
	v_addc_co_u32_e64 v1, s[14:15], 0, -1, s[14:15]
	v_lshlrev_b32_e32 v12, 30, v2
	v_cmp_gt_i64_e64 s[14:15], 0, v[11:12]
	v_not_b32_e32 v3, v12
	v_ashrrev_i32_e32 v3, 31, v3
	v_xor_b32_e32 v0, vcc_lo, v0
	v_mov_b32_e32 v15, v4
	v_xor_b32_e32 v4, s15, v3
	v_and_b32_e32 v0, exec_lo, v0
	v_xor_b32_e32 v3, s14, v3
	v_lshlrev_b32_e32 v12, 29, v2
	v_xor_b32_e32 v1, vcc_hi, v1
	v_and_b32_e32 v0, v0, v3
	v_cmp_gt_i64_e32 vcc, 0, v[11:12]
	v_not_b32_e32 v3, v12
	v_and_b32_e32 v1, exec_hi, v1
	v_ashrrev_i32_e32 v3, 31, v3
	v_and_b32_e32 v1, v1, v4
	v_xor_b32_e32 v4, vcc_hi, v3
	v_xor_b32_e32 v3, vcc_lo, v3
	v_lshlrev_b32_e32 v12, 28, v2
	v_and_b32_e32 v0, v0, v3
	v_cmp_gt_i64_e32 vcc, 0, v[11:12]
	v_not_b32_e32 v3, v12
	v_ashrrev_i32_e32 v3, 31, v3
	v_and_b32_e32 v1, v1, v4
	v_xor_b32_e32 v4, vcc_hi, v3
	v_xor_b32_e32 v3, vcc_lo, v3
	v_lshlrev_b32_e32 v12, 27, v2
	v_and_b32_e32 v0, v0, v3
	v_cmp_gt_i64_e32 vcc, 0, v[11:12]
	v_not_b32_e32 v3, v12
	;; [unrolled: 8-line block ×5, first 2 shown]
	v_ashrrev_i32_e32 v3, 31, v3
	v_and_b32_e32 v1, v1, v4
	v_xor_b32_e32 v4, vcc_hi, v3
	v_xor_b32_e32 v3, vcc_lo, v3
	v_and_b32_e32 v0, v0, v3
	v_and_b32_e32 v2, 0xff, v2
	;; [unrolled: 1-line block ×3, first 2 shown]
	v_lshl_add_u32 v4, v2, 2, v35
	v_mbcnt_lo_u32_b32 v2, v0, 0
	v_mbcnt_hi_u32_b32 v5, v1, v2
	v_cmp_ne_u64_e32 vcc, 0, v[0:1]
	v_mov_b32_e32 v9, v7
	v_mov_b32_e32 v23, v25
	;; [unrolled: 1-line block ×3, first 2 shown]
	v_cmp_eq_u32_e64 s[14:15], 0, v5
	v_mov_b32_e32 v8, v6
	v_mov_b32_e32 v24, v26
	;; [unrolled: 1-line block ×3, first 2 shown]
	s_and_b64 s[24:25], vcc, s[14:15]
	ds_write2_b32 v30, v11, v11 offset0:1 offset1:2
	ds_write2_b32 v30, v11, v11 offset0:3 offset1:4
	s_waitcnt lgkmcnt(0)
	; wave barrier
	; wave barrier
	s_and_saveexec_b64 s[14:15], s[24:25]
; %bb.5:                                ;   in Loop: Header=BB291_4 Depth=2
	v_bcnt_u32_b32 v0, v0, 0
	v_bcnt_u32_b32 v0, v1, v0
	ds_write_b32 v4, v0 offset:4
; %bb.6:                                ;   in Loop: Header=BB291_4 Depth=2
	s_or_b64 exec, exec, s[14:15]
	v_lshrrev_b64 v[0:1], v13, v[17:18]
	v_and_b32_e32 v1, 0xff, v0
	v_lshl_add_u32 v7, v1, 2, v35
	v_and_b32_e32 v1, 1, v0
	v_add_co_u32_e32 v2, vcc, -1, v1
	v_addc_co_u32_e64 v3, s[14:15], 0, -1, vcc
	v_cmp_ne_u32_e32 vcc, 0, v1
	v_lshlrev_b32_e32 v12, 30, v0
	v_xor_b32_e32 v1, vcc_hi, v3
	v_xor_b32_e32 v2, vcc_lo, v2
	v_cmp_gt_i64_e32 vcc, 0, v[11:12]
	v_not_b32_e32 v3, v12
	v_ashrrev_i32_e32 v3, 31, v3
	v_and_b32_e32 v2, exec_lo, v2
	v_xor_b32_e32 v10, vcc_hi, v3
	v_xor_b32_e32 v3, vcc_lo, v3
	v_lshlrev_b32_e32 v12, 29, v0
	v_and_b32_e32 v2, v2, v3
	v_cmp_gt_i64_e32 vcc, 0, v[11:12]
	v_not_b32_e32 v3, v12
	v_and_b32_e32 v1, exec_hi, v1
	v_ashrrev_i32_e32 v3, 31, v3
	v_and_b32_e32 v1, v1, v10
	v_xor_b32_e32 v10, vcc_hi, v3
	v_xor_b32_e32 v3, vcc_lo, v3
	v_lshlrev_b32_e32 v12, 28, v0
	v_and_b32_e32 v2, v2, v3
	v_cmp_gt_i64_e32 vcc, 0, v[11:12]
	v_not_b32_e32 v3, v12
	v_ashrrev_i32_e32 v3, 31, v3
	v_and_b32_e32 v1, v1, v10
	v_xor_b32_e32 v10, vcc_hi, v3
	v_xor_b32_e32 v3, vcc_lo, v3
	v_lshlrev_b32_e32 v12, 27, v0
	v_and_b32_e32 v2, v2, v3
	v_cmp_gt_i64_e32 vcc, 0, v[11:12]
	v_not_b32_e32 v3, v12
	;; [unrolled: 8-line block ×4, first 2 shown]
	v_ashrrev_i32_e32 v3, 31, v3
	v_lshlrev_b32_e32 v12, 24, v0
	v_and_b32_e32 v1, v1, v10
	v_xor_b32_e32 v10, vcc_hi, v3
	v_xor_b32_e32 v3, vcc_lo, v3
	v_cmp_gt_i64_e32 vcc, 0, v[11:12]
	v_not_b32_e32 v0, v12
	v_ashrrev_i32_e32 v0, 31, v0
	v_and_b32_e32 v2, v2, v3
	v_xor_b32_e32 v3, vcc_hi, v0
	v_xor_b32_e32 v0, vcc_lo, v0
	; wave barrier
	ds_read_b32 v6, v7 offset:4
	v_and_b32_e32 v1, v1, v10
	v_and_b32_e32 v0, v2, v0
	;; [unrolled: 1-line block ×3, first 2 shown]
	v_mbcnt_lo_u32_b32 v2, v0, 0
	v_mbcnt_hi_u32_b32 v10, v1, v2
	v_cmp_ne_u64_e32 vcc, 0, v[0:1]
	v_cmp_eq_u32_e64 s[14:15], 0, v10
	s_and_b64 s[24:25], vcc, s[14:15]
	; wave barrier
	s_and_saveexec_b64 s[14:15], s[24:25]
	s_cbranch_execz .LBB291_8
; %bb.7:                                ;   in Loop: Header=BB291_4 Depth=2
	v_bcnt_u32_b32 v0, v0, 0
	v_bcnt_u32_b32 v0, v1, v0
	s_waitcnt lgkmcnt(0)
	v_add_u32_e32 v0, v6, v0
	ds_write_b32 v7, v0 offset:4
.LBB291_8:                              ;   in Loop: Header=BB291_4 Depth=2
	s_or_b64 exec, exec, s[14:15]
	v_lshrrev_b64 v[0:1], v13, v[23:24]
	v_and_b32_e32 v1, 0xff, v0
	v_lshl_add_u32 v26, v1, 2, v35
	v_and_b32_e32 v1, 1, v0
	v_add_co_u32_e32 v2, vcc, -1, v1
	v_addc_co_u32_e64 v3, s[14:15], 0, -1, vcc
	v_cmp_ne_u32_e32 vcc, 0, v1
	v_lshlrev_b32_e32 v12, 30, v0
	v_xor_b32_e32 v1, vcc_hi, v3
	v_xor_b32_e32 v2, vcc_lo, v2
	v_cmp_gt_i64_e32 vcc, 0, v[11:12]
	v_not_b32_e32 v3, v12
	v_ashrrev_i32_e32 v3, 31, v3
	v_and_b32_e32 v1, exec_hi, v1
	v_xor_b32_e32 v12, vcc_hi, v3
	v_and_b32_e32 v2, exec_lo, v2
	v_xor_b32_e32 v3, vcc_lo, v3
	v_and_b32_e32 v1, v1, v12
	v_lshlrev_b32_e32 v12, 29, v0
	v_and_b32_e32 v2, v2, v3
	v_cmp_gt_i64_e32 vcc, 0, v[11:12]
	v_not_b32_e32 v3, v12
	v_ashrrev_i32_e32 v3, 31, v3
	v_xor_b32_e32 v12, vcc_hi, v3
	v_xor_b32_e32 v3, vcc_lo, v3
	v_and_b32_e32 v1, v1, v12
	v_lshlrev_b32_e32 v12, 28, v0
	v_and_b32_e32 v2, v2, v3
	v_cmp_gt_i64_e32 vcc, 0, v[11:12]
	v_not_b32_e32 v3, v12
	v_ashrrev_i32_e32 v3, 31, v3
	v_xor_b32_e32 v12, vcc_hi, v3
	;; [unrolled: 8-line block ×5, first 2 shown]
	v_and_b32_e32 v1, v1, v12
	v_lshlrev_b32_e32 v12, 24, v0
	v_xor_b32_e32 v3, vcc_lo, v3
	v_cmp_gt_i64_e32 vcc, 0, v[11:12]
	v_not_b32_e32 v0, v12
	v_ashrrev_i32_e32 v0, 31, v0
	v_and_b32_e32 v2, v2, v3
	v_xor_b32_e32 v3, vcc_hi, v0
	v_xor_b32_e32 v0, vcc_lo, v0
	; wave barrier
	ds_read_b32 v25, v26 offset:4
	v_and_b32_e32 v0, v2, v0
	v_and_b32_e32 v1, v1, v3
	v_mbcnt_lo_u32_b32 v2, v0, 0
	v_mbcnt_hi_u32_b32 v27, v1, v2
	v_cmp_ne_u64_e32 vcc, 0, v[0:1]
	v_cmp_eq_u32_e64 s[14:15], 0, v27
	s_and_b64 s[24:25], vcc, s[14:15]
	; wave barrier
	s_and_saveexec_b64 s[14:15], s[24:25]
	s_cbranch_execz .LBB291_10
; %bb.9:                                ;   in Loop: Header=BB291_4 Depth=2
	v_bcnt_u32_b32 v0, v0, 0
	v_bcnt_u32_b32 v0, v1, v0
	s_waitcnt lgkmcnt(0)
	v_add_u32_e32 v0, v25, v0
	ds_write_b32 v26, v0 offset:4
.LBB291_10:                             ;   in Loop: Header=BB291_4 Depth=2
	s_or_b64 exec, exec, s[14:15]
	; wave barrier
	s_waitcnt lgkmcnt(0)
	; wave barrier
	ds_read2_b32 v[2:3], v30 offset0:1 offset1:2
	ds_read2_b32 v[0:1], v30 offset0:3 offset1:4
	s_waitcnt lgkmcnt(1)
	v_add_u32_e32 v12, v3, v2
	s_waitcnt lgkmcnt(0)
	v_add3_u32 v1, v12, v0, v1
	s_nop 1
	v_mov_b32_dpp v12, v1 row_shr:1 row_mask:0xf bank_mask:0xf
	v_cndmask_b32_e64 v12, v12, 0, s[4:5]
	v_add_u32_e32 v1, v12, v1
	s_nop 1
	v_mov_b32_dpp v12, v1 row_shr:2 row_mask:0xf bank_mask:0xf
	v_cndmask_b32_e64 v12, 0, v12, s[6:7]
	v_add_u32_e32 v1, v1, v12
	;; [unrolled: 4-line block ×4, first 2 shown]
	s_nop 1
	v_mov_b32_dpp v12, v1 row_bcast:15 row_mask:0xf bank_mask:0xf
	v_cndmask_b32_e64 v12, v12, 0, s[12:13]
	v_add_u32_e32 v1, v1, v12
	s_nop 1
	v_mov_b32_dpp v12, v1 row_bcast:31 row_mask:0xf bank_mask:0xf
	v_cndmask_b32_e64 v12, 0, v12, s[2:3]
	v_add_u32_e32 v1, v1, v12
	s_and_saveexec_b64 s[14:15], s[0:1]
; %bb.11:                               ;   in Loop: Header=BB291_4 Depth=2
	ds_write_b32 v11, v1
; %bb.12:                               ;   in Loop: Header=BB291_4 Depth=2
	s_or_b64 exec, exec, s[14:15]
	ds_bpermute_b32 v1, v34, v1
	s_waitcnt lgkmcnt(0)
	; wave barrier
	v_cmp_lt_u32_e32 vcc, 55, v13
	s_and_b64 vcc, exec, vcc
	v_cndmask_b32_e64 v1, v1, 0, s[16:17]
	v_add_u32_e32 v2, v1, v2
	v_add_u32_e32 v3, v2, v3
	;; [unrolled: 1-line block ×3, first 2 shown]
	ds_write2_b32 v30, v1, v2 offset0:1 offset1:2
	ds_write2_b32 v30, v3, v0 offset0:3 offset1:4
	s_waitcnt lgkmcnt(0)
	; wave barrier
	ds_read_b32 v0, v4 offset:4
	ds_read_b32 v1, v7 offset:4
	;; [unrolled: 1-line block ×3, first 2 shown]
	s_mov_b64 s[14:15], -1
	s_waitcnt lgkmcnt(2)
	v_add_u32_e32 v36, v0, v5
	s_waitcnt lgkmcnt(1)
	v_add3_u32 v12, v10, v6, v1
	s_waitcnt lgkmcnt(0)
	v_add3_u32 v10, v27, v25, v2
                                        ; implicit-def: $vgpr25_vgpr26
                                        ; implicit-def: $vgpr2_vgpr3
                                        ; implicit-def: $vgpr27_vgpr28
                                        ; implicit-def: $vgpr6_vgpr7
	s_cbranch_vccnz .LBB291_3
; %bb.13:                               ;   in Loop: Header=BB291_4 Depth=2
	v_lshlrev_b32_e32 v4, 3, v36
	v_lshlrev_b32_e32 v5, 3, v12
	;; [unrolled: 1-line block ×3, first 2 shown]
	; wave barrier
	ds_write_b64 v4, v[19:20]
	ds_write_b64 v5, v[17:18]
	;; [unrolled: 1-line block ×3, first 2 shown]
	s_waitcnt lgkmcnt(0)
	; wave barrier
	ds_read2st64_b64 v[0:3], v32 offset1:1
	ds_read_b64 v[25:26], v32 offset:1024
	s_waitcnt lgkmcnt(0)
	; wave barrier
	ds_write_b64 v4, v[15:16]
	ds_write_b64 v5, v[8:9]
	;; [unrolled: 1-line block ×3, first 2 shown]
	s_waitcnt lgkmcnt(0)
	; wave barrier
	ds_read_b64 v[27:28], v32 offset:1024
	ds_read2st64_b64 v[4:7], v32 offset1:1
	v_add_co_u32_e32 v13, vcc, 8, v13
	v_addc_co_u32_e32 v14, vcc, 0, v14, vcc
	s_mov_b64 s[14:15], 0
	s_waitcnt lgkmcnt(0)
	; wave barrier
	s_branch .LBB291_3
.LBB291_14:
	s_waitcnt lgkmcnt(1)
	v_add_co_u32_e32 v0, vcc, v3, v7
	v_addc_co_u32_e32 v1, vcc, v4, v8, vcc
	v_add_co_u32_e32 v2, vcc, v5, v9
	v_addc_co_u32_e32 v3, vcc, v6, v10, vcc
	s_add_u32 s0, s18, s20
	s_waitcnt lgkmcnt(0)
	v_add_co_u32_e32 v4, vcc, v12, v14
	s_addc_u32 s1, s19, s21
	v_addc_co_u32_e32 v5, vcc, v13, v15, vcc
	global_store_dwordx2 v29, v[0:1], s[0:1]
	global_store_dwordx2 v29, v[2:3], s[0:1] offset:512
	global_store_dwordx2 v29, v[4:5], s[0:1] offset:1024
	s_endpgm
	.section	.rodata,"a",@progbits
	.p2align	6, 0x0
	.amdhsa_kernel _Z17sort_pairs_kernelI22helper_blocked_stripedxLj64ELj3ELj10EEvPKT0_PS1_
		.amdhsa_group_segment_fixed_size 1536
		.amdhsa_private_segment_fixed_size 0
		.amdhsa_kernarg_size 272
		.amdhsa_user_sgpr_count 6
		.amdhsa_user_sgpr_private_segment_buffer 1
		.amdhsa_user_sgpr_dispatch_ptr 0
		.amdhsa_user_sgpr_queue_ptr 0
		.amdhsa_user_sgpr_kernarg_segment_ptr 1
		.amdhsa_user_sgpr_dispatch_id 0
		.amdhsa_user_sgpr_flat_scratch_init 0
		.amdhsa_user_sgpr_private_segment_size 0
		.amdhsa_uses_dynamic_stack 0
		.amdhsa_system_sgpr_private_segment_wavefront_offset 0
		.amdhsa_system_sgpr_workgroup_id_x 1
		.amdhsa_system_sgpr_workgroup_id_y 0
		.amdhsa_system_sgpr_workgroup_id_z 0
		.amdhsa_system_sgpr_workgroup_info 0
		.amdhsa_system_vgpr_workitem_id 2
		.amdhsa_next_free_vgpr 37
		.amdhsa_next_free_sgpr 26
		.amdhsa_reserve_vcc 1
		.amdhsa_reserve_flat_scratch 0
		.amdhsa_float_round_mode_32 0
		.amdhsa_float_round_mode_16_64 0
		.amdhsa_float_denorm_mode_32 3
		.amdhsa_float_denorm_mode_16_64 3
		.amdhsa_dx10_clamp 1
		.amdhsa_ieee_mode 1
		.amdhsa_fp16_overflow 0
		.amdhsa_exception_fp_ieee_invalid_op 0
		.amdhsa_exception_fp_denorm_src 0
		.amdhsa_exception_fp_ieee_div_zero 0
		.amdhsa_exception_fp_ieee_overflow 0
		.amdhsa_exception_fp_ieee_underflow 0
		.amdhsa_exception_fp_ieee_inexact 0
		.amdhsa_exception_int_div_zero 0
	.end_amdhsa_kernel
	.section	.text._Z17sort_pairs_kernelI22helper_blocked_stripedxLj64ELj3ELj10EEvPKT0_PS1_,"axG",@progbits,_Z17sort_pairs_kernelI22helper_blocked_stripedxLj64ELj3ELj10EEvPKT0_PS1_,comdat
.Lfunc_end291:
	.size	_Z17sort_pairs_kernelI22helper_blocked_stripedxLj64ELj3ELj10EEvPKT0_PS1_, .Lfunc_end291-_Z17sort_pairs_kernelI22helper_blocked_stripedxLj64ELj3ELj10EEvPKT0_PS1_
                                        ; -- End function
	.set _Z17sort_pairs_kernelI22helper_blocked_stripedxLj64ELj3ELj10EEvPKT0_PS1_.num_vgpr, 37
	.set _Z17sort_pairs_kernelI22helper_blocked_stripedxLj64ELj3ELj10EEvPKT0_PS1_.num_agpr, 0
	.set _Z17sort_pairs_kernelI22helper_blocked_stripedxLj64ELj3ELj10EEvPKT0_PS1_.numbered_sgpr, 26
	.set _Z17sort_pairs_kernelI22helper_blocked_stripedxLj64ELj3ELj10EEvPKT0_PS1_.num_named_barrier, 0
	.set _Z17sort_pairs_kernelI22helper_blocked_stripedxLj64ELj3ELj10EEvPKT0_PS1_.private_seg_size, 0
	.set _Z17sort_pairs_kernelI22helper_blocked_stripedxLj64ELj3ELj10EEvPKT0_PS1_.uses_vcc, 1
	.set _Z17sort_pairs_kernelI22helper_blocked_stripedxLj64ELj3ELj10EEvPKT0_PS1_.uses_flat_scratch, 0
	.set _Z17sort_pairs_kernelI22helper_blocked_stripedxLj64ELj3ELj10EEvPKT0_PS1_.has_dyn_sized_stack, 0
	.set _Z17sort_pairs_kernelI22helper_blocked_stripedxLj64ELj3ELj10EEvPKT0_PS1_.has_recursion, 0
	.set _Z17sort_pairs_kernelI22helper_blocked_stripedxLj64ELj3ELj10EEvPKT0_PS1_.has_indirect_call, 0
	.section	.AMDGPU.csdata,"",@progbits
; Kernel info:
; codeLenInByte = 2228
; TotalNumSgprs: 30
; NumVgprs: 37
; ScratchSize: 0
; MemoryBound: 0
; FloatMode: 240
; IeeeMode: 1
; LDSByteSize: 1536 bytes/workgroup (compile time only)
; SGPRBlocks: 3
; VGPRBlocks: 9
; NumSGPRsForWavesPerEU: 30
; NumVGPRsForWavesPerEU: 37
; Occupancy: 6
; WaveLimiterHint : 1
; COMPUTE_PGM_RSRC2:SCRATCH_EN: 0
; COMPUTE_PGM_RSRC2:USER_SGPR: 6
; COMPUTE_PGM_RSRC2:TRAP_HANDLER: 0
; COMPUTE_PGM_RSRC2:TGID_X_EN: 1
; COMPUTE_PGM_RSRC2:TGID_Y_EN: 0
; COMPUTE_PGM_RSRC2:TGID_Z_EN: 0
; COMPUTE_PGM_RSRC2:TIDIG_COMP_CNT: 2
	.section	.text._Z16sort_keys_kernelI22helper_blocked_stripedxLj64ELj4ELj10EEvPKT0_PS1_,"axG",@progbits,_Z16sort_keys_kernelI22helper_blocked_stripedxLj64ELj4ELj10EEvPKT0_PS1_,comdat
	.protected	_Z16sort_keys_kernelI22helper_blocked_stripedxLj64ELj4ELj10EEvPKT0_PS1_ ; -- Begin function _Z16sort_keys_kernelI22helper_blocked_stripedxLj64ELj4ELj10EEvPKT0_PS1_
	.globl	_Z16sort_keys_kernelI22helper_blocked_stripedxLj64ELj4ELj10EEvPKT0_PS1_
	.p2align	8
	.type	_Z16sort_keys_kernelI22helper_blocked_stripedxLj64ELj4ELj10EEvPKT0_PS1_,@function
_Z16sort_keys_kernelI22helper_blocked_stripedxLj64ELj4ELj10EEvPKT0_PS1_: ; @_Z16sort_keys_kernelI22helper_blocked_stripedxLj64ELj4ELj10EEvPKT0_PS1_
; %bb.0:
	s_load_dwordx4 s[24:27], s[4:5], 0x0
	s_load_dword s8, s[4:5], 0x1c
	s_lshl_b32 s28, s6, 8
	s_mov_b32 s29, 0
	s_lshl_b64 s[30:31], s[28:29], 3
	s_waitcnt lgkmcnt(0)
	s_add_u32 s0, s24, s30
	s_addc_u32 s1, s25, s31
	v_lshlrev_b32_e32 v11, 5, v0
	global_load_dwordx4 v[3:6], v11, s[0:1] offset:16
	global_load_dwordx4 v[7:10], v11, s[0:1]
	v_mbcnt_lo_u32_b32 v11, -1, 0
	v_mbcnt_hi_u32_b32 v11, -1, v11
	s_lshr_b32 s9, s8, 16
	s_and_b32 s8, s8, 0xffff
	v_mad_u32_u24 v1, v2, s9, v1
	v_and_b32_e32 v2, 15, v11
	v_and_b32_e32 v13, 3, v11
	v_mad_u32_u24 v1, v1, s8, v0
	v_cmp_eq_u32_e64 s[8:9], 0, v2
	v_cmp_lt_u32_e64 s[10:11], 1, v2
	v_cmp_lt_u32_e64 s[12:13], 3, v2
	;; [unrolled: 1-line block ×3, first 2 shown]
	v_and_b32_e32 v2, 16, v11
	v_lshrrev_b32_e32 v12, 2, v11
	v_cmp_eq_u32_e64 s[0:1], 3, v13
	v_cmp_eq_u32_e64 s[2:3], 2, v13
	v_cmp_eq_u32_e64 s[4:5], 1, v13
	v_cmp_eq_u32_e64 s[6:7], 0, v13
	v_and_b32_e32 v13, 64, v11
	v_cmp_eq_u32_e64 s[16:17], 0, v2
	v_subrev_co_u32_e32 v2, vcc, 1, v11
	v_or_b32_e32 v14, v12, v13
	v_add_u32_e32 v12, 48, v12
	v_cmp_lt_i32_e64 s[22:23], v2, v13
	v_lshlrev_b32_e32 v25, 3, v0
	v_lshlrev_b32_e32 v20, 2, v14
	v_and_or_b32 v12, v12, 63, v13
	v_lshlrev_b32_e32 v24, 4, v0
	v_cmp_eq_u32_e64 s[20:21], 63, v0
	v_cndmask_b32_e64 v2, v2, v11, s[22:23]
	v_cmp_eq_u32_e64 s[22:23], 0, v0
	v_lshrrev_b32_e32 v1, 4, v1
	v_sub_u32_e32 v0, 0, v25
	v_add_u32_e32 v21, 64, v20
	v_or_b32_e32 v22, 0x80, v20
	v_lshlrev_b32_e32 v23, 2, v12
	v_cmp_lt_u32_e64 s[18:19], 31, v11
	v_lshlrev_b32_e32 v26, 2, v2
	s_or_b64 s[24:25], s[22:23], vcc
	v_lshlrev_b32_e32 v27, 3, v11
	v_and_b32_e32 v28, 0xffffffc, v1
	v_mov_b32_e32 v14, 0
	v_add_u32_e32 v29, v24, v0
	s_branch .LBB292_2
.LBB292_1:                              ;   in Loop: Header=BB292_2 Depth=1
	v_lshlrev_b32_e32 v0, 3, v35
	; wave barrier
	ds_write_b64 v0, v[18:19]
	v_lshlrev_b32_e32 v0, 3, v32
	ds_write_b64 v0, v[16:17]
	v_lshlrev_b32_e32 v0, 3, v30
	;; [unrolled: 2-line block ×3, first 2 shown]
	ds_write_b64 v0, v[4:5]
	s_waitcnt lgkmcnt(0)
	; wave barrier
	ds_read2st64_b64 v[7:10], v29 offset1:1
	ds_read2st64_b64 v[3:6], v29 offset0:2 offset1:3
	s_add_i32 s29, s29, 1
	s_cmp_eq_u32 s29, 10
	s_waitcnt lgkmcnt(1)
	v_xor_b32_e32 v8, 0x80000000, v8
	v_xor_b32_e32 v10, 0x80000000, v10
	s_waitcnt lgkmcnt(0)
	v_xor_b32_e32 v4, 0x80000000, v4
	v_xor_b32_e32 v6, 0x80000000, v6
	s_cbranch_scc1 .LBB292_16
.LBB292_2:                              ; =>This Loop Header: Depth=1
                                        ;     Child Loop BB292_4 Depth 2
	s_waitcnt vmcnt(0)
	v_xor_b32_e32 v0, 0x80000000, v8
	ds_bpermute_b32 v1, v20, v7
	ds_bpermute_b32 v2, v20, v0
	v_xor_b32_e32 v8, 0x80000000, v10
	ds_bpermute_b32 v10, v20, v9
	ds_bpermute_b32 v11, v20, v8
	v_xor_b32_e32 v4, 0x80000000, v4
	s_waitcnt lgkmcnt(3)
	v_cndmask_b32_e64 v1, 0, v1, s[6:7]
	ds_bpermute_b32 v12, v20, v4
	ds_bpermute_b32 v13, v20, v3
	s_waitcnt lgkmcnt(4)
	v_cndmask_b32_e64 v2, 0, v2, s[6:7]
	s_waitcnt lgkmcnt(3)
	v_cndmask_b32_e64 v1, v1, v10, s[4:5]
	ds_bpermute_b32 v10, v20, v5
	v_xor_b32_e32 v6, 0x80000000, v6
	s_waitcnt lgkmcnt(3)
	v_cndmask_b32_e64 v2, v2, v11, s[4:5]
	ds_bpermute_b32 v11, v20, v6
	s_waitcnt lgkmcnt(3)
	v_cndmask_b32_e64 v2, v2, v12, s[2:3]
	s_waitcnt lgkmcnt(2)
	v_cndmask_b32_e64 v1, v1, v13, s[2:3]
	ds_bpermute_b32 v12, v21, v7
	s_waitcnt lgkmcnt(2)
	v_cndmask_b32_e64 v10, v1, v10, s[0:1]
	ds_bpermute_b32 v1, v21, v0
	ds_bpermute_b32 v13, v21, v9
	s_waitcnt lgkmcnt(3)
	v_cndmask_b32_e64 v11, v2, v11, s[0:1]
	ds_bpermute_b32 v2, v21, v8
	s_waitcnt lgkmcnt(3)
	v_cndmask_b32_e64 v12, 0, v12, s[6:7]
	s_waitcnt lgkmcnt(2)
	v_cndmask_b32_e64 v1, 0, v1, s[6:7]
	;; [unrolled: 2-line block ×3, first 2 shown]
	ds_bpermute_b32 v13, v21, v4
	s_waitcnt lgkmcnt(1)
	v_cndmask_b32_e64 v1, v1, v2, s[4:5]
	ds_bpermute_b32 v2, v21, v3
	ds_bpermute_b32 v16, v21, v6
	;; [unrolled: 1-line block ×4, first 2 shown]
	s_waitcnt lgkmcnt(4)
	v_cndmask_b32_e64 v1, v1, v13, s[2:3]
	s_waitcnt lgkmcnt(3)
	v_cndmask_b32_e64 v2, v12, v2, s[2:3]
	;; [unrolled: 2-line block ×3, first 2 shown]
	ds_bpermute_b32 v1, v22, v7
	ds_bpermute_b32 v16, v22, v8
	s_waitcnt lgkmcnt(3)
	v_cndmask_b32_e64 v12, v2, v15, s[0:1]
	s_waitcnt lgkmcnt(2)
	v_cndmask_b32_e64 v2, 0, v17, s[6:7]
	ds_bpermute_b32 v15, v22, v9
	ds_bpermute_b32 v17, v22, v4
	s_waitcnt lgkmcnt(3)
	v_cndmask_b32_e64 v1, 0, v1, s[6:7]
	ds_bpermute_b32 v18, v22, v3
	s_waitcnt lgkmcnt(3)
	v_cndmask_b32_e64 v2, v2, v16, s[4:5]
	s_waitcnt lgkmcnt(2)
	v_cndmask_b32_e64 v1, v1, v15, s[4:5]
	;; [unrolled: 2-line block ×3, first 2 shown]
	ds_bpermute_b32 v15, v22, v5
	ds_bpermute_b32 v16, v22, v6
	;; [unrolled: 1-line block ×9, first 2 shown]
	s_waitcnt lgkmcnt(9)
	v_cndmask_b32_e64 v1, v1, v18, s[2:3]
	ds_bpermute_b32 v5, v23, v5
	s_waitcnt lgkmcnt(9)
	v_cndmask_b32_e64 v0, v1, v15, s[0:1]
	s_waitcnt lgkmcnt(8)
	v_cndmask_b32_e64 v1, v2, v16, s[0:1]
	;; [unrolled: 2-line block ×9, first 2 shown]
	v_mov_b32_e32 v6, 0
	s_waitcnt lgkmcnt(0)
	v_cndmask_b32_e64 v2, v2, v5, s[0:1]
	v_mov_b32_e32 v7, 0
	; wave barrier
	s_branch .LBB292_4
.LBB292_3:                              ;   in Loop: Header=BB292_4 Depth=2
	s_andn2_b64 vcc, exec, s[22:23]
	s_cbranch_vccz .LBB292_1
.LBB292_4:                              ;   Parent Loop BB292_2 Depth=1
                                        ; =>  This Inner Loop Header: Depth=2
	v_mov_b32_e32 v19, v11
	v_mov_b32_e32 v9, v1
	;; [unrolled: 1-line block ×4, first 2 shown]
	v_lshrrev_b64 v[0:1], v6, v[18:19]
	v_mov_b32_e32 v5, v3
	v_and_b32_e32 v1, 0xff, v0
	v_lshl_add_u32 v10, v1, 2, v28
	v_and_b32_e32 v1, 1, v0
	v_mov_b32_e32 v4, v2
	v_add_co_u32_e32 v2, vcc, -1, v1
	v_addc_co_u32_e64 v3, s[22:23], 0, -1, vcc
	v_cmp_ne_u32_e32 vcc, 0, v1
	v_lshlrev_b32_e32 v15, 30, v0
	v_xor_b32_e32 v1, vcc_hi, v3
	v_xor_b32_e32 v2, vcc_lo, v2
	v_cmp_gt_i64_e32 vcc, 0, v[14:15]
	v_not_b32_e32 v3, v15
	v_ashrrev_i32_e32 v3, 31, v3
	v_and_b32_e32 v2, exec_lo, v2
	v_xor_b32_e32 v11, vcc_hi, v3
	v_xor_b32_e32 v3, vcc_lo, v3
	v_lshlrev_b32_e32 v15, 29, v0
	v_and_b32_e32 v2, v2, v3
	v_cmp_gt_i64_e32 vcc, 0, v[14:15]
	v_not_b32_e32 v3, v15
	v_and_b32_e32 v1, exec_hi, v1
	v_ashrrev_i32_e32 v3, 31, v3
	v_and_b32_e32 v1, v1, v11
	v_xor_b32_e32 v11, vcc_hi, v3
	v_xor_b32_e32 v3, vcc_lo, v3
	v_lshlrev_b32_e32 v15, 28, v0
	v_and_b32_e32 v2, v2, v3
	v_cmp_gt_i64_e32 vcc, 0, v[14:15]
	v_not_b32_e32 v3, v15
	v_ashrrev_i32_e32 v3, 31, v3
	v_and_b32_e32 v1, v1, v11
	v_xor_b32_e32 v11, vcc_hi, v3
	v_xor_b32_e32 v3, vcc_lo, v3
	v_lshlrev_b32_e32 v15, 27, v0
	v_and_b32_e32 v2, v2, v3
	v_cmp_gt_i64_e32 vcc, 0, v[14:15]
	v_not_b32_e32 v3, v15
	;; [unrolled: 8-line block ×4, first 2 shown]
	v_ashrrev_i32_e32 v3, 31, v3
	v_lshlrev_b32_e32 v15, 24, v0
	v_and_b32_e32 v1, v1, v11
	v_xor_b32_e32 v11, vcc_hi, v3
	v_xor_b32_e32 v3, vcc_lo, v3
	v_cmp_gt_i64_e32 vcc, 0, v[14:15]
	v_not_b32_e32 v0, v15
	v_ashrrev_i32_e32 v0, 31, v0
	v_and_b32_e32 v2, v2, v3
	v_xor_b32_e32 v3, vcc_hi, v0
	v_xor_b32_e32 v0, vcc_lo, v0
	v_and_b32_e32 v1, v1, v11
	v_and_b32_e32 v0, v2, v0
	;; [unrolled: 1-line block ×3, first 2 shown]
	v_mbcnt_lo_u32_b32 v2, v0, 0
	v_mbcnt_hi_u32_b32 v11, v1, v2
	v_cmp_ne_u64_e32 vcc, 0, v[0:1]
	v_mov_b32_e32 v17, v13
	v_cmp_eq_u32_e64 s[22:23], 0, v11
	v_mov_b32_e32 v16, v12
	s_and_b64 s[34:35], vcc, s[22:23]
	ds_write2_b32 v24, v14, v14 offset0:1 offset1:2
	ds_write2_b32 v24, v14, v14 offset0:3 offset1:4
	s_waitcnt lgkmcnt(0)
	; wave barrier
	; wave barrier
	s_and_saveexec_b64 s[22:23], s[34:35]
; %bb.5:                                ;   in Loop: Header=BB292_4 Depth=2
	v_bcnt_u32_b32 v0, v0, 0
	v_bcnt_u32_b32 v0, v1, v0
	ds_write_b32 v10, v0 offset:4
; %bb.6:                                ;   in Loop: Header=BB292_4 Depth=2
	s_or_b64 exec, exec, s[22:23]
	v_lshrrev_b64 v[0:1], v6, v[16:17]
	v_and_b32_e32 v1, 0xff, v0
	v_lshl_add_u32 v13, v1, 2, v28
	v_and_b32_e32 v1, 1, v0
	v_add_co_u32_e32 v2, vcc, -1, v1
	v_addc_co_u32_e64 v3, s[22:23], 0, -1, vcc
	v_cmp_ne_u32_e32 vcc, 0, v1
	v_lshlrev_b32_e32 v15, 30, v0
	v_xor_b32_e32 v1, vcc_hi, v3
	v_xor_b32_e32 v2, vcc_lo, v2
	v_cmp_gt_i64_e32 vcc, 0, v[14:15]
	v_not_b32_e32 v3, v15
	v_ashrrev_i32_e32 v3, 31, v3
	v_and_b32_e32 v1, exec_hi, v1
	v_xor_b32_e32 v15, vcc_hi, v3
	v_and_b32_e32 v2, exec_lo, v2
	v_xor_b32_e32 v3, vcc_lo, v3
	v_and_b32_e32 v1, v1, v15
	v_lshlrev_b32_e32 v15, 29, v0
	v_and_b32_e32 v2, v2, v3
	v_cmp_gt_i64_e32 vcc, 0, v[14:15]
	v_not_b32_e32 v3, v15
	v_ashrrev_i32_e32 v3, 31, v3
	v_xor_b32_e32 v15, vcc_hi, v3
	v_xor_b32_e32 v3, vcc_lo, v3
	v_and_b32_e32 v1, v1, v15
	v_lshlrev_b32_e32 v15, 28, v0
	v_and_b32_e32 v2, v2, v3
	v_cmp_gt_i64_e32 vcc, 0, v[14:15]
	v_not_b32_e32 v3, v15
	v_ashrrev_i32_e32 v3, 31, v3
	v_xor_b32_e32 v15, vcc_hi, v3
	;; [unrolled: 8-line block ×5, first 2 shown]
	v_and_b32_e32 v1, v1, v15
	v_lshlrev_b32_e32 v15, 24, v0
	v_xor_b32_e32 v3, vcc_lo, v3
	v_cmp_gt_i64_e32 vcc, 0, v[14:15]
	v_not_b32_e32 v0, v15
	v_ashrrev_i32_e32 v0, 31, v0
	v_and_b32_e32 v2, v2, v3
	v_xor_b32_e32 v3, vcc_hi, v0
	v_xor_b32_e32 v0, vcc_lo, v0
	; wave barrier
	ds_read_b32 v12, v13 offset:4
	v_and_b32_e32 v0, v2, v0
	v_and_b32_e32 v1, v1, v3
	v_mbcnt_lo_u32_b32 v2, v0, 0
	v_mbcnt_hi_u32_b32 v30, v1, v2
	v_cmp_ne_u64_e32 vcc, 0, v[0:1]
	v_cmp_eq_u32_e64 s[22:23], 0, v30
	s_and_b64 s[34:35], vcc, s[22:23]
	; wave barrier
	s_and_saveexec_b64 s[22:23], s[34:35]
	s_cbranch_execz .LBB292_8
; %bb.7:                                ;   in Loop: Header=BB292_4 Depth=2
	v_bcnt_u32_b32 v0, v0, 0
	v_bcnt_u32_b32 v0, v1, v0
	s_waitcnt lgkmcnt(0)
	v_add_u32_e32 v0, v12, v0
	ds_write_b32 v13, v0 offset:4
.LBB292_8:                              ;   in Loop: Header=BB292_4 Depth=2
	s_or_b64 exec, exec, s[22:23]
	v_lshrrev_b64 v[0:1], v6, v[8:9]
	v_and_b32_e32 v1, 0xff, v0
	v_lshl_add_u32 v32, v1, 2, v28
	v_and_b32_e32 v1, 1, v0
	v_add_co_u32_e32 v2, vcc, -1, v1
	v_addc_co_u32_e64 v3, s[22:23], 0, -1, vcc
	v_cmp_ne_u32_e32 vcc, 0, v1
	v_lshlrev_b32_e32 v15, 30, v0
	v_xor_b32_e32 v1, vcc_hi, v3
	v_xor_b32_e32 v2, vcc_lo, v2
	v_cmp_gt_i64_e32 vcc, 0, v[14:15]
	v_not_b32_e32 v3, v15
	v_ashrrev_i32_e32 v3, 31, v3
	v_and_b32_e32 v1, exec_hi, v1
	v_xor_b32_e32 v15, vcc_hi, v3
	v_and_b32_e32 v2, exec_lo, v2
	v_xor_b32_e32 v3, vcc_lo, v3
	v_and_b32_e32 v1, v1, v15
	v_lshlrev_b32_e32 v15, 29, v0
	v_and_b32_e32 v2, v2, v3
	v_cmp_gt_i64_e32 vcc, 0, v[14:15]
	v_not_b32_e32 v3, v15
	v_ashrrev_i32_e32 v3, 31, v3
	v_xor_b32_e32 v15, vcc_hi, v3
	v_xor_b32_e32 v3, vcc_lo, v3
	v_and_b32_e32 v1, v1, v15
	v_lshlrev_b32_e32 v15, 28, v0
	v_and_b32_e32 v2, v2, v3
	v_cmp_gt_i64_e32 vcc, 0, v[14:15]
	v_not_b32_e32 v3, v15
	v_ashrrev_i32_e32 v3, 31, v3
	v_xor_b32_e32 v15, vcc_hi, v3
	;; [unrolled: 8-line block ×5, first 2 shown]
	v_and_b32_e32 v1, v1, v15
	v_lshlrev_b32_e32 v15, 24, v0
	v_xor_b32_e32 v3, vcc_lo, v3
	v_cmp_gt_i64_e32 vcc, 0, v[14:15]
	v_not_b32_e32 v0, v15
	v_ashrrev_i32_e32 v0, 31, v0
	v_and_b32_e32 v2, v2, v3
	v_xor_b32_e32 v3, vcc_hi, v0
	v_xor_b32_e32 v0, vcc_lo, v0
	; wave barrier
	ds_read_b32 v31, v32 offset:4
	v_and_b32_e32 v0, v2, v0
	v_and_b32_e32 v1, v1, v3
	v_mbcnt_lo_u32_b32 v2, v0, 0
	v_mbcnt_hi_u32_b32 v33, v1, v2
	v_cmp_ne_u64_e32 vcc, 0, v[0:1]
	v_cmp_eq_u32_e64 s[22:23], 0, v33
	s_and_b64 s[34:35], vcc, s[22:23]
	; wave barrier
	s_and_saveexec_b64 s[22:23], s[34:35]
	s_cbranch_execz .LBB292_10
; %bb.9:                                ;   in Loop: Header=BB292_4 Depth=2
	v_bcnt_u32_b32 v0, v0, 0
	v_bcnt_u32_b32 v0, v1, v0
	s_waitcnt lgkmcnt(0)
	v_add_u32_e32 v0, v31, v0
	ds_write_b32 v32, v0 offset:4
.LBB292_10:                             ;   in Loop: Header=BB292_4 Depth=2
	s_or_b64 exec, exec, s[22:23]
	v_lshrrev_b64 v[0:1], v6, v[4:5]
	v_and_b32_e32 v1, 0xff, v0
	v_lshl_add_u32 v35, v1, 2, v28
	v_and_b32_e32 v1, 1, v0
	v_add_co_u32_e32 v2, vcc, -1, v1
	v_addc_co_u32_e64 v3, s[22:23], 0, -1, vcc
	v_cmp_ne_u32_e32 vcc, 0, v1
	v_lshlrev_b32_e32 v15, 30, v0
	v_xor_b32_e32 v1, vcc_hi, v3
	v_xor_b32_e32 v2, vcc_lo, v2
	v_cmp_gt_i64_e32 vcc, 0, v[14:15]
	v_not_b32_e32 v3, v15
	v_ashrrev_i32_e32 v3, 31, v3
	v_and_b32_e32 v1, exec_hi, v1
	v_xor_b32_e32 v15, vcc_hi, v3
	v_and_b32_e32 v2, exec_lo, v2
	v_xor_b32_e32 v3, vcc_lo, v3
	v_and_b32_e32 v1, v1, v15
	v_lshlrev_b32_e32 v15, 29, v0
	v_and_b32_e32 v2, v2, v3
	v_cmp_gt_i64_e32 vcc, 0, v[14:15]
	v_not_b32_e32 v3, v15
	v_ashrrev_i32_e32 v3, 31, v3
	v_xor_b32_e32 v15, vcc_hi, v3
	v_xor_b32_e32 v3, vcc_lo, v3
	v_and_b32_e32 v1, v1, v15
	v_lshlrev_b32_e32 v15, 28, v0
	v_and_b32_e32 v2, v2, v3
	v_cmp_gt_i64_e32 vcc, 0, v[14:15]
	v_not_b32_e32 v3, v15
	v_ashrrev_i32_e32 v3, 31, v3
	v_xor_b32_e32 v15, vcc_hi, v3
	;; [unrolled: 8-line block ×5, first 2 shown]
	v_and_b32_e32 v1, v1, v15
	v_lshlrev_b32_e32 v15, 24, v0
	v_xor_b32_e32 v3, vcc_lo, v3
	v_cmp_gt_i64_e32 vcc, 0, v[14:15]
	v_not_b32_e32 v0, v15
	v_ashrrev_i32_e32 v0, 31, v0
	v_and_b32_e32 v2, v2, v3
	v_xor_b32_e32 v3, vcc_hi, v0
	v_xor_b32_e32 v0, vcc_lo, v0
	; wave barrier
	ds_read_b32 v34, v35 offset:4
	v_and_b32_e32 v0, v2, v0
	v_and_b32_e32 v1, v1, v3
	v_mbcnt_lo_u32_b32 v2, v0, 0
	v_mbcnt_hi_u32_b32 v15, v1, v2
	v_cmp_ne_u64_e32 vcc, 0, v[0:1]
	v_cmp_eq_u32_e64 s[22:23], 0, v15
	s_and_b64 s[34:35], vcc, s[22:23]
	; wave barrier
	s_and_saveexec_b64 s[22:23], s[34:35]
	s_cbranch_execz .LBB292_12
; %bb.11:                               ;   in Loop: Header=BB292_4 Depth=2
	v_bcnt_u32_b32 v0, v0, 0
	v_bcnt_u32_b32 v0, v1, v0
	s_waitcnt lgkmcnt(0)
	v_add_u32_e32 v0, v34, v0
	ds_write_b32 v35, v0 offset:4
.LBB292_12:                             ;   in Loop: Header=BB292_4 Depth=2
	s_or_b64 exec, exec, s[22:23]
	; wave barrier
	s_waitcnt lgkmcnt(0)
	; wave barrier
	ds_read2_b32 v[2:3], v24 offset0:1 offset1:2
	ds_read2_b32 v[0:1], v24 offset0:3 offset1:4
	s_waitcnt lgkmcnt(1)
	v_add_u32_e32 v36, v3, v2
	s_waitcnt lgkmcnt(0)
	v_add3_u32 v1, v36, v0, v1
	s_nop 1
	v_mov_b32_dpp v36, v1 row_shr:1 row_mask:0xf bank_mask:0xf
	v_cndmask_b32_e64 v36, v36, 0, s[8:9]
	v_add_u32_e32 v1, v36, v1
	s_nop 1
	v_mov_b32_dpp v36, v1 row_shr:2 row_mask:0xf bank_mask:0xf
	v_cndmask_b32_e64 v36, 0, v36, s[10:11]
	v_add_u32_e32 v1, v1, v36
	;; [unrolled: 4-line block ×4, first 2 shown]
	s_nop 1
	v_mov_b32_dpp v36, v1 row_bcast:15 row_mask:0xf bank_mask:0xf
	v_cndmask_b32_e64 v36, v36, 0, s[16:17]
	v_add_u32_e32 v1, v1, v36
	s_nop 1
	v_mov_b32_dpp v36, v1 row_bcast:31 row_mask:0xf bank_mask:0xf
	v_cndmask_b32_e64 v36, 0, v36, s[18:19]
	v_add_u32_e32 v1, v1, v36
	s_and_saveexec_b64 s[22:23], s[20:21]
; %bb.13:                               ;   in Loop: Header=BB292_4 Depth=2
	ds_write_b32 v14, v1
; %bb.14:                               ;   in Loop: Header=BB292_4 Depth=2
	s_or_b64 exec, exec, s[22:23]
	ds_bpermute_b32 v1, v26, v1
	s_waitcnt lgkmcnt(0)
	; wave barrier
	v_cmp_lt_u32_e32 vcc, 55, v6
	s_and_b64 vcc, exec, vcc
	v_cndmask_b32_e64 v1, v1, 0, s[24:25]
	v_add_u32_e32 v2, v1, v2
	v_add_u32_e32 v3, v2, v3
	;; [unrolled: 1-line block ×3, first 2 shown]
	ds_write2_b32 v24, v1, v2 offset0:1 offset1:2
	ds_write2_b32 v24, v3, v0 offset0:3 offset1:4
	s_waitcnt lgkmcnt(0)
	; wave barrier
	ds_read_b32 v0, v10 offset:4
	ds_read_b32 v1, v13 offset:4
	;; [unrolled: 1-line block ×4, first 2 shown]
	s_mov_b64 s[22:23], -1
	s_waitcnt lgkmcnt(3)
	v_add_u32_e32 v35, v0, v11
	s_waitcnt lgkmcnt(2)
	v_add3_u32 v32, v30, v12, v1
	s_waitcnt lgkmcnt(1)
	v_add3_u32 v30, v33, v31, v2
	;; [unrolled: 2-line block ×3, first 2 shown]
                                        ; implicit-def: $vgpr2_vgpr3
                                        ; implicit-def: $vgpr12_vgpr13
	s_cbranch_vccnz .LBB292_3
; %bb.15:                               ;   in Loop: Header=BB292_4 Depth=2
	v_lshlrev_b32_e32 v0, 3, v35
	; wave barrier
	ds_write_b64 v0, v[18:19]
	v_lshlrev_b32_e32 v0, 3, v32
	ds_write_b64 v0, v[16:17]
	v_lshlrev_b32_e32 v0, 3, v30
	;; [unrolled: 2-line block ×3, first 2 shown]
	ds_write_b64 v0, v[4:5]
	s_waitcnt lgkmcnt(0)
	; wave barrier
	ds_read2st64_b64 v[10:13], v27 offset1:1
	ds_read2st64_b64 v[0:3], v27 offset0:2 offset1:3
	v_add_co_u32_e32 v6, vcc, 8, v6
	v_addc_co_u32_e32 v7, vcc, 0, v7, vcc
	s_mov_b64 s[22:23], 0
	s_waitcnt lgkmcnt(0)
	; wave barrier
	s_branch .LBB292_3
.LBB292_16:
	s_add_u32 s0, s26, s30
	s_addc_u32 s1, s27, s31
	global_store_dwordx2 v25, v[7:8], s[0:1]
	global_store_dwordx2 v25, v[9:10], s[0:1] offset:512
	global_store_dwordx2 v25, v[3:4], s[0:1] offset:1024
	;; [unrolled: 1-line block ×3, first 2 shown]
	s_endpgm
	.section	.rodata,"a",@progbits
	.p2align	6, 0x0
	.amdhsa_kernel _Z16sort_keys_kernelI22helper_blocked_stripedxLj64ELj4ELj10EEvPKT0_PS1_
		.amdhsa_group_segment_fixed_size 2048
		.amdhsa_private_segment_fixed_size 0
		.amdhsa_kernarg_size 272
		.amdhsa_user_sgpr_count 6
		.amdhsa_user_sgpr_private_segment_buffer 1
		.amdhsa_user_sgpr_dispatch_ptr 0
		.amdhsa_user_sgpr_queue_ptr 0
		.amdhsa_user_sgpr_kernarg_segment_ptr 1
		.amdhsa_user_sgpr_dispatch_id 0
		.amdhsa_user_sgpr_flat_scratch_init 0
		.amdhsa_user_sgpr_private_segment_size 0
		.amdhsa_uses_dynamic_stack 0
		.amdhsa_system_sgpr_private_segment_wavefront_offset 0
		.amdhsa_system_sgpr_workgroup_id_x 1
		.amdhsa_system_sgpr_workgroup_id_y 0
		.amdhsa_system_sgpr_workgroup_id_z 0
		.amdhsa_system_sgpr_workgroup_info 0
		.amdhsa_system_vgpr_workitem_id 2
		.amdhsa_next_free_vgpr 37
		.amdhsa_next_free_sgpr 61
		.amdhsa_reserve_vcc 1
		.amdhsa_reserve_flat_scratch 0
		.amdhsa_float_round_mode_32 0
		.amdhsa_float_round_mode_16_64 0
		.amdhsa_float_denorm_mode_32 3
		.amdhsa_float_denorm_mode_16_64 3
		.amdhsa_dx10_clamp 1
		.amdhsa_ieee_mode 1
		.amdhsa_fp16_overflow 0
		.amdhsa_exception_fp_ieee_invalid_op 0
		.amdhsa_exception_fp_denorm_src 0
		.amdhsa_exception_fp_ieee_div_zero 0
		.amdhsa_exception_fp_ieee_overflow 0
		.amdhsa_exception_fp_ieee_underflow 0
		.amdhsa_exception_fp_ieee_inexact 0
		.amdhsa_exception_int_div_zero 0
	.end_amdhsa_kernel
	.section	.text._Z16sort_keys_kernelI22helper_blocked_stripedxLj64ELj4ELj10EEvPKT0_PS1_,"axG",@progbits,_Z16sort_keys_kernelI22helper_blocked_stripedxLj64ELj4ELj10EEvPKT0_PS1_,comdat
.Lfunc_end292:
	.size	_Z16sort_keys_kernelI22helper_blocked_stripedxLj64ELj4ELj10EEvPKT0_PS1_, .Lfunc_end292-_Z16sort_keys_kernelI22helper_blocked_stripedxLj64ELj4ELj10EEvPKT0_PS1_
                                        ; -- End function
	.set _Z16sort_keys_kernelI22helper_blocked_stripedxLj64ELj4ELj10EEvPKT0_PS1_.num_vgpr, 37
	.set _Z16sort_keys_kernelI22helper_blocked_stripedxLj64ELj4ELj10EEvPKT0_PS1_.num_agpr, 0
	.set _Z16sort_keys_kernelI22helper_blocked_stripedxLj64ELj4ELj10EEvPKT0_PS1_.numbered_sgpr, 36
	.set _Z16sort_keys_kernelI22helper_blocked_stripedxLj64ELj4ELj10EEvPKT0_PS1_.num_named_barrier, 0
	.set _Z16sort_keys_kernelI22helper_blocked_stripedxLj64ELj4ELj10EEvPKT0_PS1_.private_seg_size, 0
	.set _Z16sort_keys_kernelI22helper_blocked_stripedxLj64ELj4ELj10EEvPKT0_PS1_.uses_vcc, 1
	.set _Z16sort_keys_kernelI22helper_blocked_stripedxLj64ELj4ELj10EEvPKT0_PS1_.uses_flat_scratch, 0
	.set _Z16sort_keys_kernelI22helper_blocked_stripedxLj64ELj4ELj10EEvPKT0_PS1_.has_dyn_sized_stack, 0
	.set _Z16sort_keys_kernelI22helper_blocked_stripedxLj64ELj4ELj10EEvPKT0_PS1_.has_recursion, 0
	.set _Z16sort_keys_kernelI22helper_blocked_stripedxLj64ELj4ELj10EEvPKT0_PS1_.has_indirect_call, 0
	.section	.AMDGPU.csdata,"",@progbits
; Kernel info:
; codeLenInByte = 3120
; TotalNumSgprs: 40
; NumVgprs: 37
; ScratchSize: 0
; MemoryBound: 0
; FloatMode: 240
; IeeeMode: 1
; LDSByteSize: 2048 bytes/workgroup (compile time only)
; SGPRBlocks: 8
; VGPRBlocks: 9
; NumSGPRsForWavesPerEU: 65
; NumVGPRsForWavesPerEU: 37
; Occupancy: 6
; WaveLimiterHint : 1
; COMPUTE_PGM_RSRC2:SCRATCH_EN: 0
; COMPUTE_PGM_RSRC2:USER_SGPR: 6
; COMPUTE_PGM_RSRC2:TRAP_HANDLER: 0
; COMPUTE_PGM_RSRC2:TGID_X_EN: 1
; COMPUTE_PGM_RSRC2:TGID_Y_EN: 0
; COMPUTE_PGM_RSRC2:TGID_Z_EN: 0
; COMPUTE_PGM_RSRC2:TIDIG_COMP_CNT: 2
	.section	.text._Z17sort_pairs_kernelI22helper_blocked_stripedxLj64ELj4ELj10EEvPKT0_PS1_,"axG",@progbits,_Z17sort_pairs_kernelI22helper_blocked_stripedxLj64ELj4ELj10EEvPKT0_PS1_,comdat
	.protected	_Z17sort_pairs_kernelI22helper_blocked_stripedxLj64ELj4ELj10EEvPKT0_PS1_ ; -- Begin function _Z17sort_pairs_kernelI22helper_blocked_stripedxLj64ELj4ELj10EEvPKT0_PS1_
	.globl	_Z17sort_pairs_kernelI22helper_blocked_stripedxLj64ELj4ELj10EEvPKT0_PS1_
	.p2align	8
	.type	_Z17sort_pairs_kernelI22helper_blocked_stripedxLj64ELj4ELj10EEvPKT0_PS1_,@function
_Z17sort_pairs_kernelI22helper_blocked_stripedxLj64ELj4ELj10EEvPKT0_PS1_: ; @_Z17sort_pairs_kernelI22helper_blocked_stripedxLj64ELj4ELj10EEvPKT0_PS1_
; %bb.0:
	s_load_dwordx4 s[24:27], s[4:5], 0x0
	s_load_dword s33, s[4:5], 0x1c
	s_lshl_b32 s30, s6, 8
	s_mov_b32 s31, 0
	s_lshl_b64 s[28:29], s[30:31], 3
	s_waitcnt lgkmcnt(0)
	s_add_u32 s0, s24, s28
	s_addc_u32 s1, s25, s29
	v_lshlrev_b32_e32 v3, 5, v0
	global_load_dwordx4 v[20:23], v3, s[0:1]
	global_load_dwordx4 v[16:19], v3, s[0:1] offset:16
	v_mbcnt_lo_u32_b32 v3, -1, 0
	v_mbcnt_hi_u32_b32 v3, -1, v3
	v_and_b32_e32 v6, 64, v3
	v_subrev_co_u32_e64 v9, s[22:23], 1, v3
	v_cmp_eq_u32_e32 vcc, 0, v0
	v_cmp_lt_i32_e64 s[24:25], v9, v6
	v_lshrrev_b32_e32 v4, 2, v3
	v_and_b32_e32 v5, 3, v3
	v_and_b32_e32 v7, 15, v3
	;; [unrolled: 1-line block ×3, first 2 shown]
	v_cmp_lt_u32_e64 s[2:3], 31, v3
	v_lshlrev_b32_e32 v38, 3, v3
	v_cndmask_b32_e64 v3, v9, v3, s[24:25]
	s_or_b64 s[24:25], vcc, s[22:23]
	s_lshr_b32 s30, s33, 16
	v_cmp_eq_u32_e64 s[20:21], 0, v8
	s_and_b32 s33, s33, 0xffff
	v_mad_u32_u24 v1, v2, s30, v1
	v_lshlrev_b32_e32 v37, 4, v0
	v_cmp_eq_u32_e64 s[0:1], 63, v0
	v_lshlrev_b32_e32 v36, 3, v0
	v_cmp_eq_u32_e64 s[4:5], 3, v5
	v_cmp_eq_u32_e64 s[6:7], 2, v5
	;; [unrolled: 1-line block ×4, first 2 shown]
	v_or_b32_e32 v5, v4, v6
	v_add_u32_e32 v4, 48, v4
	v_mad_u32_u24 v0, v1, s33, v0
	v_sub_u32_e32 v25, 0, v36
	v_lshlrev_b32_e32 v39, 2, v5
	v_and_or_b32 v4, v4, 63, v6
	v_lshrrev_b32_e32 v0, 4, v0
	v_mov_b32_e32 v24, 0
	v_cmp_eq_u32_e64 s[12:13], 0, v7
	v_cmp_lt_u32_e64 s[14:15], 1, v7
	v_cmp_lt_u32_e64 s[16:17], 3, v7
	;; [unrolled: 1-line block ×3, first 2 shown]
	v_lshlrev_b32_e32 v40, 2, v3
	v_add_u32_e32 v41, 64, v39
	v_or_b32_e32 v42, 0x80, v39
	v_lshlrev_b32_e32 v43, 2, v4
	v_and_b32_e32 v44, 0xffffffc, v0
	v_add_u32_e32 v45, v37, v25
	s_waitcnt vmcnt(1)
	v_add_co_u32_e32 v12, vcc, 1, v20
	v_addc_co_u32_e32 v13, vcc, 0, v21, vcc
	v_add_co_u32_e32 v14, vcc, 1, v22
	v_addc_co_u32_e32 v15, vcc, 0, v23, vcc
	s_waitcnt vmcnt(0)
	v_add_co_u32_e32 v8, vcc, 1, v16
	v_addc_co_u32_e32 v9, vcc, 0, v17, vcc
	v_add_co_u32_e32 v10, vcc, 1, v18
	v_addc_co_u32_e32 v11, vcc, 0, v19, vcc
	s_branch .LBB293_2
.LBB293_1:                              ;   in Loop: Header=BB293_2 Depth=1
	v_lshlrev_b32_e32 v0, 3, v48
	v_lshlrev_b32_e32 v1, 3, v47
	;; [unrolled: 1-line block ×4, first 2 shown]
	; wave barrier
	ds_write_b64 v0, v[34:35]
	ds_write_b64 v1, v[32:33]
	;; [unrolled: 1-line block ×4, first 2 shown]
	s_waitcnt lgkmcnt(0)
	; wave barrier
	ds_read2st64_b64 v[20:23], v45 offset1:1
	ds_read2st64_b64 v[16:19], v45 offset0:2 offset1:3
	s_waitcnt lgkmcnt(0)
	; wave barrier
	ds_write_b64 v0, v[28:29]
	ds_write_b64 v1, v[26:27]
	;; [unrolled: 1-line block ×4, first 2 shown]
	s_waitcnt lgkmcnt(0)
	; wave barrier
	ds_read2st64_b64 v[12:15], v45 offset1:1
	ds_read2st64_b64 v[8:11], v45 offset0:2 offset1:3
	s_add_i32 s31, s31, 1
	v_xor_b32_e32 v21, 0x80000000, v21
	v_xor_b32_e32 v23, 0x80000000, v23
	;; [unrolled: 1-line block ×3, first 2 shown]
	s_cmp_lg_u32 s31, 10
	v_xor_b32_e32 v19, 0x80000000, v19
	s_cbranch_scc0 .LBB293_16
.LBB293_2:                              ; =>This Loop Header: Depth=1
                                        ;     Child Loop BB293_4 Depth 2
	v_xor_b32_e32 v5, 0x80000000, v21
	ds_bpermute_b32 v0, v39, v20
	ds_bpermute_b32 v1, v39, v5
	v_xor_b32_e32 v6, 0x80000000, v23
	ds_bpermute_b32 v2, v39, v22
	ds_bpermute_b32 v3, v39, v6
	s_waitcnt lgkmcnt(3)
	v_cndmask_b32_e64 v0, 0, v0, s[10:11]
	s_waitcnt lgkmcnt(2)
	v_cndmask_b32_e64 v1, 0, v1, s[10:11]
	v_xor_b32_e32 v7, 0x80000000, v17
	s_waitcnt lgkmcnt(1)
	v_cndmask_b32_e64 v0, v0, v2, s[8:9]
	s_waitcnt lgkmcnt(0)
	v_cndmask_b32_e64 v1, v1, v3, s[8:9]
	ds_bpermute_b32 v2, v39, v7
	ds_bpermute_b32 v3, v39, v16
	v_xor_b32_e32 v17, 0x80000000, v19
	ds_bpermute_b32 v4, v39, v18
	ds_bpermute_b32 v19, v39, v17
	s_waitcnt lgkmcnt(3)
	v_cndmask_b32_e64 v1, v1, v2, s[6:7]
	ds_bpermute_b32 v2, v41, v5
	s_waitcnt lgkmcnt(3)
	v_cndmask_b32_e64 v0, v0, v3, s[6:7]
	;; [unrolled: 3-line block ×3, first 2 shown]
	s_waitcnt lgkmcnt(2)
	v_cndmask_b32_e64 v1, v1, v19, s[4:5]
	ds_bpermute_b32 v4, v41, v22
	ds_bpermute_b32 v19, v41, v6
	;; [unrolled: 1-line block ×4, first 2 shown]
	s_waitcnt lgkmcnt(5)
	v_cndmask_b32_e64 v2, 0, v2, s[10:11]
	s_waitcnt lgkmcnt(4)
	v_cndmask_b32_e64 v3, 0, v3, s[10:11]
	s_waitcnt lgkmcnt(3)
	v_cndmask_b32_e64 v3, v3, v4, s[8:9]
	s_waitcnt lgkmcnt(2)
	v_cndmask_b32_e64 v2, v2, v19, s[8:9]
	s_waitcnt lgkmcnt(1)
	v_cndmask_b32_e64 v4, v2, v21, s[6:7]
	ds_bpermute_b32 v2, v41, v18
	s_waitcnt lgkmcnt(1)
	v_cndmask_b32_e64 v3, v3, v23, s[6:7]
	ds_bpermute_b32 v19, v41, v17
	ds_bpermute_b32 v21, v42, v5
	;; [unrolled: 1-line block ×4, first 2 shown]
	s_waitcnt lgkmcnt(4)
	v_cndmask_b32_e64 v2, v3, v2, s[4:5]
	s_waitcnt lgkmcnt(3)
	v_cndmask_b32_e64 v3, v4, v19, s[4:5]
	s_waitcnt lgkmcnt(2)
	v_cndmask_b32_e64 v4, 0, v21, s[10:11]
	s_waitcnt lgkmcnt(1)
	v_cndmask_b32_e64 v19, 0, v23, s[10:11]
	ds_bpermute_b32 v21, v42, v6
	s_waitcnt lgkmcnt(1)
	v_cndmask_b32_e64 v19, v19, v25, s[8:9]
	ds_bpermute_b32 v23, v42, v7
	ds_bpermute_b32 v25, v42, v16
	;; [unrolled: 1-line block ×3, first 2 shown]
	s_waitcnt lgkmcnt(3)
	v_cndmask_b32_e64 v4, v4, v21, s[8:9]
	ds_bpermute_b32 v21, v42, v17
	s_waitcnt lgkmcnt(3)
	v_cndmask_b32_e64 v23, v4, v23, s[6:7]
	s_waitcnt lgkmcnt(2)
	v_cndmask_b32_e64 v4, v19, v25, s[6:7]
	ds_bpermute_b32 v19, v43, v5
	ds_bpermute_b32 v7, v43, v7
	;; [unrolled: 1-line block ×3, first 2 shown]
	s_waitcnt lgkmcnt(3)
	v_cndmask_b32_e64 v5, v23, v21, s[4:5]
	ds_bpermute_b32 v21, v43, v22
	s_waitcnt lgkmcnt(3)
	v_cndmask_b32_e64 v19, 0, v19, s[10:11]
	v_cndmask_b32_e64 v6, v19, v6, s[8:9]
	ds_bpermute_b32 v16, v43, v16
	ds_bpermute_b32 v17, v43, v17
	;; [unrolled: 1-line block ×3, first 2 shown]
	s_waitcnt lgkmcnt(5)
	v_cndmask_b32_e64 v7, v6, v7, s[6:7]
	ds_bpermute_b32 v6, v43, v18
	ds_bpermute_b32 v18, v39, v12
	;; [unrolled: 1-line block ×3, first 2 shown]
	s_waitcnt lgkmcnt(7)
	v_cndmask_b32_e64 v20, 0, v20, s[10:11]
	s_waitcnt lgkmcnt(6)
	v_cndmask_b32_e64 v20, v20, v21, s[8:9]
	;; [unrolled: 2-line block ×4, first 2 shown]
	ds_bpermute_b32 v17, v39, v15
	s_waitcnt lgkmcnt(3)
	v_cndmask_b32_e64 v6, v16, v6, s[4:5]
	s_waitcnt lgkmcnt(2)
	v_cndmask_b32_e64 v16, 0, v18, s[10:11]
	;; [unrolled: 2-line block ×3, first 2 shown]
	ds_bpermute_b32 v19, v39, v14
	ds_bpermute_b32 v21, v39, v9
	;; [unrolled: 1-line block ×3, first 2 shown]
	s_waitcnt lgkmcnt(3)
	v_cndmask_b32_e64 v17, v18, v17, s[8:9]
	ds_bpermute_b32 v18, v39, v11
	s_waitcnt lgkmcnt(3)
	v_cndmask_b32_e64 v16, v16, v19, s[8:9]
	ds_bpermute_b32 v19, v39, v10
	s_waitcnt lgkmcnt(3)
	v_cndmask_b32_e64 v17, v17, v21, s[6:7]
	s_waitcnt lgkmcnt(2)
	v_cndmask_b32_e64 v16, v16, v20, s[6:7]
	;; [unrolled: 2-line block ×3, first 2 shown]
	ds_bpermute_b32 v18, v41, v12
	ds_bpermute_b32 v20, v41, v13
	;; [unrolled: 1-line block ×3, first 2 shown]
	s_waitcnt lgkmcnt(3)
	v_cndmask_b32_e64 v16, v16, v19, s[4:5]
	ds_bpermute_b32 v19, v41, v14
	s_waitcnt lgkmcnt(3)
	v_cndmask_b32_e64 v18, 0, v18, s[10:11]
	s_waitcnt lgkmcnt(2)
	v_cndmask_b32_e64 v20, 0, v20, s[10:11]
	;; [unrolled: 2-line block ×3, first 2 shown]
	ds_bpermute_b32 v21, v41, v8
	s_waitcnt lgkmcnt(1)
	v_cndmask_b32_e64 v18, v18, v19, s[8:9]
	ds_bpermute_b32 v19, v41, v9
	ds_bpermute_b32 v22, v41, v11
	;; [unrolled: 1-line block ×3, first 2 shown]
	s_waitcnt lgkmcnt(3)
	v_cndmask_b32_e64 v18, v18, v21, s[6:7]
	ds_bpermute_b32 v21, v42, v12
	s_waitcnt lgkmcnt(3)
	v_cndmask_b32_e64 v19, v20, v19, s[6:7]
	ds_bpermute_b32 v20, v42, v13
	s_waitcnt lgkmcnt(3)
	v_cndmask_b32_e64 v19, v19, v22, s[4:5]
	s_waitcnt lgkmcnt(2)
	v_cndmask_b32_e64 v18, v18, v23, s[4:5]
	ds_bpermute_b32 v22, v42, v15
	ds_bpermute_b32 v23, v42, v14
	v_cndmask_b32_e64 v4, v4, v26, s[4:5]
	ds_bpermute_b32 v25, v42, v8
	ds_bpermute_b32 v26, v42, v9
	s_waitcnt lgkmcnt(5)
	v_cndmask_b32_e64 v21, 0, v21, s[10:11]
	s_waitcnt lgkmcnt(4)
	v_cndmask_b32_e64 v20, 0, v20, s[10:11]
	;; [unrolled: 2-line block ×5, first 2 shown]
	ds_bpermute_b32 v22, v42, v11
	s_waitcnt lgkmcnt(1)
	v_cndmask_b32_e64 v20, v20, v26, s[6:7]
	ds_bpermute_b32 v23, v42, v10
	ds_bpermute_b32 v25, v43, v12
	;; [unrolled: 1-line block ×9, first 2 shown]
	s_waitcnt lgkmcnt(9)
	v_cndmask_b32_e64 v13, v20, v22, s[4:5]
	s_waitcnt lgkmcnt(8)
	v_cndmask_b32_e64 v12, v21, v23, s[4:5]
	;; [unrolled: 2-line block ×8, first 2 shown]
	v_mov_b32_e32 v20, 0
	s_waitcnt lgkmcnt(1)
	v_cndmask_b32_e64 v15, v9, v11, s[4:5]
	s_waitcnt lgkmcnt(0)
	v_cndmask_b32_e64 v14, v8, v10, s[4:5]
	v_mov_b32_e32 v21, 0
	; wave barrier
	s_branch .LBB293_4
.LBB293_3:                              ;   in Loop: Header=BB293_4 Depth=2
	s_andn2_b64 vcc, exec, s[22:23]
	s_cbranch_vccz .LBB293_1
.LBB293_4:                              ;   Parent Loop BB293_2 Depth=1
                                        ; =>  This Inner Loop Header: Depth=2
	v_mov_b32_e32 v35, v1
	v_mov_b32_e32 v34, v0
	v_lshrrev_b64 v[0:1], v20, v[34:35]
	v_mov_b32_e32 v31, v5
	v_and_b32_e32 v1, 0xff, v0
	v_mov_b32_e32 v30, v4
	v_mov_b32_e32 v33, v3
	v_lshl_add_u32 v4, v1, 2, v44
	v_and_b32_e32 v1, 1, v0
	v_mov_b32_e32 v32, v2
	v_add_co_u32_e32 v2, vcc, -1, v1
	v_addc_co_u32_e64 v3, s[22:23], 0, -1, vcc
	v_cmp_ne_u32_e32 vcc, 0, v1
	v_lshlrev_b32_e32 v25, 30, v0
	v_xor_b32_e32 v1, vcc_hi, v3
	v_xor_b32_e32 v2, vcc_lo, v2
	v_cmp_gt_i64_e32 vcc, 0, v[24:25]
	v_not_b32_e32 v3, v25
	v_ashrrev_i32_e32 v3, 31, v3
	v_and_b32_e32 v2, exec_lo, v2
	v_xor_b32_e32 v5, vcc_hi, v3
	v_xor_b32_e32 v3, vcc_lo, v3
	v_lshlrev_b32_e32 v25, 29, v0
	v_and_b32_e32 v2, v2, v3
	v_cmp_gt_i64_e32 vcc, 0, v[24:25]
	v_not_b32_e32 v3, v25
	v_and_b32_e32 v1, exec_hi, v1
	v_ashrrev_i32_e32 v3, 31, v3
	v_and_b32_e32 v1, v1, v5
	v_xor_b32_e32 v5, vcc_hi, v3
	v_xor_b32_e32 v3, vcc_lo, v3
	v_lshlrev_b32_e32 v25, 28, v0
	v_and_b32_e32 v2, v2, v3
	v_cmp_gt_i64_e32 vcc, 0, v[24:25]
	v_not_b32_e32 v3, v25
	v_ashrrev_i32_e32 v3, 31, v3
	v_and_b32_e32 v1, v1, v5
	v_xor_b32_e32 v5, vcc_hi, v3
	v_xor_b32_e32 v3, vcc_lo, v3
	v_lshlrev_b32_e32 v25, 27, v0
	v_and_b32_e32 v2, v2, v3
	v_cmp_gt_i64_e32 vcc, 0, v[24:25]
	v_not_b32_e32 v3, v25
	;; [unrolled: 8-line block ×4, first 2 shown]
	v_ashrrev_i32_e32 v3, 31, v3
	v_lshlrev_b32_e32 v25, 24, v0
	v_and_b32_e32 v1, v1, v5
	v_xor_b32_e32 v5, vcc_hi, v3
	v_xor_b32_e32 v3, vcc_lo, v3
	v_cmp_gt_i64_e32 vcc, 0, v[24:25]
	v_not_b32_e32 v0, v25
	v_ashrrev_i32_e32 v0, 31, v0
	v_and_b32_e32 v2, v2, v3
	v_xor_b32_e32 v3, vcc_hi, v0
	v_xor_b32_e32 v0, vcc_lo, v0
	v_and_b32_e32 v1, v1, v5
	v_and_b32_e32 v0, v2, v0
	;; [unrolled: 1-line block ×3, first 2 shown]
	v_mbcnt_lo_u32_b32 v2, v0, 0
	v_mbcnt_hi_u32_b32 v5, v1, v2
	v_cmp_ne_u64_e32 vcc, 0, v[0:1]
	v_mov_b32_e32 v23, v7
	v_mov_b32_e32 v29, v17
	;; [unrolled: 1-line block ×5, first 2 shown]
	v_cmp_eq_u32_e64 s[22:23], 0, v5
	v_mov_b32_e32 v22, v6
	v_mov_b32_e32 v28, v16
	v_mov_b32_e32 v26, v18
	v_mov_b32_e32 v11, v13
	v_mov_b32_e32 v9, v15
	s_and_b64 s[34:35], vcc, s[22:23]
	ds_write2_b32 v37, v24, v24 offset0:1 offset1:2
	ds_write2_b32 v37, v24, v24 offset0:3 offset1:4
	s_waitcnt lgkmcnt(0)
	; wave barrier
	; wave barrier
	s_and_saveexec_b64 s[22:23], s[34:35]
; %bb.5:                                ;   in Loop: Header=BB293_4 Depth=2
	v_bcnt_u32_b32 v0, v0, 0
	v_bcnt_u32_b32 v0, v1, v0
	ds_write_b32 v4, v0 offset:4
; %bb.6:                                ;   in Loop: Header=BB293_4 Depth=2
	s_or_b64 exec, exec, s[22:23]
	v_lshrrev_b64 v[0:1], v20, v[32:33]
	v_and_b32_e32 v1, 0xff, v0
	v_lshl_add_u32 v7, v1, 2, v44
	v_and_b32_e32 v1, 1, v0
	v_add_co_u32_e32 v2, vcc, -1, v1
	v_addc_co_u32_e64 v3, s[22:23], 0, -1, vcc
	v_cmp_ne_u32_e32 vcc, 0, v1
	v_lshlrev_b32_e32 v25, 30, v0
	v_xor_b32_e32 v1, vcc_hi, v3
	v_xor_b32_e32 v2, vcc_lo, v2
	v_cmp_gt_i64_e32 vcc, 0, v[24:25]
	v_not_b32_e32 v3, v25
	v_ashrrev_i32_e32 v3, 31, v3
	v_and_b32_e32 v2, exec_lo, v2
	v_xor_b32_e32 v12, vcc_hi, v3
	v_xor_b32_e32 v3, vcc_lo, v3
	v_lshlrev_b32_e32 v25, 29, v0
	v_and_b32_e32 v2, v2, v3
	v_cmp_gt_i64_e32 vcc, 0, v[24:25]
	v_not_b32_e32 v3, v25
	v_and_b32_e32 v1, exec_hi, v1
	v_ashrrev_i32_e32 v3, 31, v3
	v_and_b32_e32 v1, v1, v12
	v_xor_b32_e32 v12, vcc_hi, v3
	v_xor_b32_e32 v3, vcc_lo, v3
	v_lshlrev_b32_e32 v25, 28, v0
	v_and_b32_e32 v2, v2, v3
	v_cmp_gt_i64_e32 vcc, 0, v[24:25]
	v_not_b32_e32 v3, v25
	v_ashrrev_i32_e32 v3, 31, v3
	v_and_b32_e32 v1, v1, v12
	v_xor_b32_e32 v12, vcc_hi, v3
	v_xor_b32_e32 v3, vcc_lo, v3
	v_lshlrev_b32_e32 v25, 27, v0
	v_and_b32_e32 v2, v2, v3
	v_cmp_gt_i64_e32 vcc, 0, v[24:25]
	v_not_b32_e32 v3, v25
	v_ashrrev_i32_e32 v3, 31, v3
	v_and_b32_e32 v1, v1, v12
	v_xor_b32_e32 v12, vcc_hi, v3
	v_xor_b32_e32 v3, vcc_lo, v3
	v_lshlrev_b32_e32 v25, 26, v0
	v_and_b32_e32 v2, v2, v3
	v_cmp_gt_i64_e32 vcc, 0, v[24:25]
	v_not_b32_e32 v3, v25
	v_ashrrev_i32_e32 v3, 31, v3
	v_and_b32_e32 v1, v1, v12
	v_xor_b32_e32 v12, vcc_hi, v3
	v_xor_b32_e32 v3, vcc_lo, v3
	v_lshlrev_b32_e32 v25, 25, v0
	v_and_b32_e32 v2, v2, v3
	v_cmp_gt_i64_e32 vcc, 0, v[24:25]
	v_not_b32_e32 v3, v25
	v_ashrrev_i32_e32 v3, 31, v3
	v_lshlrev_b32_e32 v25, 24, v0
	v_and_b32_e32 v1, v1, v12
	v_xor_b32_e32 v12, vcc_hi, v3
	v_xor_b32_e32 v3, vcc_lo, v3
	v_cmp_gt_i64_e32 vcc, 0, v[24:25]
	v_not_b32_e32 v0, v25
	v_ashrrev_i32_e32 v0, 31, v0
	v_and_b32_e32 v2, v2, v3
	v_xor_b32_e32 v3, vcc_hi, v0
	v_xor_b32_e32 v0, vcc_lo, v0
	; wave barrier
	ds_read_b32 v6, v7 offset:4
	v_and_b32_e32 v1, v1, v12
	v_and_b32_e32 v0, v2, v0
	;; [unrolled: 1-line block ×3, first 2 shown]
	v_mbcnt_lo_u32_b32 v2, v0, 0
	v_mbcnt_hi_u32_b32 v12, v1, v2
	v_cmp_ne_u64_e32 vcc, 0, v[0:1]
	v_cmp_eq_u32_e64 s[22:23], 0, v12
	s_and_b64 s[34:35], vcc, s[22:23]
	; wave barrier
	s_and_saveexec_b64 s[22:23], s[34:35]
	s_cbranch_execz .LBB293_8
; %bb.7:                                ;   in Loop: Header=BB293_4 Depth=2
	v_bcnt_u32_b32 v0, v0, 0
	v_bcnt_u32_b32 v0, v1, v0
	s_waitcnt lgkmcnt(0)
	v_add_u32_e32 v0, v6, v0
	ds_write_b32 v7, v0 offset:4
.LBB293_8:                              ;   in Loop: Header=BB293_4 Depth=2
	s_or_b64 exec, exec, s[22:23]
	v_lshrrev_b64 v[0:1], v20, v[30:31]
	v_and_b32_e32 v1, 0xff, v0
	v_lshl_add_u32 v14, v1, 2, v44
	v_and_b32_e32 v1, 1, v0
	v_add_co_u32_e32 v2, vcc, -1, v1
	v_addc_co_u32_e64 v3, s[22:23], 0, -1, vcc
	v_cmp_ne_u32_e32 vcc, 0, v1
	v_lshlrev_b32_e32 v25, 30, v0
	v_xor_b32_e32 v1, vcc_hi, v3
	v_xor_b32_e32 v2, vcc_lo, v2
	v_cmp_gt_i64_e32 vcc, 0, v[24:25]
	v_not_b32_e32 v3, v25
	v_ashrrev_i32_e32 v3, 31, v3
	v_and_b32_e32 v2, exec_lo, v2
	v_xor_b32_e32 v15, vcc_hi, v3
	v_xor_b32_e32 v3, vcc_lo, v3
	v_lshlrev_b32_e32 v25, 29, v0
	v_and_b32_e32 v2, v2, v3
	v_cmp_gt_i64_e32 vcc, 0, v[24:25]
	v_not_b32_e32 v3, v25
	v_and_b32_e32 v1, exec_hi, v1
	v_ashrrev_i32_e32 v3, 31, v3
	v_and_b32_e32 v1, v1, v15
	v_xor_b32_e32 v15, vcc_hi, v3
	v_xor_b32_e32 v3, vcc_lo, v3
	v_lshlrev_b32_e32 v25, 28, v0
	v_and_b32_e32 v2, v2, v3
	v_cmp_gt_i64_e32 vcc, 0, v[24:25]
	v_not_b32_e32 v3, v25
	v_ashrrev_i32_e32 v3, 31, v3
	v_and_b32_e32 v1, v1, v15
	v_xor_b32_e32 v15, vcc_hi, v3
	v_xor_b32_e32 v3, vcc_lo, v3
	v_lshlrev_b32_e32 v25, 27, v0
	v_and_b32_e32 v2, v2, v3
	v_cmp_gt_i64_e32 vcc, 0, v[24:25]
	v_not_b32_e32 v3, v25
	;; [unrolled: 8-line block ×4, first 2 shown]
	v_ashrrev_i32_e32 v3, 31, v3
	v_lshlrev_b32_e32 v25, 24, v0
	v_and_b32_e32 v1, v1, v15
	v_xor_b32_e32 v15, vcc_hi, v3
	v_xor_b32_e32 v3, vcc_lo, v3
	v_cmp_gt_i64_e32 vcc, 0, v[24:25]
	v_not_b32_e32 v0, v25
	v_ashrrev_i32_e32 v0, 31, v0
	v_and_b32_e32 v2, v2, v3
	v_xor_b32_e32 v3, vcc_hi, v0
	v_xor_b32_e32 v0, vcc_lo, v0
	; wave barrier
	ds_read_b32 v13, v14 offset:4
	v_and_b32_e32 v1, v1, v15
	v_and_b32_e32 v0, v2, v0
	;; [unrolled: 1-line block ×3, first 2 shown]
	v_mbcnt_lo_u32_b32 v2, v0, 0
	v_mbcnt_hi_u32_b32 v15, v1, v2
	v_cmp_ne_u64_e32 vcc, 0, v[0:1]
	v_cmp_eq_u32_e64 s[22:23], 0, v15
	s_and_b64 s[34:35], vcc, s[22:23]
	; wave barrier
	s_and_saveexec_b64 s[22:23], s[34:35]
	s_cbranch_execz .LBB293_10
; %bb.9:                                ;   in Loop: Header=BB293_4 Depth=2
	v_bcnt_u32_b32 v0, v0, 0
	v_bcnt_u32_b32 v0, v1, v0
	s_waitcnt lgkmcnt(0)
	v_add_u32_e32 v0, v13, v0
	ds_write_b32 v14, v0 offset:4
.LBB293_10:                             ;   in Loop: Header=BB293_4 Depth=2
	s_or_b64 exec, exec, s[22:23]
	v_lshrrev_b64 v[0:1], v20, v[22:23]
	v_and_b32_e32 v1, 0xff, v0
	v_lshl_add_u32 v17, v1, 2, v44
	v_and_b32_e32 v1, 1, v0
	v_add_co_u32_e32 v2, vcc, -1, v1
	v_addc_co_u32_e64 v3, s[22:23], 0, -1, vcc
	v_cmp_ne_u32_e32 vcc, 0, v1
	v_lshlrev_b32_e32 v25, 30, v0
	v_xor_b32_e32 v1, vcc_hi, v3
	v_xor_b32_e32 v2, vcc_lo, v2
	v_cmp_gt_i64_e32 vcc, 0, v[24:25]
	v_not_b32_e32 v3, v25
	v_ashrrev_i32_e32 v3, 31, v3
	v_and_b32_e32 v2, exec_lo, v2
	v_xor_b32_e32 v18, vcc_hi, v3
	v_xor_b32_e32 v3, vcc_lo, v3
	v_lshlrev_b32_e32 v25, 29, v0
	v_and_b32_e32 v2, v2, v3
	v_cmp_gt_i64_e32 vcc, 0, v[24:25]
	v_not_b32_e32 v3, v25
	v_and_b32_e32 v1, exec_hi, v1
	v_ashrrev_i32_e32 v3, 31, v3
	v_and_b32_e32 v1, v1, v18
	v_xor_b32_e32 v18, vcc_hi, v3
	v_xor_b32_e32 v3, vcc_lo, v3
	v_lshlrev_b32_e32 v25, 28, v0
	v_and_b32_e32 v2, v2, v3
	v_cmp_gt_i64_e32 vcc, 0, v[24:25]
	v_not_b32_e32 v3, v25
	v_ashrrev_i32_e32 v3, 31, v3
	v_and_b32_e32 v1, v1, v18
	v_xor_b32_e32 v18, vcc_hi, v3
	v_xor_b32_e32 v3, vcc_lo, v3
	v_lshlrev_b32_e32 v25, 27, v0
	v_and_b32_e32 v2, v2, v3
	v_cmp_gt_i64_e32 vcc, 0, v[24:25]
	v_not_b32_e32 v3, v25
	;; [unrolled: 8-line block ×4, first 2 shown]
	v_ashrrev_i32_e32 v3, 31, v3
	v_lshlrev_b32_e32 v25, 24, v0
	v_and_b32_e32 v1, v1, v18
	v_xor_b32_e32 v18, vcc_hi, v3
	v_xor_b32_e32 v3, vcc_lo, v3
	v_cmp_gt_i64_e32 vcc, 0, v[24:25]
	v_not_b32_e32 v0, v25
	v_ashrrev_i32_e32 v0, 31, v0
	v_and_b32_e32 v2, v2, v3
	v_xor_b32_e32 v3, vcc_hi, v0
	v_xor_b32_e32 v0, vcc_lo, v0
	; wave barrier
	ds_read_b32 v16, v17 offset:4
	v_and_b32_e32 v1, v1, v18
	v_and_b32_e32 v0, v2, v0
	;; [unrolled: 1-line block ×3, first 2 shown]
	v_mbcnt_lo_u32_b32 v2, v0, 0
	v_mbcnt_hi_u32_b32 v18, v1, v2
	v_cmp_ne_u64_e32 vcc, 0, v[0:1]
	v_cmp_eq_u32_e64 s[22:23], 0, v18
	s_and_b64 s[34:35], vcc, s[22:23]
	; wave barrier
	s_and_saveexec_b64 s[22:23], s[34:35]
	s_cbranch_execz .LBB293_12
; %bb.11:                               ;   in Loop: Header=BB293_4 Depth=2
	v_bcnt_u32_b32 v0, v0, 0
	v_bcnt_u32_b32 v0, v1, v0
	s_waitcnt lgkmcnt(0)
	v_add_u32_e32 v0, v16, v0
	ds_write_b32 v17, v0 offset:4
.LBB293_12:                             ;   in Loop: Header=BB293_4 Depth=2
	s_or_b64 exec, exec, s[22:23]
	; wave barrier
	s_waitcnt lgkmcnt(0)
	; wave barrier
	ds_read2_b32 v[2:3], v37 offset0:1 offset1:2
	ds_read2_b32 v[0:1], v37 offset0:3 offset1:4
	s_waitcnt lgkmcnt(1)
	v_add_u32_e32 v19, v3, v2
	s_waitcnt lgkmcnt(0)
	v_add3_u32 v1, v19, v0, v1
	s_nop 1
	v_mov_b32_dpp v19, v1 row_shr:1 row_mask:0xf bank_mask:0xf
	v_cndmask_b32_e64 v19, v19, 0, s[12:13]
	v_add_u32_e32 v1, v19, v1
	s_nop 1
	v_mov_b32_dpp v19, v1 row_shr:2 row_mask:0xf bank_mask:0xf
	v_cndmask_b32_e64 v19, 0, v19, s[14:15]
	v_add_u32_e32 v1, v1, v19
	;; [unrolled: 4-line block ×4, first 2 shown]
	s_nop 1
	v_mov_b32_dpp v19, v1 row_bcast:15 row_mask:0xf bank_mask:0xf
	v_cndmask_b32_e64 v19, v19, 0, s[20:21]
	v_add_u32_e32 v1, v1, v19
	s_nop 1
	v_mov_b32_dpp v19, v1 row_bcast:31 row_mask:0xf bank_mask:0xf
	v_cndmask_b32_e64 v19, 0, v19, s[2:3]
	v_add_u32_e32 v1, v1, v19
	s_and_saveexec_b64 s[22:23], s[0:1]
; %bb.13:                               ;   in Loop: Header=BB293_4 Depth=2
	ds_write_b32 v24, v1
; %bb.14:                               ;   in Loop: Header=BB293_4 Depth=2
	s_or_b64 exec, exec, s[22:23]
	ds_bpermute_b32 v1, v40, v1
	s_waitcnt lgkmcnt(0)
	; wave barrier
	v_cmp_lt_u32_e32 vcc, 55, v20
	s_and_b64 vcc, exec, vcc
	v_cndmask_b32_e64 v1, v1, 0, s[24:25]
	v_add_u32_e32 v2, v1, v2
	v_add_u32_e32 v3, v2, v3
	;; [unrolled: 1-line block ×3, first 2 shown]
	ds_write2_b32 v37, v1, v2 offset0:1 offset1:2
	ds_write2_b32 v37, v3, v0 offset0:3 offset1:4
	s_waitcnt lgkmcnt(0)
	; wave barrier
	ds_read_b32 v0, v4 offset:4
	ds_read_b32 v1, v7 offset:4
	;; [unrolled: 1-line block ×4, first 2 shown]
	s_mov_b64 s[22:23], -1
	s_waitcnt lgkmcnt(3)
	v_add_u32_e32 v48, v0, v5
	s_waitcnt lgkmcnt(2)
	v_add3_u32 v47, v12, v6, v1
	s_waitcnt lgkmcnt(1)
	v_add3_u32 v46, v15, v13, v2
	;; [unrolled: 2-line block ×3, first 2 shown]
                                        ; implicit-def: $vgpr6_vgpr7
                                        ; implicit-def: $vgpr2_vgpr3
                                        ; implicit-def: $vgpr16_vgpr17
                                        ; implicit-def: $vgpr12_vgpr13
	s_cbranch_vccnz .LBB293_3
; %bb.15:                               ;   in Loop: Header=BB293_4 Depth=2
	v_lshlrev_b32_e32 v12, 3, v48
	v_lshlrev_b32_e32 v13, 3, v47
	;; [unrolled: 1-line block ×4, first 2 shown]
	; wave barrier
	ds_write_b64 v12, v[34:35]
	ds_write_b64 v13, v[32:33]
	;; [unrolled: 1-line block ×4, first 2 shown]
	s_waitcnt lgkmcnt(0)
	; wave barrier
	ds_read2st64_b64 v[0:3], v38 offset1:1
	ds_read2st64_b64 v[4:7], v38 offset0:2 offset1:3
	s_waitcnt lgkmcnt(0)
	; wave barrier
	ds_write_b64 v12, v[28:29]
	ds_write_b64 v13, v[26:27]
	;; [unrolled: 1-line block ×4, first 2 shown]
	s_waitcnt lgkmcnt(0)
	; wave barrier
	ds_read2st64_b64 v[16:19], v38 offset1:1
	ds_read2st64_b64 v[12:15], v38 offset0:2 offset1:3
	v_add_co_u32_e32 v20, vcc, 8, v20
	v_addc_co_u32_e32 v21, vcc, 0, v21, vcc
	s_mov_b64 s[22:23], 0
	s_waitcnt lgkmcnt(0)
	; wave barrier
	s_branch .LBB293_3
.LBB293_16:
	s_waitcnt lgkmcnt(1)
	v_add_co_u32_e32 v0, vcc, v12, v20
	v_addc_co_u32_e32 v1, vcc, v13, v21, vcc
	v_add_co_u32_e32 v2, vcc, v14, v22
	v_addc_co_u32_e32 v3, vcc, v15, v23, vcc
	s_waitcnt lgkmcnt(0)
	v_add_co_u32_e32 v4, vcc, v8, v16
	v_addc_co_u32_e32 v5, vcc, v9, v17, vcc
	s_add_u32 s0, s26, s28
	v_add_co_u32_e32 v6, vcc, v10, v18
	s_addc_u32 s1, s27, s29
	v_addc_co_u32_e32 v7, vcc, v11, v19, vcc
	global_store_dwordx2 v36, v[0:1], s[0:1]
	global_store_dwordx2 v36, v[2:3], s[0:1] offset:512
	global_store_dwordx2 v36, v[4:5], s[0:1] offset:1024
	;; [unrolled: 1-line block ×3, first 2 shown]
	s_endpgm
	.section	.rodata,"a",@progbits
	.p2align	6, 0x0
	.amdhsa_kernel _Z17sort_pairs_kernelI22helper_blocked_stripedxLj64ELj4ELj10EEvPKT0_PS1_
		.amdhsa_group_segment_fixed_size 2048
		.amdhsa_private_segment_fixed_size 0
		.amdhsa_kernarg_size 272
		.amdhsa_user_sgpr_count 6
		.amdhsa_user_sgpr_private_segment_buffer 1
		.amdhsa_user_sgpr_dispatch_ptr 0
		.amdhsa_user_sgpr_queue_ptr 0
		.amdhsa_user_sgpr_kernarg_segment_ptr 1
		.amdhsa_user_sgpr_dispatch_id 0
		.amdhsa_user_sgpr_flat_scratch_init 0
		.amdhsa_user_sgpr_private_segment_size 0
		.amdhsa_uses_dynamic_stack 0
		.amdhsa_system_sgpr_private_segment_wavefront_offset 0
		.amdhsa_system_sgpr_workgroup_id_x 1
		.amdhsa_system_sgpr_workgroup_id_y 0
		.amdhsa_system_sgpr_workgroup_id_z 0
		.amdhsa_system_sgpr_workgroup_info 0
		.amdhsa_system_vgpr_workitem_id 2
		.amdhsa_next_free_vgpr 49
		.amdhsa_next_free_sgpr 61
		.amdhsa_reserve_vcc 1
		.amdhsa_reserve_flat_scratch 0
		.amdhsa_float_round_mode_32 0
		.amdhsa_float_round_mode_16_64 0
		.amdhsa_float_denorm_mode_32 3
		.amdhsa_float_denorm_mode_16_64 3
		.amdhsa_dx10_clamp 1
		.amdhsa_ieee_mode 1
		.amdhsa_fp16_overflow 0
		.amdhsa_exception_fp_ieee_invalid_op 0
		.amdhsa_exception_fp_denorm_src 0
		.amdhsa_exception_fp_ieee_div_zero 0
		.amdhsa_exception_fp_ieee_overflow 0
		.amdhsa_exception_fp_ieee_underflow 0
		.amdhsa_exception_fp_ieee_inexact 0
		.amdhsa_exception_int_div_zero 0
	.end_amdhsa_kernel
	.section	.text._Z17sort_pairs_kernelI22helper_blocked_stripedxLj64ELj4ELj10EEvPKT0_PS1_,"axG",@progbits,_Z17sort_pairs_kernelI22helper_blocked_stripedxLj64ELj4ELj10EEvPKT0_PS1_,comdat
.Lfunc_end293:
	.size	_Z17sort_pairs_kernelI22helper_blocked_stripedxLj64ELj4ELj10EEvPKT0_PS1_, .Lfunc_end293-_Z17sort_pairs_kernelI22helper_blocked_stripedxLj64ELj4ELj10EEvPKT0_PS1_
                                        ; -- End function
	.set _Z17sort_pairs_kernelI22helper_blocked_stripedxLj64ELj4ELj10EEvPKT0_PS1_.num_vgpr, 49
	.set _Z17sort_pairs_kernelI22helper_blocked_stripedxLj64ELj4ELj10EEvPKT0_PS1_.num_agpr, 0
	.set _Z17sort_pairs_kernelI22helper_blocked_stripedxLj64ELj4ELj10EEvPKT0_PS1_.numbered_sgpr, 36
	.set _Z17sort_pairs_kernelI22helper_blocked_stripedxLj64ELj4ELj10EEvPKT0_PS1_.num_named_barrier, 0
	.set _Z17sort_pairs_kernelI22helper_blocked_stripedxLj64ELj4ELj10EEvPKT0_PS1_.private_seg_size, 0
	.set _Z17sort_pairs_kernelI22helper_blocked_stripedxLj64ELj4ELj10EEvPKT0_PS1_.uses_vcc, 1
	.set _Z17sort_pairs_kernelI22helper_blocked_stripedxLj64ELj4ELj10EEvPKT0_PS1_.uses_flat_scratch, 0
	.set _Z17sort_pairs_kernelI22helper_blocked_stripedxLj64ELj4ELj10EEvPKT0_PS1_.has_dyn_sized_stack, 0
	.set _Z17sort_pairs_kernelI22helper_blocked_stripedxLj64ELj4ELj10EEvPKT0_PS1_.has_recursion, 0
	.set _Z17sort_pairs_kernelI22helper_blocked_stripedxLj64ELj4ELj10EEvPKT0_PS1_.has_indirect_call, 0
	.section	.AMDGPU.csdata,"",@progbits
; Kernel info:
; codeLenInByte = 3964
; TotalNumSgprs: 40
; NumVgprs: 49
; ScratchSize: 0
; MemoryBound: 0
; FloatMode: 240
; IeeeMode: 1
; LDSByteSize: 2048 bytes/workgroup (compile time only)
; SGPRBlocks: 8
; VGPRBlocks: 12
; NumSGPRsForWavesPerEU: 65
; NumVGPRsForWavesPerEU: 49
; Occupancy: 4
; WaveLimiterHint : 1
; COMPUTE_PGM_RSRC2:SCRATCH_EN: 0
; COMPUTE_PGM_RSRC2:USER_SGPR: 6
; COMPUTE_PGM_RSRC2:TRAP_HANDLER: 0
; COMPUTE_PGM_RSRC2:TGID_X_EN: 1
; COMPUTE_PGM_RSRC2:TGID_Y_EN: 0
; COMPUTE_PGM_RSRC2:TGID_Z_EN: 0
; COMPUTE_PGM_RSRC2:TIDIG_COMP_CNT: 2
	.section	.text._Z16sort_keys_kernelI22helper_blocked_stripedxLj64ELj8ELj10EEvPKT0_PS1_,"axG",@progbits,_Z16sort_keys_kernelI22helper_blocked_stripedxLj64ELj8ELj10EEvPKT0_PS1_,comdat
	.protected	_Z16sort_keys_kernelI22helper_blocked_stripedxLj64ELj8ELj10EEvPKT0_PS1_ ; -- Begin function _Z16sort_keys_kernelI22helper_blocked_stripedxLj64ELj8ELj10EEvPKT0_PS1_
	.globl	_Z16sort_keys_kernelI22helper_blocked_stripedxLj64ELj8ELj10EEvPKT0_PS1_
	.p2align	8
	.type	_Z16sort_keys_kernelI22helper_blocked_stripedxLj64ELj8ELj10EEvPKT0_PS1_,@function
_Z16sort_keys_kernelI22helper_blocked_stripedxLj64ELj8ELj10EEvPKT0_PS1_: ; @_Z16sort_keys_kernelI22helper_blocked_stripedxLj64ELj8ELj10EEvPKT0_PS1_
; %bb.0:
	s_load_dwordx4 s[16:19], s[4:5], 0x0
	s_load_dword s2, s[4:5], 0x1c
	s_lshl_b32 s20, s6, 9
	s_mov_b32 s21, 0
	s_lshl_b64 s[22:23], s[20:21], 3
	s_waitcnt lgkmcnt(0)
	s_add_u32 s0, s16, s22
	s_addc_u32 s1, s17, s23
	v_lshlrev_b32_e32 v19, 6, v0
	global_load_dwordx4 v[3:6], v19, s[0:1] offset:48
	global_load_dwordx4 v[7:10], v19, s[0:1] offset:32
	;; [unrolled: 1-line block ×3, first 2 shown]
	global_load_dwordx4 v[15:18], v19, s[0:1]
	v_mbcnt_lo_u32_b32 v19, -1, 0
	v_mbcnt_hi_u32_b32 v19, -1, v19
	s_lshr_b32 s0, s2, 16
	s_and_b32 s1, s2, 0xffff
	v_mad_u32_u24 v1, v2, s0, v1
	v_and_b32_e32 v2, 15, v19
	v_mad_u32_u24 v1, v1, s1, v0
	v_cmp_eq_u32_e64 s[0:1], 0, v2
	v_cmp_lt_u32_e64 s[2:3], 1, v2
	v_cmp_lt_u32_e64 s[4:5], 3, v2
	;; [unrolled: 1-line block ×3, first 2 shown]
	v_and_b32_e32 v2, 16, v19
	v_cmp_eq_u32_e64 s[8:9], 0, v2
	v_subrev_co_u32_e32 v2, vcc, 1, v19
	v_and_b32_e32 v20, 64, v19
	v_cmp_lt_i32_e64 s[14:15], v2, v20
	v_lshlrev_b32_e32 v37, 3, v0
	v_lshlrev_b32_e32 v40, 4, v0
	v_cmp_eq_u32_e64 s[12:13], 63, v0
	v_cndmask_b32_e64 v2, v2, v19, s[14:15]
	v_cmp_eq_u32_e64 s[14:15], 0, v0
	v_lshrrev_b32_e32 v0, 4, v1
	v_and_b32_e32 v42, 0xffffffc, v0
	v_sub_u32_e32 v0, 0, v37
	v_lshlrev_b32_e32 v38, 6, v19
	v_lshlrev_b32_e32 v39, 3, v19
	v_cmp_lt_u32_e64 s[10:11], 31, v19
	v_lshlrev_b32_e32 v41, 2, v2
	s_or_b64 s[16:17], s[14:15], vcc
	v_mov_b32_e32 v19, 0
	v_add_u32_e32 v43, v40, v0
	s_branch .LBB294_2
.LBB294_1:                              ;   in Loop: Header=BB294_2 Depth=1
	v_lshlrev_b32_e32 v0, 3, v54
	; wave barrier
	ds_write_b64 v0, v[35:36]
	v_lshlrev_b32_e32 v0, 3, v53
	ds_write_b64 v0, v[33:34]
	v_lshlrev_b32_e32 v0, 3, v52
	;; [unrolled: 2-line block ×7, first 2 shown]
	ds_write_b64 v0, v[16:17]
	s_waitcnt lgkmcnt(0)
	; wave barrier
	ds_read2st64_b64 v[15:18], v43 offset1:1
	ds_read2st64_b64 v[11:14], v43 offset0:2 offset1:3
	ds_read2st64_b64 v[7:10], v43 offset0:4 offset1:5
	;; [unrolled: 1-line block ×3, first 2 shown]
	s_add_i32 s21, s21, 1
	s_waitcnt lgkmcnt(3)
	v_xor_b32_e32 v16, 0x80000000, v16
	v_xor_b32_e32 v18, 0x80000000, v18
	s_waitcnt lgkmcnt(2)
	v_xor_b32_e32 v12, 0x80000000, v12
	v_xor_b32_e32 v14, 0x80000000, v14
	;; [unrolled: 3-line block ×3, first 2 shown]
	s_waitcnt lgkmcnt(0)
	v_xor_b32_e32 v4, 0x80000000, v4
	s_cmp_eq_u32 s21, 10
	v_xor_b32_e32 v6, 0x80000000, v6
	s_cbranch_scc1 .LBB294_24
.LBB294_2:                              ; =>This Loop Header: Depth=1
                                        ;     Child Loop BB294_4 Depth 2
	s_waitcnt vmcnt(0)
	v_xor_b32_e32 v16, 0x80000000, v16
	v_xor_b32_e32 v18, 0x80000000, v18
	;; [unrolled: 1-line block ×8, first 2 shown]
	ds_write2_b64 v38, v[15:16], v[17:18] offset1:1
	ds_write2_b64 v38, v[11:12], v[13:14] offset0:2 offset1:3
	ds_write2_b64 v38, v[7:8], v[9:10] offset0:4 offset1:5
	ds_write2_b64 v38, v[3:4], v[5:6] offset0:6 offset1:7
	; wave barrier
	ds_read2st64_b64 v[0:3], v39 offset1:1
	ds_read2st64_b64 v[4:7], v39 offset0:2 offset1:3
	ds_read2st64_b64 v[8:11], v39 offset0:4 offset1:5
	ds_read2st64_b64 v[12:15], v39 offset0:6 offset1:7
	v_mov_b32_e32 v25, 0
	v_mov_b32_e32 v26, 0
	s_waitcnt lgkmcnt(0)
	; wave barrier
	; wave barrier
	;; [unrolled: 1-line block ×3, first 2 shown]
	s_branch .LBB294_4
.LBB294_3:                              ;   in Loop: Header=BB294_4 Depth=2
	s_andn2_b64 vcc, exec, s[14:15]
	s_cbranch_vccz .LBB294_1
.LBB294_4:                              ;   Parent Loop BB294_2 Depth=1
                                        ; =>  This Inner Loop Header: Depth=2
	v_mov_b32_e32 v36, v1
	v_mov_b32_e32 v35, v0
	v_lshrrev_b64 v[0:1], v25, v[35:36]
	v_mov_b32_e32 v32, v5
	v_and_b32_e32 v1, 0xff, v0
	v_mov_b32_e32 v31, v4
	v_mov_b32_e32 v34, v3
	v_lshl_add_u32 v4, v1, 2, v42
	v_and_b32_e32 v1, 1, v0
	v_mov_b32_e32 v33, v2
	v_add_co_u32_e32 v2, vcc, -1, v1
	v_addc_co_u32_e64 v3, s[14:15], 0, -1, vcc
	v_cmp_ne_u32_e32 vcc, 0, v1
	v_lshlrev_b32_e32 v20, 30, v0
	v_xor_b32_e32 v1, vcc_hi, v3
	v_xor_b32_e32 v2, vcc_lo, v2
	v_cmp_gt_i64_e32 vcc, 0, v[19:20]
	v_not_b32_e32 v3, v20
	v_ashrrev_i32_e32 v3, 31, v3
	v_and_b32_e32 v2, exec_lo, v2
	v_xor_b32_e32 v5, vcc_hi, v3
	v_xor_b32_e32 v3, vcc_lo, v3
	v_lshlrev_b32_e32 v20, 29, v0
	v_and_b32_e32 v2, v2, v3
	v_cmp_gt_i64_e32 vcc, 0, v[19:20]
	v_not_b32_e32 v3, v20
	v_and_b32_e32 v1, exec_hi, v1
	v_ashrrev_i32_e32 v3, 31, v3
	v_and_b32_e32 v1, v1, v5
	v_xor_b32_e32 v5, vcc_hi, v3
	v_xor_b32_e32 v3, vcc_lo, v3
	v_lshlrev_b32_e32 v20, 28, v0
	v_and_b32_e32 v2, v2, v3
	v_cmp_gt_i64_e32 vcc, 0, v[19:20]
	v_not_b32_e32 v3, v20
	v_ashrrev_i32_e32 v3, 31, v3
	v_and_b32_e32 v1, v1, v5
	v_xor_b32_e32 v5, vcc_hi, v3
	v_xor_b32_e32 v3, vcc_lo, v3
	v_lshlrev_b32_e32 v20, 27, v0
	v_and_b32_e32 v2, v2, v3
	v_cmp_gt_i64_e32 vcc, 0, v[19:20]
	v_not_b32_e32 v3, v20
	v_ashrrev_i32_e32 v3, 31, v3
	v_and_b32_e32 v1, v1, v5
	v_xor_b32_e32 v5, vcc_hi, v3
	v_xor_b32_e32 v3, vcc_lo, v3
	v_lshlrev_b32_e32 v20, 26, v0
	v_and_b32_e32 v2, v2, v3
	v_cmp_gt_i64_e32 vcc, 0, v[19:20]
	v_not_b32_e32 v3, v20
	v_ashrrev_i32_e32 v3, 31, v3
	v_and_b32_e32 v1, v1, v5
	v_xor_b32_e32 v5, vcc_hi, v3
	v_xor_b32_e32 v3, vcc_lo, v3
	v_lshlrev_b32_e32 v20, 25, v0
	v_and_b32_e32 v2, v2, v3
	v_cmp_gt_i64_e32 vcc, 0, v[19:20]
	v_not_b32_e32 v3, v20
	v_ashrrev_i32_e32 v3, 31, v3
	v_lshlrev_b32_e32 v20, 24, v0
	v_and_b32_e32 v1, v1, v5
	v_xor_b32_e32 v5, vcc_hi, v3
	v_xor_b32_e32 v3, vcc_lo, v3
	v_cmp_gt_i64_e32 vcc, 0, v[19:20]
	v_not_b32_e32 v0, v20
	v_ashrrev_i32_e32 v0, 31, v0
	v_and_b32_e32 v2, v2, v3
	v_xor_b32_e32 v3, vcc_hi, v0
	v_xor_b32_e32 v0, vcc_lo, v0
	v_and_b32_e32 v1, v1, v5
	v_and_b32_e32 v0, v2, v0
	;; [unrolled: 1-line block ×3, first 2 shown]
	v_mbcnt_lo_u32_b32 v2, v0, 0
	v_mbcnt_hi_u32_b32 v5, v1, v2
	v_cmp_ne_u64_e32 vcc, 0, v[0:1]
	v_mov_b32_e32 v17, v15
	v_mov_b32_e32 v22, v13
	;; [unrolled: 1-line block ×5, first 2 shown]
	v_cmp_eq_u32_e64 s[14:15], 0, v5
	v_mov_b32_e32 v16, v14
	v_mov_b32_e32 v21, v12
	;; [unrolled: 1-line block ×5, first 2 shown]
	s_and_b64 s[24:25], vcc, s[14:15]
	ds_write2_b32 v40, v19, v19 offset0:1 offset1:2
	ds_write2_b32 v40, v19, v19 offset0:3 offset1:4
	s_waitcnt lgkmcnt(0)
	; wave barrier
	; wave barrier
	s_and_saveexec_b64 s[14:15], s[24:25]
; %bb.5:                                ;   in Loop: Header=BB294_4 Depth=2
	v_bcnt_u32_b32 v0, v0, 0
	v_bcnt_u32_b32 v0, v1, v0
	ds_write_b32 v4, v0 offset:4
; %bb.6:                                ;   in Loop: Header=BB294_4 Depth=2
	s_or_b64 exec, exec, s[14:15]
	v_lshrrev_b64 v[0:1], v25, v[33:34]
	v_and_b32_e32 v1, 0xff, v0
	v_lshl_add_u32 v7, v1, 2, v42
	v_and_b32_e32 v1, 1, v0
	v_add_co_u32_e32 v2, vcc, -1, v1
	v_addc_co_u32_e64 v3, s[14:15], 0, -1, vcc
	v_cmp_ne_u32_e32 vcc, 0, v1
	v_lshlrev_b32_e32 v20, 30, v0
	v_xor_b32_e32 v1, vcc_hi, v3
	v_xor_b32_e32 v2, vcc_lo, v2
	v_cmp_gt_i64_e32 vcc, 0, v[19:20]
	v_not_b32_e32 v3, v20
	v_ashrrev_i32_e32 v3, 31, v3
	v_and_b32_e32 v2, exec_lo, v2
	v_xor_b32_e32 v8, vcc_hi, v3
	v_xor_b32_e32 v3, vcc_lo, v3
	v_lshlrev_b32_e32 v20, 29, v0
	v_and_b32_e32 v2, v2, v3
	v_cmp_gt_i64_e32 vcc, 0, v[19:20]
	v_not_b32_e32 v3, v20
	v_and_b32_e32 v1, exec_hi, v1
	v_ashrrev_i32_e32 v3, 31, v3
	v_and_b32_e32 v1, v1, v8
	v_xor_b32_e32 v8, vcc_hi, v3
	v_xor_b32_e32 v3, vcc_lo, v3
	v_lshlrev_b32_e32 v20, 28, v0
	v_and_b32_e32 v2, v2, v3
	v_cmp_gt_i64_e32 vcc, 0, v[19:20]
	v_not_b32_e32 v3, v20
	v_ashrrev_i32_e32 v3, 31, v3
	v_and_b32_e32 v1, v1, v8
	v_xor_b32_e32 v8, vcc_hi, v3
	v_xor_b32_e32 v3, vcc_lo, v3
	v_lshlrev_b32_e32 v20, 27, v0
	v_and_b32_e32 v2, v2, v3
	v_cmp_gt_i64_e32 vcc, 0, v[19:20]
	v_not_b32_e32 v3, v20
	;; [unrolled: 8-line block ×4, first 2 shown]
	v_ashrrev_i32_e32 v3, 31, v3
	v_lshlrev_b32_e32 v20, 24, v0
	v_and_b32_e32 v1, v1, v8
	v_xor_b32_e32 v8, vcc_hi, v3
	v_xor_b32_e32 v3, vcc_lo, v3
	v_cmp_gt_i64_e32 vcc, 0, v[19:20]
	v_not_b32_e32 v0, v20
	v_ashrrev_i32_e32 v0, 31, v0
	v_and_b32_e32 v2, v2, v3
	v_xor_b32_e32 v3, vcc_hi, v0
	v_xor_b32_e32 v0, vcc_lo, v0
	; wave barrier
	ds_read_b32 v6, v7 offset:4
	v_and_b32_e32 v1, v1, v8
	v_and_b32_e32 v0, v2, v0
	;; [unrolled: 1-line block ×3, first 2 shown]
	v_mbcnt_lo_u32_b32 v2, v0, 0
	v_mbcnt_hi_u32_b32 v8, v1, v2
	v_cmp_ne_u64_e32 vcc, 0, v[0:1]
	v_cmp_eq_u32_e64 s[14:15], 0, v8
	s_and_b64 s[24:25], vcc, s[14:15]
	; wave barrier
	s_and_saveexec_b64 s[14:15], s[24:25]
	s_cbranch_execz .LBB294_8
; %bb.7:                                ;   in Loop: Header=BB294_4 Depth=2
	v_bcnt_u32_b32 v0, v0, 0
	v_bcnt_u32_b32 v0, v1, v0
	s_waitcnt lgkmcnt(0)
	v_add_u32_e32 v0, v6, v0
	ds_write_b32 v7, v0 offset:4
.LBB294_8:                              ;   in Loop: Header=BB294_4 Depth=2
	s_or_b64 exec, exec, s[14:15]
	v_lshrrev_b64 v[0:1], v25, v[31:32]
	v_and_b32_e32 v1, 0xff, v0
	v_lshl_add_u32 v10, v1, 2, v42
	v_and_b32_e32 v1, 1, v0
	v_add_co_u32_e32 v2, vcc, -1, v1
	v_addc_co_u32_e64 v3, s[14:15], 0, -1, vcc
	v_cmp_ne_u32_e32 vcc, 0, v1
	v_lshlrev_b32_e32 v20, 30, v0
	v_xor_b32_e32 v1, vcc_hi, v3
	v_xor_b32_e32 v2, vcc_lo, v2
	v_cmp_gt_i64_e32 vcc, 0, v[19:20]
	v_not_b32_e32 v3, v20
	v_ashrrev_i32_e32 v3, 31, v3
	v_and_b32_e32 v2, exec_lo, v2
	v_xor_b32_e32 v11, vcc_hi, v3
	v_xor_b32_e32 v3, vcc_lo, v3
	v_lshlrev_b32_e32 v20, 29, v0
	v_and_b32_e32 v2, v2, v3
	v_cmp_gt_i64_e32 vcc, 0, v[19:20]
	v_not_b32_e32 v3, v20
	v_and_b32_e32 v1, exec_hi, v1
	v_ashrrev_i32_e32 v3, 31, v3
	v_and_b32_e32 v1, v1, v11
	v_xor_b32_e32 v11, vcc_hi, v3
	v_xor_b32_e32 v3, vcc_lo, v3
	v_lshlrev_b32_e32 v20, 28, v0
	v_and_b32_e32 v2, v2, v3
	v_cmp_gt_i64_e32 vcc, 0, v[19:20]
	v_not_b32_e32 v3, v20
	v_ashrrev_i32_e32 v3, 31, v3
	v_and_b32_e32 v1, v1, v11
	v_xor_b32_e32 v11, vcc_hi, v3
	v_xor_b32_e32 v3, vcc_lo, v3
	v_lshlrev_b32_e32 v20, 27, v0
	v_and_b32_e32 v2, v2, v3
	v_cmp_gt_i64_e32 vcc, 0, v[19:20]
	v_not_b32_e32 v3, v20
	v_ashrrev_i32_e32 v3, 31, v3
	v_and_b32_e32 v1, v1, v11
	v_xor_b32_e32 v11, vcc_hi, v3
	v_xor_b32_e32 v3, vcc_lo, v3
	v_lshlrev_b32_e32 v20, 26, v0
	v_and_b32_e32 v2, v2, v3
	v_cmp_gt_i64_e32 vcc, 0, v[19:20]
	v_not_b32_e32 v3, v20
	v_ashrrev_i32_e32 v3, 31, v3
	v_and_b32_e32 v1, v1, v11
	v_xor_b32_e32 v11, vcc_hi, v3
	v_xor_b32_e32 v3, vcc_lo, v3
	v_lshlrev_b32_e32 v20, 25, v0
	v_and_b32_e32 v2, v2, v3
	v_cmp_gt_i64_e32 vcc, 0, v[19:20]
	v_not_b32_e32 v3, v20
	v_ashrrev_i32_e32 v3, 31, v3
	v_lshlrev_b32_e32 v20, 24, v0
	v_and_b32_e32 v1, v1, v11
	v_xor_b32_e32 v11, vcc_hi, v3
	v_xor_b32_e32 v3, vcc_lo, v3
	v_cmp_gt_i64_e32 vcc, 0, v[19:20]
	v_not_b32_e32 v0, v20
	v_ashrrev_i32_e32 v0, 31, v0
	v_and_b32_e32 v2, v2, v3
	v_xor_b32_e32 v3, vcc_hi, v0
	v_xor_b32_e32 v0, vcc_lo, v0
	; wave barrier
	ds_read_b32 v9, v10 offset:4
	v_and_b32_e32 v1, v1, v11
	v_and_b32_e32 v0, v2, v0
	;; [unrolled: 1-line block ×3, first 2 shown]
	v_mbcnt_lo_u32_b32 v2, v0, 0
	v_mbcnt_hi_u32_b32 v11, v1, v2
	v_cmp_ne_u64_e32 vcc, 0, v[0:1]
	v_cmp_eq_u32_e64 s[14:15], 0, v11
	s_and_b64 s[24:25], vcc, s[14:15]
	; wave barrier
	s_and_saveexec_b64 s[14:15], s[24:25]
	s_cbranch_execz .LBB294_10
; %bb.9:                                ;   in Loop: Header=BB294_4 Depth=2
	v_bcnt_u32_b32 v0, v0, 0
	v_bcnt_u32_b32 v0, v1, v0
	s_waitcnt lgkmcnt(0)
	v_add_u32_e32 v0, v9, v0
	ds_write_b32 v10, v0 offset:4
.LBB294_10:                             ;   in Loop: Header=BB294_4 Depth=2
	s_or_b64 exec, exec, s[14:15]
	v_lshrrev_b64 v[0:1], v25, v[29:30]
	v_and_b32_e32 v1, 0xff, v0
	v_lshl_add_u32 v13, v1, 2, v42
	v_and_b32_e32 v1, 1, v0
	v_add_co_u32_e32 v2, vcc, -1, v1
	v_addc_co_u32_e64 v3, s[14:15], 0, -1, vcc
	v_cmp_ne_u32_e32 vcc, 0, v1
	v_lshlrev_b32_e32 v20, 30, v0
	v_xor_b32_e32 v1, vcc_hi, v3
	v_xor_b32_e32 v2, vcc_lo, v2
	v_cmp_gt_i64_e32 vcc, 0, v[19:20]
	v_not_b32_e32 v3, v20
	v_ashrrev_i32_e32 v3, 31, v3
	v_and_b32_e32 v2, exec_lo, v2
	v_xor_b32_e32 v14, vcc_hi, v3
	v_xor_b32_e32 v3, vcc_lo, v3
	v_lshlrev_b32_e32 v20, 29, v0
	v_and_b32_e32 v2, v2, v3
	v_cmp_gt_i64_e32 vcc, 0, v[19:20]
	v_not_b32_e32 v3, v20
	v_and_b32_e32 v1, exec_hi, v1
	v_ashrrev_i32_e32 v3, 31, v3
	v_and_b32_e32 v1, v1, v14
	v_xor_b32_e32 v14, vcc_hi, v3
	v_xor_b32_e32 v3, vcc_lo, v3
	v_lshlrev_b32_e32 v20, 28, v0
	v_and_b32_e32 v2, v2, v3
	v_cmp_gt_i64_e32 vcc, 0, v[19:20]
	v_not_b32_e32 v3, v20
	v_ashrrev_i32_e32 v3, 31, v3
	v_and_b32_e32 v1, v1, v14
	v_xor_b32_e32 v14, vcc_hi, v3
	v_xor_b32_e32 v3, vcc_lo, v3
	v_lshlrev_b32_e32 v20, 27, v0
	v_and_b32_e32 v2, v2, v3
	v_cmp_gt_i64_e32 vcc, 0, v[19:20]
	v_not_b32_e32 v3, v20
	;; [unrolled: 8-line block ×4, first 2 shown]
	v_ashrrev_i32_e32 v3, 31, v3
	v_lshlrev_b32_e32 v20, 24, v0
	v_and_b32_e32 v1, v1, v14
	v_xor_b32_e32 v14, vcc_hi, v3
	v_xor_b32_e32 v3, vcc_lo, v3
	v_cmp_gt_i64_e32 vcc, 0, v[19:20]
	v_not_b32_e32 v0, v20
	v_ashrrev_i32_e32 v0, 31, v0
	v_and_b32_e32 v2, v2, v3
	v_xor_b32_e32 v3, vcc_hi, v0
	v_xor_b32_e32 v0, vcc_lo, v0
	; wave barrier
	ds_read_b32 v12, v13 offset:4
	v_and_b32_e32 v1, v1, v14
	v_and_b32_e32 v0, v2, v0
	;; [unrolled: 1-line block ×3, first 2 shown]
	v_mbcnt_lo_u32_b32 v2, v0, 0
	v_mbcnt_hi_u32_b32 v14, v1, v2
	v_cmp_ne_u64_e32 vcc, 0, v[0:1]
	v_cmp_eq_u32_e64 s[14:15], 0, v14
	s_and_b64 s[24:25], vcc, s[14:15]
	; wave barrier
	s_and_saveexec_b64 s[14:15], s[24:25]
	s_cbranch_execz .LBB294_12
; %bb.11:                               ;   in Loop: Header=BB294_4 Depth=2
	v_bcnt_u32_b32 v0, v0, 0
	v_bcnt_u32_b32 v0, v1, v0
	s_waitcnt lgkmcnt(0)
	v_add_u32_e32 v0, v12, v0
	ds_write_b32 v13, v0 offset:4
.LBB294_12:                             ;   in Loop: Header=BB294_4 Depth=2
	s_or_b64 exec, exec, s[14:15]
	v_lshrrev_b64 v[0:1], v25, v[27:28]
	v_and_b32_e32 v1, 0xff, v0
	v_lshl_add_u32 v18, v1, 2, v42
	v_and_b32_e32 v1, 1, v0
	v_add_co_u32_e32 v2, vcc, -1, v1
	v_addc_co_u32_e64 v3, s[14:15], 0, -1, vcc
	v_cmp_ne_u32_e32 vcc, 0, v1
	v_lshlrev_b32_e32 v20, 30, v0
	v_xor_b32_e32 v1, vcc_hi, v3
	v_xor_b32_e32 v2, vcc_lo, v2
	v_cmp_gt_i64_e32 vcc, 0, v[19:20]
	v_not_b32_e32 v3, v20
	v_ashrrev_i32_e32 v3, 31, v3
	v_and_b32_e32 v1, exec_hi, v1
	v_xor_b32_e32 v20, vcc_hi, v3
	v_and_b32_e32 v2, exec_lo, v2
	v_xor_b32_e32 v3, vcc_lo, v3
	v_and_b32_e32 v1, v1, v20
	v_lshlrev_b32_e32 v20, 29, v0
	v_and_b32_e32 v2, v2, v3
	v_cmp_gt_i64_e32 vcc, 0, v[19:20]
	v_not_b32_e32 v3, v20
	v_ashrrev_i32_e32 v3, 31, v3
	v_xor_b32_e32 v20, vcc_hi, v3
	v_xor_b32_e32 v3, vcc_lo, v3
	v_and_b32_e32 v1, v1, v20
	v_lshlrev_b32_e32 v20, 28, v0
	v_and_b32_e32 v2, v2, v3
	v_cmp_gt_i64_e32 vcc, 0, v[19:20]
	v_not_b32_e32 v3, v20
	v_ashrrev_i32_e32 v3, 31, v3
	v_xor_b32_e32 v20, vcc_hi, v3
	;; [unrolled: 8-line block ×5, first 2 shown]
	v_and_b32_e32 v1, v1, v20
	v_lshlrev_b32_e32 v20, 24, v0
	v_xor_b32_e32 v3, vcc_lo, v3
	v_cmp_gt_i64_e32 vcc, 0, v[19:20]
	v_not_b32_e32 v0, v20
	v_ashrrev_i32_e32 v0, 31, v0
	v_and_b32_e32 v2, v2, v3
	v_xor_b32_e32 v3, vcc_hi, v0
	v_xor_b32_e32 v0, vcc_lo, v0
	; wave barrier
	ds_read_b32 v15, v18 offset:4
	v_and_b32_e32 v0, v2, v0
	v_and_b32_e32 v1, v1, v3
	v_mbcnt_lo_u32_b32 v2, v0, 0
	v_mbcnt_hi_u32_b32 v44, v1, v2
	v_cmp_ne_u64_e32 vcc, 0, v[0:1]
	v_cmp_eq_u32_e64 s[14:15], 0, v44
	s_and_b64 s[24:25], vcc, s[14:15]
	; wave barrier
	s_and_saveexec_b64 s[14:15], s[24:25]
	s_cbranch_execz .LBB294_14
; %bb.13:                               ;   in Loop: Header=BB294_4 Depth=2
	v_bcnt_u32_b32 v0, v0, 0
	v_bcnt_u32_b32 v0, v1, v0
	s_waitcnt lgkmcnt(0)
	v_add_u32_e32 v0, v15, v0
	ds_write_b32 v18, v0 offset:4
.LBB294_14:                             ;   in Loop: Header=BB294_4 Depth=2
	s_or_b64 exec, exec, s[14:15]
	v_lshrrev_b64 v[0:1], v25, v[23:24]
	v_and_b32_e32 v1, 0xff, v0
	v_lshl_add_u32 v46, v1, 2, v42
	v_and_b32_e32 v1, 1, v0
	v_add_co_u32_e32 v2, vcc, -1, v1
	v_addc_co_u32_e64 v3, s[14:15], 0, -1, vcc
	v_cmp_ne_u32_e32 vcc, 0, v1
	v_lshlrev_b32_e32 v20, 30, v0
	v_xor_b32_e32 v1, vcc_hi, v3
	v_xor_b32_e32 v2, vcc_lo, v2
	v_cmp_gt_i64_e32 vcc, 0, v[19:20]
	v_not_b32_e32 v3, v20
	v_ashrrev_i32_e32 v3, 31, v3
	v_and_b32_e32 v1, exec_hi, v1
	v_xor_b32_e32 v20, vcc_hi, v3
	v_and_b32_e32 v2, exec_lo, v2
	v_xor_b32_e32 v3, vcc_lo, v3
	v_and_b32_e32 v1, v1, v20
	v_lshlrev_b32_e32 v20, 29, v0
	v_and_b32_e32 v2, v2, v3
	v_cmp_gt_i64_e32 vcc, 0, v[19:20]
	v_not_b32_e32 v3, v20
	v_ashrrev_i32_e32 v3, 31, v3
	v_xor_b32_e32 v20, vcc_hi, v3
	v_xor_b32_e32 v3, vcc_lo, v3
	v_and_b32_e32 v1, v1, v20
	v_lshlrev_b32_e32 v20, 28, v0
	v_and_b32_e32 v2, v2, v3
	v_cmp_gt_i64_e32 vcc, 0, v[19:20]
	v_not_b32_e32 v3, v20
	v_ashrrev_i32_e32 v3, 31, v3
	v_xor_b32_e32 v20, vcc_hi, v3
	;; [unrolled: 8-line block ×5, first 2 shown]
	v_and_b32_e32 v1, v1, v20
	v_lshlrev_b32_e32 v20, 24, v0
	v_xor_b32_e32 v3, vcc_lo, v3
	v_cmp_gt_i64_e32 vcc, 0, v[19:20]
	v_not_b32_e32 v0, v20
	v_ashrrev_i32_e32 v0, 31, v0
	v_and_b32_e32 v2, v2, v3
	v_xor_b32_e32 v3, vcc_hi, v0
	v_xor_b32_e32 v0, vcc_lo, v0
	; wave barrier
	ds_read_b32 v45, v46 offset:4
	v_and_b32_e32 v0, v2, v0
	v_and_b32_e32 v1, v1, v3
	v_mbcnt_lo_u32_b32 v2, v0, 0
	v_mbcnt_hi_u32_b32 v47, v1, v2
	v_cmp_ne_u64_e32 vcc, 0, v[0:1]
	v_cmp_eq_u32_e64 s[14:15], 0, v47
	s_and_b64 s[24:25], vcc, s[14:15]
	; wave barrier
	s_and_saveexec_b64 s[14:15], s[24:25]
	s_cbranch_execz .LBB294_16
; %bb.15:                               ;   in Loop: Header=BB294_4 Depth=2
	v_bcnt_u32_b32 v0, v0, 0
	v_bcnt_u32_b32 v0, v1, v0
	s_waitcnt lgkmcnt(0)
	v_add_u32_e32 v0, v45, v0
	ds_write_b32 v46, v0 offset:4
.LBB294_16:                             ;   in Loop: Header=BB294_4 Depth=2
	s_or_b64 exec, exec, s[14:15]
	v_lshrrev_b64 v[0:1], v25, v[21:22]
	v_and_b32_e32 v1, 0xff, v0
	v_lshl_add_u32 v49, v1, 2, v42
	v_and_b32_e32 v1, 1, v0
	v_add_co_u32_e32 v2, vcc, -1, v1
	v_addc_co_u32_e64 v3, s[14:15], 0, -1, vcc
	v_cmp_ne_u32_e32 vcc, 0, v1
	v_lshlrev_b32_e32 v20, 30, v0
	v_xor_b32_e32 v1, vcc_hi, v3
	v_xor_b32_e32 v2, vcc_lo, v2
	v_cmp_gt_i64_e32 vcc, 0, v[19:20]
	v_not_b32_e32 v3, v20
	v_ashrrev_i32_e32 v3, 31, v3
	v_and_b32_e32 v1, exec_hi, v1
	v_xor_b32_e32 v20, vcc_hi, v3
	v_and_b32_e32 v2, exec_lo, v2
	v_xor_b32_e32 v3, vcc_lo, v3
	v_and_b32_e32 v1, v1, v20
	v_lshlrev_b32_e32 v20, 29, v0
	v_and_b32_e32 v2, v2, v3
	v_cmp_gt_i64_e32 vcc, 0, v[19:20]
	v_not_b32_e32 v3, v20
	v_ashrrev_i32_e32 v3, 31, v3
	v_xor_b32_e32 v20, vcc_hi, v3
	v_xor_b32_e32 v3, vcc_lo, v3
	v_and_b32_e32 v1, v1, v20
	v_lshlrev_b32_e32 v20, 28, v0
	v_and_b32_e32 v2, v2, v3
	v_cmp_gt_i64_e32 vcc, 0, v[19:20]
	v_not_b32_e32 v3, v20
	v_ashrrev_i32_e32 v3, 31, v3
	v_xor_b32_e32 v20, vcc_hi, v3
	;; [unrolled: 8-line block ×5, first 2 shown]
	v_and_b32_e32 v1, v1, v20
	v_lshlrev_b32_e32 v20, 24, v0
	v_xor_b32_e32 v3, vcc_lo, v3
	v_cmp_gt_i64_e32 vcc, 0, v[19:20]
	v_not_b32_e32 v0, v20
	v_ashrrev_i32_e32 v0, 31, v0
	v_and_b32_e32 v2, v2, v3
	v_xor_b32_e32 v3, vcc_hi, v0
	v_xor_b32_e32 v0, vcc_lo, v0
	; wave barrier
	ds_read_b32 v48, v49 offset:4
	v_and_b32_e32 v0, v2, v0
	v_and_b32_e32 v1, v1, v3
	v_mbcnt_lo_u32_b32 v2, v0, 0
	v_mbcnt_hi_u32_b32 v50, v1, v2
	v_cmp_ne_u64_e32 vcc, 0, v[0:1]
	v_cmp_eq_u32_e64 s[14:15], 0, v50
	s_and_b64 s[24:25], vcc, s[14:15]
	; wave barrier
	s_and_saveexec_b64 s[14:15], s[24:25]
	s_cbranch_execz .LBB294_18
; %bb.17:                               ;   in Loop: Header=BB294_4 Depth=2
	v_bcnt_u32_b32 v0, v0, 0
	v_bcnt_u32_b32 v0, v1, v0
	s_waitcnt lgkmcnt(0)
	v_add_u32_e32 v0, v48, v0
	ds_write_b32 v49, v0 offset:4
.LBB294_18:                             ;   in Loop: Header=BB294_4 Depth=2
	s_or_b64 exec, exec, s[14:15]
	v_lshrrev_b64 v[0:1], v25, v[16:17]
	v_and_b32_e32 v1, 0xff, v0
	v_lshl_add_u32 v52, v1, 2, v42
	v_and_b32_e32 v1, 1, v0
	v_add_co_u32_e32 v2, vcc, -1, v1
	v_addc_co_u32_e64 v3, s[14:15], 0, -1, vcc
	v_cmp_ne_u32_e32 vcc, 0, v1
	v_lshlrev_b32_e32 v20, 30, v0
	v_xor_b32_e32 v1, vcc_hi, v3
	v_xor_b32_e32 v2, vcc_lo, v2
	v_cmp_gt_i64_e32 vcc, 0, v[19:20]
	v_not_b32_e32 v3, v20
	v_ashrrev_i32_e32 v3, 31, v3
	v_and_b32_e32 v1, exec_hi, v1
	v_xor_b32_e32 v20, vcc_hi, v3
	v_and_b32_e32 v2, exec_lo, v2
	v_xor_b32_e32 v3, vcc_lo, v3
	v_and_b32_e32 v1, v1, v20
	v_lshlrev_b32_e32 v20, 29, v0
	v_and_b32_e32 v2, v2, v3
	v_cmp_gt_i64_e32 vcc, 0, v[19:20]
	v_not_b32_e32 v3, v20
	v_ashrrev_i32_e32 v3, 31, v3
	v_xor_b32_e32 v20, vcc_hi, v3
	v_xor_b32_e32 v3, vcc_lo, v3
	v_and_b32_e32 v1, v1, v20
	v_lshlrev_b32_e32 v20, 28, v0
	v_and_b32_e32 v2, v2, v3
	v_cmp_gt_i64_e32 vcc, 0, v[19:20]
	v_not_b32_e32 v3, v20
	v_ashrrev_i32_e32 v3, 31, v3
	v_xor_b32_e32 v20, vcc_hi, v3
	;; [unrolled: 8-line block ×5, first 2 shown]
	v_and_b32_e32 v1, v1, v20
	v_lshlrev_b32_e32 v20, 24, v0
	v_xor_b32_e32 v3, vcc_lo, v3
	v_cmp_gt_i64_e32 vcc, 0, v[19:20]
	v_not_b32_e32 v0, v20
	v_ashrrev_i32_e32 v0, 31, v0
	v_and_b32_e32 v2, v2, v3
	v_xor_b32_e32 v3, vcc_hi, v0
	v_xor_b32_e32 v0, vcc_lo, v0
	; wave barrier
	ds_read_b32 v51, v52 offset:4
	v_and_b32_e32 v0, v2, v0
	v_and_b32_e32 v1, v1, v3
	v_mbcnt_lo_u32_b32 v2, v0, 0
	v_mbcnt_hi_u32_b32 v55, v1, v2
	v_cmp_ne_u64_e32 vcc, 0, v[0:1]
	v_cmp_eq_u32_e64 s[14:15], 0, v55
	s_and_b64 s[24:25], vcc, s[14:15]
	; wave barrier
	s_and_saveexec_b64 s[14:15], s[24:25]
	s_cbranch_execz .LBB294_20
; %bb.19:                               ;   in Loop: Header=BB294_4 Depth=2
	v_bcnt_u32_b32 v0, v0, 0
	v_bcnt_u32_b32 v0, v1, v0
	s_waitcnt lgkmcnt(0)
	v_add_u32_e32 v0, v51, v0
	ds_write_b32 v52, v0 offset:4
.LBB294_20:                             ;   in Loop: Header=BB294_4 Depth=2
	s_or_b64 exec, exec, s[14:15]
	; wave barrier
	s_waitcnt lgkmcnt(0)
	; wave barrier
	ds_read2_b32 v[2:3], v40 offset0:1 offset1:2
	ds_read2_b32 v[0:1], v40 offset0:3 offset1:4
	s_waitcnt lgkmcnt(1)
	v_add_u32_e32 v20, v3, v2
	s_waitcnt lgkmcnt(0)
	v_add3_u32 v1, v20, v0, v1
	s_nop 1
	v_mov_b32_dpp v20, v1 row_shr:1 row_mask:0xf bank_mask:0xf
	v_cndmask_b32_e64 v20, v20, 0, s[0:1]
	v_add_u32_e32 v1, v20, v1
	s_nop 1
	v_mov_b32_dpp v20, v1 row_shr:2 row_mask:0xf bank_mask:0xf
	v_cndmask_b32_e64 v20, 0, v20, s[2:3]
	v_add_u32_e32 v1, v1, v20
	;; [unrolled: 4-line block ×4, first 2 shown]
	s_nop 1
	v_mov_b32_dpp v20, v1 row_bcast:15 row_mask:0xf bank_mask:0xf
	v_cndmask_b32_e64 v20, v20, 0, s[8:9]
	v_add_u32_e32 v1, v1, v20
	s_nop 1
	v_mov_b32_dpp v20, v1 row_bcast:31 row_mask:0xf bank_mask:0xf
	v_cndmask_b32_e64 v20, 0, v20, s[10:11]
	v_add_u32_e32 v1, v1, v20
	s_and_saveexec_b64 s[14:15], s[12:13]
; %bb.21:                               ;   in Loop: Header=BB294_4 Depth=2
	ds_write_b32 v19, v1
; %bb.22:                               ;   in Loop: Header=BB294_4 Depth=2
	s_or_b64 exec, exec, s[14:15]
	ds_bpermute_b32 v1, v41, v1
	s_waitcnt lgkmcnt(0)
	; wave barrier
	v_cmp_lt_u32_e32 vcc, 55, v25
	s_and_b64 vcc, exec, vcc
	v_cndmask_b32_e64 v1, v1, 0, s[16:17]
	v_add_u32_e32 v2, v1, v2
	v_add_u32_e32 v3, v2, v3
	;; [unrolled: 1-line block ×3, first 2 shown]
	ds_write2_b32 v40, v1, v2 offset0:1 offset1:2
	ds_write2_b32 v40, v3, v0 offset0:3 offset1:4
	s_waitcnt lgkmcnt(0)
	; wave barrier
	ds_read_b32 v0, v4 offset:4
	ds_read_b32 v1, v7 offset:4
	;; [unrolled: 1-line block ×8, first 2 shown]
	s_waitcnt lgkmcnt(7)
	v_add_u32_e32 v54, v0, v5
	s_waitcnt lgkmcnt(6)
	v_add3_u32 v53, v8, v6, v1
	s_waitcnt lgkmcnt(5)
	v_add3_u32 v52, v11, v9, v2
	;; [unrolled: 2-line block ×7, first 2 shown]
	s_mov_b64 s[14:15], -1
                                        ; implicit-def: $vgpr14_vgpr15
                                        ; implicit-def: $vgpr10_vgpr11
                                        ; implicit-def: $vgpr6_vgpr7
                                        ; implicit-def: $vgpr2_vgpr3
	s_cbranch_vccnz .LBB294_3
; %bb.23:                               ;   in Loop: Header=BB294_4 Depth=2
	v_lshlrev_b32_e32 v0, 3, v54
	; wave barrier
	ds_write_b64 v0, v[35:36]
	v_lshlrev_b32_e32 v0, 3, v53
	ds_write_b64 v0, v[33:34]
	v_lshlrev_b32_e32 v0, 3, v52
	ds_write_b64 v0, v[31:32]
	v_lshlrev_b32_e32 v0, 3, v49
	ds_write_b64 v0, v[29:30]
	v_lshlrev_b32_e32 v0, 3, v46
	ds_write_b64 v0, v[27:28]
	v_lshlrev_b32_e32 v0, 3, v44
	ds_write_b64 v0, v[23:24]
	v_lshlrev_b32_e32 v0, 3, v20
	ds_write_b64 v0, v[21:22]
	v_lshlrev_b32_e32 v0, 3, v18
	ds_write_b64 v0, v[16:17]
	s_waitcnt lgkmcnt(0)
	; wave barrier
	ds_read2st64_b64 v[0:3], v39 offset1:1
	ds_read2st64_b64 v[4:7], v39 offset0:2 offset1:3
	ds_read2st64_b64 v[8:11], v39 offset0:4 offset1:5
	ds_read2st64_b64 v[12:15], v39 offset0:6 offset1:7
	v_add_co_u32_e32 v25, vcc, 8, v25
	v_addc_co_u32_e32 v26, vcc, 0, v26, vcc
	s_mov_b64 s[14:15], 0
	s_waitcnt lgkmcnt(0)
	; wave barrier
	s_branch .LBB294_3
.LBB294_24:
	s_add_u32 s0, s18, s22
	s_addc_u32 s1, s19, s23
	global_store_dwordx2 v37, v[15:16], s[0:1]
	global_store_dwordx2 v37, v[17:18], s[0:1] offset:512
	global_store_dwordx2 v37, v[11:12], s[0:1] offset:1024
	;; [unrolled: 1-line block ×7, first 2 shown]
	s_endpgm
	.section	.rodata,"a",@progbits
	.p2align	6, 0x0
	.amdhsa_kernel _Z16sort_keys_kernelI22helper_blocked_stripedxLj64ELj8ELj10EEvPKT0_PS1_
		.amdhsa_group_segment_fixed_size 4096
		.amdhsa_private_segment_fixed_size 0
		.amdhsa_kernarg_size 272
		.amdhsa_user_sgpr_count 6
		.amdhsa_user_sgpr_private_segment_buffer 1
		.amdhsa_user_sgpr_dispatch_ptr 0
		.amdhsa_user_sgpr_queue_ptr 0
		.amdhsa_user_sgpr_kernarg_segment_ptr 1
		.amdhsa_user_sgpr_dispatch_id 0
		.amdhsa_user_sgpr_flat_scratch_init 0
		.amdhsa_user_sgpr_private_segment_size 0
		.amdhsa_uses_dynamic_stack 0
		.amdhsa_system_sgpr_private_segment_wavefront_offset 0
		.amdhsa_system_sgpr_workgroup_id_x 1
		.amdhsa_system_sgpr_workgroup_id_y 0
		.amdhsa_system_sgpr_workgroup_id_z 0
		.amdhsa_system_sgpr_workgroup_info 0
		.amdhsa_system_vgpr_workitem_id 2
		.amdhsa_next_free_vgpr 56
		.amdhsa_next_free_sgpr 98
		.amdhsa_reserve_vcc 1
		.amdhsa_reserve_flat_scratch 0
		.amdhsa_float_round_mode_32 0
		.amdhsa_float_round_mode_16_64 0
		.amdhsa_float_denorm_mode_32 3
		.amdhsa_float_denorm_mode_16_64 3
		.amdhsa_dx10_clamp 1
		.amdhsa_ieee_mode 1
		.amdhsa_fp16_overflow 0
		.amdhsa_exception_fp_ieee_invalid_op 0
		.amdhsa_exception_fp_denorm_src 0
		.amdhsa_exception_fp_ieee_div_zero 0
		.amdhsa_exception_fp_ieee_overflow 0
		.amdhsa_exception_fp_ieee_underflow 0
		.amdhsa_exception_fp_ieee_inexact 0
		.amdhsa_exception_int_div_zero 0
	.end_amdhsa_kernel
	.section	.text._Z16sort_keys_kernelI22helper_blocked_stripedxLj64ELj8ELj10EEvPKT0_PS1_,"axG",@progbits,_Z16sort_keys_kernelI22helper_blocked_stripedxLj64ELj8ELj10EEvPKT0_PS1_,comdat
.Lfunc_end294:
	.size	_Z16sort_keys_kernelI22helper_blocked_stripedxLj64ELj8ELj10EEvPKT0_PS1_, .Lfunc_end294-_Z16sort_keys_kernelI22helper_blocked_stripedxLj64ELj8ELj10EEvPKT0_PS1_
                                        ; -- End function
	.set _Z16sort_keys_kernelI22helper_blocked_stripedxLj64ELj8ELj10EEvPKT0_PS1_.num_vgpr, 56
	.set _Z16sort_keys_kernelI22helper_blocked_stripedxLj64ELj8ELj10EEvPKT0_PS1_.num_agpr, 0
	.set _Z16sort_keys_kernelI22helper_blocked_stripedxLj64ELj8ELj10EEvPKT0_PS1_.numbered_sgpr, 26
	.set _Z16sort_keys_kernelI22helper_blocked_stripedxLj64ELj8ELj10EEvPKT0_PS1_.num_named_barrier, 0
	.set _Z16sort_keys_kernelI22helper_blocked_stripedxLj64ELj8ELj10EEvPKT0_PS1_.private_seg_size, 0
	.set _Z16sort_keys_kernelI22helper_blocked_stripedxLj64ELj8ELj10EEvPKT0_PS1_.uses_vcc, 1
	.set _Z16sort_keys_kernelI22helper_blocked_stripedxLj64ELj8ELj10EEvPKT0_PS1_.uses_flat_scratch, 0
	.set _Z16sort_keys_kernelI22helper_blocked_stripedxLj64ELj8ELj10EEvPKT0_PS1_.has_dyn_sized_stack, 0
	.set _Z16sort_keys_kernelI22helper_blocked_stripedxLj64ELj8ELj10EEvPKT0_PS1_.has_recursion, 0
	.set _Z16sort_keys_kernelI22helper_blocked_stripedxLj64ELj8ELj10EEvPKT0_PS1_.has_indirect_call, 0
	.section	.AMDGPU.csdata,"",@progbits
; Kernel info:
; codeLenInByte = 4308
; TotalNumSgprs: 30
; NumVgprs: 56
; ScratchSize: 0
; MemoryBound: 0
; FloatMode: 240
; IeeeMode: 1
; LDSByteSize: 4096 bytes/workgroup (compile time only)
; SGPRBlocks: 12
; VGPRBlocks: 13
; NumSGPRsForWavesPerEU: 102
; NumVGPRsForWavesPerEU: 56
; Occupancy: 4
; WaveLimiterHint : 1
; COMPUTE_PGM_RSRC2:SCRATCH_EN: 0
; COMPUTE_PGM_RSRC2:USER_SGPR: 6
; COMPUTE_PGM_RSRC2:TRAP_HANDLER: 0
; COMPUTE_PGM_RSRC2:TGID_X_EN: 1
; COMPUTE_PGM_RSRC2:TGID_Y_EN: 0
; COMPUTE_PGM_RSRC2:TGID_Z_EN: 0
; COMPUTE_PGM_RSRC2:TIDIG_COMP_CNT: 2
	.section	.text._Z17sort_pairs_kernelI22helper_blocked_stripedxLj64ELj8ELj10EEvPKT0_PS1_,"axG",@progbits,_Z17sort_pairs_kernelI22helper_blocked_stripedxLj64ELj8ELj10EEvPKT0_PS1_,comdat
	.protected	_Z17sort_pairs_kernelI22helper_blocked_stripedxLj64ELj8ELj10EEvPKT0_PS1_ ; -- Begin function _Z17sort_pairs_kernelI22helper_blocked_stripedxLj64ELj8ELj10EEvPKT0_PS1_
	.globl	_Z17sort_pairs_kernelI22helper_blocked_stripedxLj64ELj8ELj10EEvPKT0_PS1_
	.p2align	8
	.type	_Z17sort_pairs_kernelI22helper_blocked_stripedxLj64ELj8ELj10EEvPKT0_PS1_,@function
_Z17sort_pairs_kernelI22helper_blocked_stripedxLj64ELj8ELj10EEvPKT0_PS1_: ; @_Z17sort_pairs_kernelI22helper_blocked_stripedxLj64ELj8ELj10EEvPKT0_PS1_
; %bb.0:
	s_load_dwordx4 s[16:19], s[4:5], 0x0
	s_load_dword s24, s[4:5], 0x1c
	s_lshl_b32 s22, s6, 9
	s_mov_b32 s23, 0
	s_lshl_b64 s[20:21], s[22:23], 3
	s_waitcnt lgkmcnt(0)
	s_add_u32 s0, s16, s20
	s_addc_u32 s1, s17, s21
	v_lshlrev_b32_e32 v19, 6, v0
	global_load_dwordx4 v[15:18], v19, s[0:1]
	global_load_dwordx4 v[11:14], v19, s[0:1] offset:16
	global_load_dwordx4 v[7:10], v19, s[0:1] offset:32
	global_load_dwordx4 v[3:6], v19, s[0:1] offset:48
	v_mbcnt_lo_u32_b32 v19, -1, 0
	v_mbcnt_hi_u32_b32 v19, -1, v19
	v_subrev_co_u32_e64 v22, s[14:15], 1, v19
	v_and_b32_e32 v23, 64, v19
	v_cmp_eq_u32_e32 vcc, 0, v0
	v_cmp_lt_i32_e64 s[16:17], v22, v23
	v_lshlrev_b32_e32 v71, 6, v19
	v_lshlrev_b32_e32 v72, 3, v19
	v_and_b32_e32 v20, 15, v19
	v_and_b32_e32 v21, 16, v19
	v_cmp_lt_u32_e64 s[2:3], 31, v19
	v_cndmask_b32_e64 v19, v22, v19, s[16:17]
	s_or_b64 s[16:17], vcc, s[14:15]
	s_lshr_b32 s22, s24, 16
	v_lshlrev_b32_e32 v73, 2, v19
	s_and_b32 s24, s24, 0xffff
	v_mad_u32_u24 v1, v2, s22, v1
	v_lshlrev_b32_e32 v69, 3, v0
	v_lshlrev_b32_e32 v70, 4, v0
	v_cmp_eq_u32_e64 s[0:1], 63, v0
	v_cmp_eq_u32_e64 s[4:5], 0, v20
	v_cmp_lt_u32_e64 s[6:7], 1, v20
	v_cmp_lt_u32_e64 s[8:9], 3, v20
	v_cmp_lt_u32_e64 s[10:11], 7, v20
	v_mad_u32_u24 v0, v1, s24, v0
	v_sub_u32_e32 v36, 0, v69
	v_cmp_eq_u32_e64 s[12:13], 0, v21
	v_lshrrev_b32_e32 v0, 4, v0
	v_mov_b32_e32 v35, 0
	v_and_b32_e32 v74, 0xffffffc, v0
	v_add_u32_e32 v75, v70, v36
	s_waitcnt vmcnt(3)
	v_add_co_u32_e32 v31, vcc, 1, v15
	v_addc_co_u32_e32 v32, vcc, 0, v16, vcc
	v_add_co_u32_e32 v33, vcc, 1, v17
	v_addc_co_u32_e32 v34, vcc, 0, v18, vcc
	s_waitcnt vmcnt(2)
	v_add_co_u32_e32 v27, vcc, 1, v11
	v_addc_co_u32_e32 v28, vcc, 0, v12, vcc
	v_add_co_u32_e32 v29, vcc, 1, v13
	v_addc_co_u32_e32 v30, vcc, 0, v14, vcc
	s_waitcnt vmcnt(1)
	v_add_co_u32_e32 v23, vcc, 1, v7
	v_addc_co_u32_e32 v24, vcc, 0, v8, vcc
	v_add_co_u32_e32 v25, vcc, 1, v9
	v_addc_co_u32_e32 v26, vcc, 0, v10, vcc
	s_waitcnt vmcnt(0)
	v_add_co_u32_e32 v19, vcc, 1, v3
	v_addc_co_u32_e32 v20, vcc, 0, v4, vcc
	v_add_co_u32_e32 v21, vcc, 1, v5
	v_addc_co_u32_e32 v22, vcc, 0, v6, vcc
	s_branch .LBB295_2
.LBB295_1:                              ;   in Loop: Header=BB295_2 Depth=1
	v_lshlrev_b32_e32 v0, 3, v81
	v_lshlrev_b32_e32 v1, 3, v80
	;; [unrolled: 1-line block ×8, first 2 shown]
	; wave barrier
	ds_write_b64 v0, v[67:68]
	ds_write_b64 v1, v[65:66]
	;; [unrolled: 1-line block ×8, first 2 shown]
	s_waitcnt lgkmcnt(0)
	; wave barrier
	ds_read2st64_b64 v[15:18], v75 offset1:1
	ds_read2st64_b64 v[11:14], v75 offset0:2 offset1:3
	ds_read2st64_b64 v[7:10], v75 offset0:4 offset1:5
	;; [unrolled: 1-line block ×3, first 2 shown]
	s_waitcnt lgkmcnt(0)
	; wave barrier
	ds_write_b64 v0, v[49:50]
	ds_write_b64 v1, v[47:48]
	ds_write_b64 v2, v[45:46]
	ds_write_b64 v19, v[43:44]
	ds_write_b64 v20, v[41:42]
	ds_write_b64 v21, v[39:40]
	ds_write_b64 v22, v[37:38]
	ds_write_b64 v23, v[32:33]
	s_waitcnt lgkmcnt(0)
	; wave barrier
	ds_read2st64_b64 v[31:34], v75 offset1:1
	ds_read2st64_b64 v[27:30], v75 offset0:2 offset1:3
	ds_read2st64_b64 v[23:26], v75 offset0:4 offset1:5
	;; [unrolled: 1-line block ×3, first 2 shown]
	s_add_i32 s23, s23, 1
	v_xor_b32_e32 v16, 0x80000000, v16
	v_xor_b32_e32 v18, 0x80000000, v18
	v_xor_b32_e32 v12, 0x80000000, v12
	v_xor_b32_e32 v14, 0x80000000, v14
	v_xor_b32_e32 v8, 0x80000000, v8
	v_xor_b32_e32 v10, 0x80000000, v10
	v_xor_b32_e32 v4, 0x80000000, v4
	s_cmp_eq_u32 s23, 10
	v_xor_b32_e32 v6, 0x80000000, v6
	s_cbranch_scc1 .LBB295_24
.LBB295_2:                              ; =>This Loop Header: Depth=1
                                        ;     Child Loop BB295_4 Depth 2
	v_xor_b32_e32 v16, 0x80000000, v16
	v_xor_b32_e32 v18, 0x80000000, v18
	;; [unrolled: 1-line block ×8, first 2 shown]
	ds_write2_b64 v71, v[15:16], v[17:18] offset1:1
	ds_write2_b64 v71, v[11:12], v[13:14] offset0:2 offset1:3
	ds_write2_b64 v71, v[7:8], v[9:10] offset0:4 offset1:5
	;; [unrolled: 1-line block ×3, first 2 shown]
	; wave barrier
	ds_read2st64_b64 v[0:3], v72 offset1:1
	ds_read2st64_b64 v[4:7], v72 offset0:2 offset1:3
	ds_read2st64_b64 v[8:11], v72 offset0:4 offset1:5
	;; [unrolled: 1-line block ×3, first 2 shown]
	; wave barrier
	s_waitcnt lgkmcnt(11)
	ds_write2_b64 v71, v[31:32], v[33:34] offset1:1
	s_waitcnt lgkmcnt(11)
	ds_write2_b64 v71, v[27:28], v[29:30] offset0:2 offset1:3
	s_waitcnt lgkmcnt(11)
	ds_write2_b64 v71, v[23:24], v[25:26] offset0:4 offset1:5
	;; [unrolled: 2-line block ×3, first 2 shown]
	; wave barrier
	ds_read2st64_b64 v[16:19], v72 offset1:1
	ds_read2st64_b64 v[20:23], v72 offset0:2 offset1:3
	ds_read2st64_b64 v[24:27], v72 offset0:4 offset1:5
	;; [unrolled: 1-line block ×3, first 2 shown]
	v_mov_b32_e32 v51, 0
	v_mov_b32_e32 v52, 0
	s_waitcnt lgkmcnt(0)
	; wave barrier
	s_branch .LBB295_4
.LBB295_3:                              ;   in Loop: Header=BB295_4 Depth=2
	s_andn2_b64 vcc, exec, s[14:15]
	s_cbranch_vccz .LBB295_1
.LBB295_4:                              ;   Parent Loop BB295_2 Depth=1
                                        ; =>  This Inner Loop Header: Depth=2
	v_mov_b32_e32 v68, v1
	v_mov_b32_e32 v67, v0
	v_lshrrev_b64 v[0:1], v51, v[67:68]
	v_mov_b32_e32 v64, v5
	v_and_b32_e32 v1, 0xff, v0
	v_mov_b32_e32 v63, v4
	v_mov_b32_e32 v66, v3
	v_lshl_add_u32 v4, v1, 2, v74
	v_and_b32_e32 v1, 1, v0
	v_mov_b32_e32 v65, v2
	v_add_co_u32_e32 v2, vcc, -1, v1
	v_addc_co_u32_e64 v3, s[14:15], 0, -1, vcc
	v_cmp_ne_u32_e32 vcc, 0, v1
	v_lshlrev_b32_e32 v36, 30, v0
	v_xor_b32_e32 v1, vcc_hi, v3
	v_xor_b32_e32 v2, vcc_lo, v2
	v_cmp_gt_i64_e32 vcc, 0, v[35:36]
	v_not_b32_e32 v3, v36
	v_ashrrev_i32_e32 v3, 31, v3
	v_and_b32_e32 v2, exec_lo, v2
	v_xor_b32_e32 v5, vcc_hi, v3
	v_xor_b32_e32 v3, vcc_lo, v3
	v_lshlrev_b32_e32 v36, 29, v0
	v_and_b32_e32 v2, v2, v3
	v_cmp_gt_i64_e32 vcc, 0, v[35:36]
	v_not_b32_e32 v3, v36
	v_and_b32_e32 v1, exec_hi, v1
	v_ashrrev_i32_e32 v3, 31, v3
	v_and_b32_e32 v1, v1, v5
	v_xor_b32_e32 v5, vcc_hi, v3
	v_xor_b32_e32 v3, vcc_lo, v3
	v_lshlrev_b32_e32 v36, 28, v0
	v_and_b32_e32 v2, v2, v3
	v_cmp_gt_i64_e32 vcc, 0, v[35:36]
	v_not_b32_e32 v3, v36
	v_ashrrev_i32_e32 v3, 31, v3
	v_and_b32_e32 v1, v1, v5
	v_xor_b32_e32 v5, vcc_hi, v3
	v_xor_b32_e32 v3, vcc_lo, v3
	v_lshlrev_b32_e32 v36, 27, v0
	v_and_b32_e32 v2, v2, v3
	v_cmp_gt_i64_e32 vcc, 0, v[35:36]
	v_not_b32_e32 v3, v36
	;; [unrolled: 8-line block ×4, first 2 shown]
	v_ashrrev_i32_e32 v3, 31, v3
	v_lshlrev_b32_e32 v36, 24, v0
	v_and_b32_e32 v1, v1, v5
	v_xor_b32_e32 v5, vcc_hi, v3
	v_xor_b32_e32 v3, vcc_lo, v3
	v_cmp_gt_i64_e32 vcc, 0, v[35:36]
	v_not_b32_e32 v0, v36
	v_ashrrev_i32_e32 v0, 31, v0
	v_and_b32_e32 v2, v2, v3
	v_xor_b32_e32 v3, vcc_hi, v0
	v_xor_b32_e32 v0, vcc_lo, v0
	v_and_b32_e32 v1, v1, v5
	v_and_b32_e32 v0, v2, v0
	;; [unrolled: 1-line block ×3, first 2 shown]
	v_mbcnt_lo_u32_b32 v2, v0, 0
	v_mbcnt_hi_u32_b32 v5, v1, v2
	v_cmp_ne_u64_e32 vcc, 0, v[0:1]
	v_mov_b32_e32 v54, v15
	v_mov_b32_e32 v56, v13
	;; [unrolled: 1-line block ×13, first 2 shown]
	v_cmp_eq_u32_e64 s[14:15], 0, v5
	v_mov_b32_e32 v53, v14
	v_mov_b32_e32 v55, v12
	;; [unrolled: 1-line block ×13, first 2 shown]
	s_and_b64 s[24:25], vcc, s[14:15]
	ds_write2_b32 v70, v35, v35 offset0:1 offset1:2
	ds_write2_b32 v70, v35, v35 offset0:3 offset1:4
	s_waitcnt lgkmcnt(0)
	; wave barrier
	; wave barrier
	s_and_saveexec_b64 s[14:15], s[24:25]
; %bb.5:                                ;   in Loop: Header=BB295_4 Depth=2
	v_bcnt_u32_b32 v0, v0, 0
	v_bcnt_u32_b32 v0, v1, v0
	ds_write_b32 v4, v0 offset:4
; %bb.6:                                ;   in Loop: Header=BB295_4 Depth=2
	s_or_b64 exec, exec, s[14:15]
	v_lshrrev_b64 v[0:1], v51, v[65:66]
	v_and_b32_e32 v1, 0xff, v0
	v_lshl_add_u32 v7, v1, 2, v74
	v_and_b32_e32 v1, 1, v0
	v_add_co_u32_e32 v2, vcc, -1, v1
	v_addc_co_u32_e64 v3, s[14:15], 0, -1, vcc
	v_cmp_ne_u32_e32 vcc, 0, v1
	v_lshlrev_b32_e32 v36, 30, v0
	v_xor_b32_e32 v1, vcc_hi, v3
	v_xor_b32_e32 v2, vcc_lo, v2
	v_cmp_gt_i64_e32 vcc, 0, v[35:36]
	v_not_b32_e32 v3, v36
	v_ashrrev_i32_e32 v3, 31, v3
	v_and_b32_e32 v2, exec_lo, v2
	v_xor_b32_e32 v8, vcc_hi, v3
	v_xor_b32_e32 v3, vcc_lo, v3
	v_lshlrev_b32_e32 v36, 29, v0
	v_and_b32_e32 v2, v2, v3
	v_cmp_gt_i64_e32 vcc, 0, v[35:36]
	v_not_b32_e32 v3, v36
	v_and_b32_e32 v1, exec_hi, v1
	v_ashrrev_i32_e32 v3, 31, v3
	v_and_b32_e32 v1, v1, v8
	v_xor_b32_e32 v8, vcc_hi, v3
	v_xor_b32_e32 v3, vcc_lo, v3
	v_lshlrev_b32_e32 v36, 28, v0
	v_and_b32_e32 v2, v2, v3
	v_cmp_gt_i64_e32 vcc, 0, v[35:36]
	v_not_b32_e32 v3, v36
	v_ashrrev_i32_e32 v3, 31, v3
	v_and_b32_e32 v1, v1, v8
	v_xor_b32_e32 v8, vcc_hi, v3
	v_xor_b32_e32 v3, vcc_lo, v3
	v_lshlrev_b32_e32 v36, 27, v0
	v_and_b32_e32 v2, v2, v3
	v_cmp_gt_i64_e32 vcc, 0, v[35:36]
	v_not_b32_e32 v3, v36
	v_ashrrev_i32_e32 v3, 31, v3
	v_and_b32_e32 v1, v1, v8
	v_xor_b32_e32 v8, vcc_hi, v3
	v_xor_b32_e32 v3, vcc_lo, v3
	v_lshlrev_b32_e32 v36, 26, v0
	v_and_b32_e32 v2, v2, v3
	v_cmp_gt_i64_e32 vcc, 0, v[35:36]
	v_not_b32_e32 v3, v36
	v_ashrrev_i32_e32 v3, 31, v3
	v_and_b32_e32 v1, v1, v8
	v_xor_b32_e32 v8, vcc_hi, v3
	v_xor_b32_e32 v3, vcc_lo, v3
	v_lshlrev_b32_e32 v36, 25, v0
	v_and_b32_e32 v2, v2, v3
	v_cmp_gt_i64_e32 vcc, 0, v[35:36]
	v_not_b32_e32 v3, v36
	v_ashrrev_i32_e32 v3, 31, v3
	v_lshlrev_b32_e32 v36, 24, v0
	v_and_b32_e32 v1, v1, v8
	v_xor_b32_e32 v8, vcc_hi, v3
	v_xor_b32_e32 v3, vcc_lo, v3
	v_cmp_gt_i64_e32 vcc, 0, v[35:36]
	v_not_b32_e32 v0, v36
	v_ashrrev_i32_e32 v0, 31, v0
	v_and_b32_e32 v2, v2, v3
	v_xor_b32_e32 v3, vcc_hi, v0
	v_xor_b32_e32 v0, vcc_lo, v0
	; wave barrier
	ds_read_b32 v6, v7 offset:4
	v_and_b32_e32 v1, v1, v8
	v_and_b32_e32 v0, v2, v0
	;; [unrolled: 1-line block ×3, first 2 shown]
	v_mbcnt_lo_u32_b32 v2, v0, 0
	v_mbcnt_hi_u32_b32 v8, v1, v2
	v_cmp_ne_u64_e32 vcc, 0, v[0:1]
	v_cmp_eq_u32_e64 s[14:15], 0, v8
	s_and_b64 s[24:25], vcc, s[14:15]
	; wave barrier
	s_and_saveexec_b64 s[14:15], s[24:25]
	s_cbranch_execz .LBB295_8
; %bb.7:                                ;   in Loop: Header=BB295_4 Depth=2
	v_bcnt_u32_b32 v0, v0, 0
	v_bcnt_u32_b32 v0, v1, v0
	s_waitcnt lgkmcnt(0)
	v_add_u32_e32 v0, v6, v0
	ds_write_b32 v7, v0 offset:4
.LBB295_8:                              ;   in Loop: Header=BB295_4 Depth=2
	s_or_b64 exec, exec, s[14:15]
	v_lshrrev_b64 v[0:1], v51, v[63:64]
	v_and_b32_e32 v1, 0xff, v0
	v_lshl_add_u32 v10, v1, 2, v74
	v_and_b32_e32 v1, 1, v0
	v_add_co_u32_e32 v2, vcc, -1, v1
	v_addc_co_u32_e64 v3, s[14:15], 0, -1, vcc
	v_cmp_ne_u32_e32 vcc, 0, v1
	v_lshlrev_b32_e32 v36, 30, v0
	v_xor_b32_e32 v1, vcc_hi, v3
	v_xor_b32_e32 v2, vcc_lo, v2
	v_cmp_gt_i64_e32 vcc, 0, v[35:36]
	v_not_b32_e32 v3, v36
	v_ashrrev_i32_e32 v3, 31, v3
	v_and_b32_e32 v2, exec_lo, v2
	v_xor_b32_e32 v11, vcc_hi, v3
	v_xor_b32_e32 v3, vcc_lo, v3
	v_lshlrev_b32_e32 v36, 29, v0
	v_and_b32_e32 v2, v2, v3
	v_cmp_gt_i64_e32 vcc, 0, v[35:36]
	v_not_b32_e32 v3, v36
	v_and_b32_e32 v1, exec_hi, v1
	v_ashrrev_i32_e32 v3, 31, v3
	v_and_b32_e32 v1, v1, v11
	v_xor_b32_e32 v11, vcc_hi, v3
	v_xor_b32_e32 v3, vcc_lo, v3
	v_lshlrev_b32_e32 v36, 28, v0
	v_and_b32_e32 v2, v2, v3
	v_cmp_gt_i64_e32 vcc, 0, v[35:36]
	v_not_b32_e32 v3, v36
	v_ashrrev_i32_e32 v3, 31, v3
	v_and_b32_e32 v1, v1, v11
	v_xor_b32_e32 v11, vcc_hi, v3
	v_xor_b32_e32 v3, vcc_lo, v3
	v_lshlrev_b32_e32 v36, 27, v0
	v_and_b32_e32 v2, v2, v3
	v_cmp_gt_i64_e32 vcc, 0, v[35:36]
	v_not_b32_e32 v3, v36
	v_ashrrev_i32_e32 v3, 31, v3
	v_and_b32_e32 v1, v1, v11
	v_xor_b32_e32 v11, vcc_hi, v3
	v_xor_b32_e32 v3, vcc_lo, v3
	v_lshlrev_b32_e32 v36, 26, v0
	v_and_b32_e32 v2, v2, v3
	v_cmp_gt_i64_e32 vcc, 0, v[35:36]
	v_not_b32_e32 v3, v36
	v_ashrrev_i32_e32 v3, 31, v3
	v_and_b32_e32 v1, v1, v11
	v_xor_b32_e32 v11, vcc_hi, v3
	v_xor_b32_e32 v3, vcc_lo, v3
	v_lshlrev_b32_e32 v36, 25, v0
	v_and_b32_e32 v2, v2, v3
	v_cmp_gt_i64_e32 vcc, 0, v[35:36]
	v_not_b32_e32 v3, v36
	v_ashrrev_i32_e32 v3, 31, v3
	v_lshlrev_b32_e32 v36, 24, v0
	v_and_b32_e32 v1, v1, v11
	v_xor_b32_e32 v11, vcc_hi, v3
	v_xor_b32_e32 v3, vcc_lo, v3
	v_cmp_gt_i64_e32 vcc, 0, v[35:36]
	v_not_b32_e32 v0, v36
	v_ashrrev_i32_e32 v0, 31, v0
	v_and_b32_e32 v2, v2, v3
	v_xor_b32_e32 v3, vcc_hi, v0
	v_xor_b32_e32 v0, vcc_lo, v0
	; wave barrier
	ds_read_b32 v9, v10 offset:4
	v_and_b32_e32 v1, v1, v11
	v_and_b32_e32 v0, v2, v0
	;; [unrolled: 1-line block ×3, first 2 shown]
	v_mbcnt_lo_u32_b32 v2, v0, 0
	v_mbcnt_hi_u32_b32 v11, v1, v2
	v_cmp_ne_u64_e32 vcc, 0, v[0:1]
	v_cmp_eq_u32_e64 s[14:15], 0, v11
	s_and_b64 s[24:25], vcc, s[14:15]
	; wave barrier
	s_and_saveexec_b64 s[14:15], s[24:25]
	s_cbranch_execz .LBB295_10
; %bb.9:                                ;   in Loop: Header=BB295_4 Depth=2
	v_bcnt_u32_b32 v0, v0, 0
	v_bcnt_u32_b32 v0, v1, v0
	s_waitcnt lgkmcnt(0)
	v_add_u32_e32 v0, v9, v0
	ds_write_b32 v10, v0 offset:4
.LBB295_10:                             ;   in Loop: Header=BB295_4 Depth=2
	s_or_b64 exec, exec, s[14:15]
	v_lshrrev_b64 v[0:1], v51, v[61:62]
	v_and_b32_e32 v1, 0xff, v0
	v_lshl_add_u32 v13, v1, 2, v74
	v_and_b32_e32 v1, 1, v0
	v_add_co_u32_e32 v2, vcc, -1, v1
	v_addc_co_u32_e64 v3, s[14:15], 0, -1, vcc
	v_cmp_ne_u32_e32 vcc, 0, v1
	v_lshlrev_b32_e32 v36, 30, v0
	v_xor_b32_e32 v1, vcc_hi, v3
	v_xor_b32_e32 v2, vcc_lo, v2
	v_cmp_gt_i64_e32 vcc, 0, v[35:36]
	v_not_b32_e32 v3, v36
	v_ashrrev_i32_e32 v3, 31, v3
	v_and_b32_e32 v2, exec_lo, v2
	v_xor_b32_e32 v14, vcc_hi, v3
	v_xor_b32_e32 v3, vcc_lo, v3
	v_lshlrev_b32_e32 v36, 29, v0
	v_and_b32_e32 v2, v2, v3
	v_cmp_gt_i64_e32 vcc, 0, v[35:36]
	v_not_b32_e32 v3, v36
	v_and_b32_e32 v1, exec_hi, v1
	v_ashrrev_i32_e32 v3, 31, v3
	v_and_b32_e32 v1, v1, v14
	v_xor_b32_e32 v14, vcc_hi, v3
	v_xor_b32_e32 v3, vcc_lo, v3
	v_lshlrev_b32_e32 v36, 28, v0
	v_and_b32_e32 v2, v2, v3
	v_cmp_gt_i64_e32 vcc, 0, v[35:36]
	v_not_b32_e32 v3, v36
	v_ashrrev_i32_e32 v3, 31, v3
	v_and_b32_e32 v1, v1, v14
	v_xor_b32_e32 v14, vcc_hi, v3
	v_xor_b32_e32 v3, vcc_lo, v3
	v_lshlrev_b32_e32 v36, 27, v0
	v_and_b32_e32 v2, v2, v3
	v_cmp_gt_i64_e32 vcc, 0, v[35:36]
	v_not_b32_e32 v3, v36
	;; [unrolled: 8-line block ×4, first 2 shown]
	v_ashrrev_i32_e32 v3, 31, v3
	v_lshlrev_b32_e32 v36, 24, v0
	v_and_b32_e32 v1, v1, v14
	v_xor_b32_e32 v14, vcc_hi, v3
	v_xor_b32_e32 v3, vcc_lo, v3
	v_cmp_gt_i64_e32 vcc, 0, v[35:36]
	v_not_b32_e32 v0, v36
	v_ashrrev_i32_e32 v0, 31, v0
	v_and_b32_e32 v2, v2, v3
	v_xor_b32_e32 v3, vcc_hi, v0
	v_xor_b32_e32 v0, vcc_lo, v0
	; wave barrier
	ds_read_b32 v12, v13 offset:4
	v_and_b32_e32 v1, v1, v14
	v_and_b32_e32 v0, v2, v0
	;; [unrolled: 1-line block ×3, first 2 shown]
	v_mbcnt_lo_u32_b32 v2, v0, 0
	v_mbcnt_hi_u32_b32 v14, v1, v2
	v_cmp_ne_u64_e32 vcc, 0, v[0:1]
	v_cmp_eq_u32_e64 s[14:15], 0, v14
	s_and_b64 s[24:25], vcc, s[14:15]
	; wave barrier
	s_and_saveexec_b64 s[14:15], s[24:25]
	s_cbranch_execz .LBB295_12
; %bb.11:                               ;   in Loop: Header=BB295_4 Depth=2
	v_bcnt_u32_b32 v0, v0, 0
	v_bcnt_u32_b32 v0, v1, v0
	s_waitcnt lgkmcnt(0)
	v_add_u32_e32 v0, v12, v0
	ds_write_b32 v13, v0 offset:4
.LBB295_12:                             ;   in Loop: Header=BB295_4 Depth=2
	s_or_b64 exec, exec, s[14:15]
	v_lshrrev_b64 v[0:1], v51, v[59:60]
	v_and_b32_e32 v1, 0xff, v0
	v_lshl_add_u32 v16, v1, 2, v74
	v_and_b32_e32 v1, 1, v0
	v_add_co_u32_e32 v2, vcc, -1, v1
	v_addc_co_u32_e64 v3, s[14:15], 0, -1, vcc
	v_cmp_ne_u32_e32 vcc, 0, v1
	v_lshlrev_b32_e32 v36, 30, v0
	v_xor_b32_e32 v1, vcc_hi, v3
	v_xor_b32_e32 v2, vcc_lo, v2
	v_cmp_gt_i64_e32 vcc, 0, v[35:36]
	v_not_b32_e32 v3, v36
	v_ashrrev_i32_e32 v3, 31, v3
	v_and_b32_e32 v2, exec_lo, v2
	v_xor_b32_e32 v17, vcc_hi, v3
	v_xor_b32_e32 v3, vcc_lo, v3
	v_lshlrev_b32_e32 v36, 29, v0
	v_and_b32_e32 v2, v2, v3
	v_cmp_gt_i64_e32 vcc, 0, v[35:36]
	v_not_b32_e32 v3, v36
	v_and_b32_e32 v1, exec_hi, v1
	v_ashrrev_i32_e32 v3, 31, v3
	v_and_b32_e32 v1, v1, v17
	v_xor_b32_e32 v17, vcc_hi, v3
	v_xor_b32_e32 v3, vcc_lo, v3
	v_lshlrev_b32_e32 v36, 28, v0
	v_and_b32_e32 v2, v2, v3
	v_cmp_gt_i64_e32 vcc, 0, v[35:36]
	v_not_b32_e32 v3, v36
	v_ashrrev_i32_e32 v3, 31, v3
	v_and_b32_e32 v1, v1, v17
	v_xor_b32_e32 v17, vcc_hi, v3
	v_xor_b32_e32 v3, vcc_lo, v3
	v_lshlrev_b32_e32 v36, 27, v0
	v_and_b32_e32 v2, v2, v3
	v_cmp_gt_i64_e32 vcc, 0, v[35:36]
	v_not_b32_e32 v3, v36
	;; [unrolled: 8-line block ×4, first 2 shown]
	v_ashrrev_i32_e32 v3, 31, v3
	v_lshlrev_b32_e32 v36, 24, v0
	v_and_b32_e32 v1, v1, v17
	v_xor_b32_e32 v17, vcc_hi, v3
	v_xor_b32_e32 v3, vcc_lo, v3
	v_cmp_gt_i64_e32 vcc, 0, v[35:36]
	v_not_b32_e32 v0, v36
	v_ashrrev_i32_e32 v0, 31, v0
	v_and_b32_e32 v2, v2, v3
	v_xor_b32_e32 v3, vcc_hi, v0
	v_xor_b32_e32 v0, vcc_lo, v0
	; wave barrier
	ds_read_b32 v15, v16 offset:4
	v_and_b32_e32 v1, v1, v17
	v_and_b32_e32 v0, v2, v0
	;; [unrolled: 1-line block ×3, first 2 shown]
	v_mbcnt_lo_u32_b32 v2, v0, 0
	v_mbcnt_hi_u32_b32 v17, v1, v2
	v_cmp_ne_u64_e32 vcc, 0, v[0:1]
	v_cmp_eq_u32_e64 s[14:15], 0, v17
	s_and_b64 s[24:25], vcc, s[14:15]
	; wave barrier
	s_and_saveexec_b64 s[14:15], s[24:25]
	s_cbranch_execz .LBB295_14
; %bb.13:                               ;   in Loop: Header=BB295_4 Depth=2
	v_bcnt_u32_b32 v0, v0, 0
	v_bcnt_u32_b32 v0, v1, v0
	s_waitcnt lgkmcnt(0)
	v_add_u32_e32 v0, v15, v0
	ds_write_b32 v16, v0 offset:4
.LBB295_14:                             ;   in Loop: Header=BB295_4 Depth=2
	s_or_b64 exec, exec, s[14:15]
	v_lshrrev_b64 v[0:1], v51, v[57:58]
	v_and_b32_e32 v1, 0xff, v0
	v_lshl_add_u32 v19, v1, 2, v74
	v_and_b32_e32 v1, 1, v0
	v_add_co_u32_e32 v2, vcc, -1, v1
	v_addc_co_u32_e64 v3, s[14:15], 0, -1, vcc
	v_cmp_ne_u32_e32 vcc, 0, v1
	v_lshlrev_b32_e32 v36, 30, v0
	v_xor_b32_e32 v1, vcc_hi, v3
	v_xor_b32_e32 v2, vcc_lo, v2
	v_cmp_gt_i64_e32 vcc, 0, v[35:36]
	v_not_b32_e32 v3, v36
	v_ashrrev_i32_e32 v3, 31, v3
	v_and_b32_e32 v2, exec_lo, v2
	v_xor_b32_e32 v20, vcc_hi, v3
	v_xor_b32_e32 v3, vcc_lo, v3
	v_lshlrev_b32_e32 v36, 29, v0
	v_and_b32_e32 v2, v2, v3
	v_cmp_gt_i64_e32 vcc, 0, v[35:36]
	v_not_b32_e32 v3, v36
	v_and_b32_e32 v1, exec_hi, v1
	v_ashrrev_i32_e32 v3, 31, v3
	v_and_b32_e32 v1, v1, v20
	v_xor_b32_e32 v20, vcc_hi, v3
	v_xor_b32_e32 v3, vcc_lo, v3
	v_lshlrev_b32_e32 v36, 28, v0
	v_and_b32_e32 v2, v2, v3
	v_cmp_gt_i64_e32 vcc, 0, v[35:36]
	v_not_b32_e32 v3, v36
	v_ashrrev_i32_e32 v3, 31, v3
	v_and_b32_e32 v1, v1, v20
	v_xor_b32_e32 v20, vcc_hi, v3
	v_xor_b32_e32 v3, vcc_lo, v3
	v_lshlrev_b32_e32 v36, 27, v0
	v_and_b32_e32 v2, v2, v3
	v_cmp_gt_i64_e32 vcc, 0, v[35:36]
	v_not_b32_e32 v3, v36
	;; [unrolled: 8-line block ×4, first 2 shown]
	v_ashrrev_i32_e32 v3, 31, v3
	v_lshlrev_b32_e32 v36, 24, v0
	v_and_b32_e32 v1, v1, v20
	v_xor_b32_e32 v20, vcc_hi, v3
	v_xor_b32_e32 v3, vcc_lo, v3
	v_cmp_gt_i64_e32 vcc, 0, v[35:36]
	v_not_b32_e32 v0, v36
	v_ashrrev_i32_e32 v0, 31, v0
	v_and_b32_e32 v2, v2, v3
	v_xor_b32_e32 v3, vcc_hi, v0
	v_xor_b32_e32 v0, vcc_lo, v0
	; wave barrier
	ds_read_b32 v18, v19 offset:4
	v_and_b32_e32 v1, v1, v20
	v_and_b32_e32 v0, v2, v0
	;; [unrolled: 1-line block ×3, first 2 shown]
	v_mbcnt_lo_u32_b32 v2, v0, 0
	v_mbcnt_hi_u32_b32 v20, v1, v2
	v_cmp_ne_u64_e32 vcc, 0, v[0:1]
	v_cmp_eq_u32_e64 s[14:15], 0, v20
	s_and_b64 s[24:25], vcc, s[14:15]
	; wave barrier
	s_and_saveexec_b64 s[14:15], s[24:25]
	s_cbranch_execz .LBB295_16
; %bb.15:                               ;   in Loop: Header=BB295_4 Depth=2
	v_bcnt_u32_b32 v0, v0, 0
	v_bcnt_u32_b32 v0, v1, v0
	s_waitcnt lgkmcnt(0)
	v_add_u32_e32 v0, v18, v0
	ds_write_b32 v19, v0 offset:4
.LBB295_16:                             ;   in Loop: Header=BB295_4 Depth=2
	s_or_b64 exec, exec, s[14:15]
	v_lshrrev_b64 v[0:1], v51, v[55:56]
	v_and_b32_e32 v1, 0xff, v0
	v_lshl_add_u32 v22, v1, 2, v74
	v_and_b32_e32 v1, 1, v0
	v_add_co_u32_e32 v2, vcc, -1, v1
	v_addc_co_u32_e64 v3, s[14:15], 0, -1, vcc
	v_cmp_ne_u32_e32 vcc, 0, v1
	v_lshlrev_b32_e32 v36, 30, v0
	v_xor_b32_e32 v1, vcc_hi, v3
	v_xor_b32_e32 v2, vcc_lo, v2
	v_cmp_gt_i64_e32 vcc, 0, v[35:36]
	v_not_b32_e32 v3, v36
	v_ashrrev_i32_e32 v3, 31, v3
	v_and_b32_e32 v2, exec_lo, v2
	v_xor_b32_e32 v23, vcc_hi, v3
	v_xor_b32_e32 v3, vcc_lo, v3
	v_lshlrev_b32_e32 v36, 29, v0
	v_and_b32_e32 v2, v2, v3
	v_cmp_gt_i64_e32 vcc, 0, v[35:36]
	v_not_b32_e32 v3, v36
	v_and_b32_e32 v1, exec_hi, v1
	v_ashrrev_i32_e32 v3, 31, v3
	v_and_b32_e32 v1, v1, v23
	v_xor_b32_e32 v23, vcc_hi, v3
	v_xor_b32_e32 v3, vcc_lo, v3
	v_lshlrev_b32_e32 v36, 28, v0
	v_and_b32_e32 v2, v2, v3
	v_cmp_gt_i64_e32 vcc, 0, v[35:36]
	v_not_b32_e32 v3, v36
	v_ashrrev_i32_e32 v3, 31, v3
	v_and_b32_e32 v1, v1, v23
	v_xor_b32_e32 v23, vcc_hi, v3
	v_xor_b32_e32 v3, vcc_lo, v3
	v_lshlrev_b32_e32 v36, 27, v0
	v_and_b32_e32 v2, v2, v3
	v_cmp_gt_i64_e32 vcc, 0, v[35:36]
	v_not_b32_e32 v3, v36
	;; [unrolled: 8-line block ×4, first 2 shown]
	v_ashrrev_i32_e32 v3, 31, v3
	v_lshlrev_b32_e32 v36, 24, v0
	v_and_b32_e32 v1, v1, v23
	v_xor_b32_e32 v23, vcc_hi, v3
	v_xor_b32_e32 v3, vcc_lo, v3
	v_cmp_gt_i64_e32 vcc, 0, v[35:36]
	v_not_b32_e32 v0, v36
	v_ashrrev_i32_e32 v0, 31, v0
	v_and_b32_e32 v2, v2, v3
	v_xor_b32_e32 v3, vcc_hi, v0
	v_xor_b32_e32 v0, vcc_lo, v0
	; wave barrier
	ds_read_b32 v21, v22 offset:4
	v_and_b32_e32 v1, v1, v23
	v_and_b32_e32 v0, v2, v0
	;; [unrolled: 1-line block ×3, first 2 shown]
	v_mbcnt_lo_u32_b32 v2, v0, 0
	v_mbcnt_hi_u32_b32 v23, v1, v2
	v_cmp_ne_u64_e32 vcc, 0, v[0:1]
	v_cmp_eq_u32_e64 s[14:15], 0, v23
	s_and_b64 s[24:25], vcc, s[14:15]
	; wave barrier
	s_and_saveexec_b64 s[14:15], s[24:25]
	s_cbranch_execz .LBB295_18
; %bb.17:                               ;   in Loop: Header=BB295_4 Depth=2
	v_bcnt_u32_b32 v0, v0, 0
	v_bcnt_u32_b32 v0, v1, v0
	s_waitcnt lgkmcnt(0)
	v_add_u32_e32 v0, v21, v0
	ds_write_b32 v22, v0 offset:4
.LBB295_18:                             ;   in Loop: Header=BB295_4 Depth=2
	s_or_b64 exec, exec, s[14:15]
	v_lshrrev_b64 v[0:1], v51, v[53:54]
	v_and_b32_e32 v1, 0xff, v0
	v_lshl_add_u32 v25, v1, 2, v74
	v_and_b32_e32 v1, 1, v0
	v_add_co_u32_e32 v2, vcc, -1, v1
	v_addc_co_u32_e64 v3, s[14:15], 0, -1, vcc
	v_cmp_ne_u32_e32 vcc, 0, v1
	v_lshlrev_b32_e32 v36, 30, v0
	v_xor_b32_e32 v1, vcc_hi, v3
	v_xor_b32_e32 v2, vcc_lo, v2
	v_cmp_gt_i64_e32 vcc, 0, v[35:36]
	v_not_b32_e32 v3, v36
	v_ashrrev_i32_e32 v3, 31, v3
	v_and_b32_e32 v2, exec_lo, v2
	v_xor_b32_e32 v26, vcc_hi, v3
	v_xor_b32_e32 v3, vcc_lo, v3
	v_lshlrev_b32_e32 v36, 29, v0
	v_and_b32_e32 v2, v2, v3
	v_cmp_gt_i64_e32 vcc, 0, v[35:36]
	v_not_b32_e32 v3, v36
	v_and_b32_e32 v1, exec_hi, v1
	v_ashrrev_i32_e32 v3, 31, v3
	v_and_b32_e32 v1, v1, v26
	v_xor_b32_e32 v26, vcc_hi, v3
	v_xor_b32_e32 v3, vcc_lo, v3
	v_lshlrev_b32_e32 v36, 28, v0
	v_and_b32_e32 v2, v2, v3
	v_cmp_gt_i64_e32 vcc, 0, v[35:36]
	v_not_b32_e32 v3, v36
	v_ashrrev_i32_e32 v3, 31, v3
	v_and_b32_e32 v1, v1, v26
	v_xor_b32_e32 v26, vcc_hi, v3
	v_xor_b32_e32 v3, vcc_lo, v3
	v_lshlrev_b32_e32 v36, 27, v0
	v_and_b32_e32 v2, v2, v3
	v_cmp_gt_i64_e32 vcc, 0, v[35:36]
	v_not_b32_e32 v3, v36
	;; [unrolled: 8-line block ×4, first 2 shown]
	v_ashrrev_i32_e32 v3, 31, v3
	v_lshlrev_b32_e32 v36, 24, v0
	v_and_b32_e32 v1, v1, v26
	v_xor_b32_e32 v26, vcc_hi, v3
	v_xor_b32_e32 v3, vcc_lo, v3
	v_cmp_gt_i64_e32 vcc, 0, v[35:36]
	v_not_b32_e32 v0, v36
	v_ashrrev_i32_e32 v0, 31, v0
	v_and_b32_e32 v2, v2, v3
	v_xor_b32_e32 v3, vcc_hi, v0
	v_xor_b32_e32 v0, vcc_lo, v0
	; wave barrier
	ds_read_b32 v24, v25 offset:4
	v_and_b32_e32 v1, v1, v26
	v_and_b32_e32 v0, v2, v0
	;; [unrolled: 1-line block ×3, first 2 shown]
	v_mbcnt_lo_u32_b32 v2, v0, 0
	v_mbcnt_hi_u32_b32 v26, v1, v2
	v_cmp_ne_u64_e32 vcc, 0, v[0:1]
	v_cmp_eq_u32_e64 s[14:15], 0, v26
	s_and_b64 s[24:25], vcc, s[14:15]
	; wave barrier
	s_and_saveexec_b64 s[14:15], s[24:25]
	s_cbranch_execz .LBB295_20
; %bb.19:                               ;   in Loop: Header=BB295_4 Depth=2
	v_bcnt_u32_b32 v0, v0, 0
	v_bcnt_u32_b32 v0, v1, v0
	s_waitcnt lgkmcnt(0)
	v_add_u32_e32 v0, v24, v0
	ds_write_b32 v25, v0 offset:4
.LBB295_20:                             ;   in Loop: Header=BB295_4 Depth=2
	s_or_b64 exec, exec, s[14:15]
	; wave barrier
	s_waitcnt lgkmcnt(0)
	; wave barrier
	ds_read2_b32 v[2:3], v70 offset0:1 offset1:2
	ds_read2_b32 v[0:1], v70 offset0:3 offset1:4
	s_waitcnt lgkmcnt(1)
	v_add_u32_e32 v27, v3, v2
	s_waitcnt lgkmcnt(0)
	v_add3_u32 v1, v27, v0, v1
	s_nop 1
	v_mov_b32_dpp v27, v1 row_shr:1 row_mask:0xf bank_mask:0xf
	v_cndmask_b32_e64 v27, v27, 0, s[4:5]
	v_add_u32_e32 v1, v27, v1
	s_nop 1
	v_mov_b32_dpp v27, v1 row_shr:2 row_mask:0xf bank_mask:0xf
	v_cndmask_b32_e64 v27, 0, v27, s[6:7]
	v_add_u32_e32 v1, v1, v27
	;; [unrolled: 4-line block ×4, first 2 shown]
	s_nop 1
	v_mov_b32_dpp v27, v1 row_bcast:15 row_mask:0xf bank_mask:0xf
	v_cndmask_b32_e64 v27, v27, 0, s[12:13]
	v_add_u32_e32 v1, v1, v27
	s_nop 1
	v_mov_b32_dpp v27, v1 row_bcast:31 row_mask:0xf bank_mask:0xf
	v_cndmask_b32_e64 v27, 0, v27, s[2:3]
	v_add_u32_e32 v1, v1, v27
	s_and_saveexec_b64 s[14:15], s[0:1]
; %bb.21:                               ;   in Loop: Header=BB295_4 Depth=2
	ds_write_b32 v35, v1
; %bb.22:                               ;   in Loop: Header=BB295_4 Depth=2
	s_or_b64 exec, exec, s[14:15]
	ds_bpermute_b32 v1, v73, v1
	s_waitcnt lgkmcnt(0)
	; wave barrier
	v_cmp_lt_u32_e32 vcc, 55, v51
	s_and_b64 vcc, exec, vcc
	v_cndmask_b32_e64 v1, v1, 0, s[16:17]
	v_add_u32_e32 v2, v1, v2
	v_add_u32_e32 v3, v2, v3
	;; [unrolled: 1-line block ×3, first 2 shown]
	ds_write2_b32 v70, v1, v2 offset0:1 offset1:2
	ds_write2_b32 v70, v3, v0 offset0:3 offset1:4
	s_waitcnt lgkmcnt(0)
	; wave barrier
	ds_read_b32 v0, v4 offset:4
	ds_read_b32 v1, v7 offset:4
	;; [unrolled: 1-line block ×8, first 2 shown]
	s_waitcnt lgkmcnt(7)
	v_add_u32_e32 v81, v0, v5
	s_waitcnt lgkmcnt(6)
	v_add3_u32 v80, v8, v6, v1
	s_waitcnt lgkmcnt(5)
	v_add3_u32 v79, v11, v9, v2
	;; [unrolled: 2-line block ×7, first 2 shown]
	s_mov_b64 s[14:15], -1
                                        ; implicit-def: $vgpr14_vgpr15
                                        ; implicit-def: $vgpr10_vgpr11
                                        ; implicit-def: $vgpr6_vgpr7
                                        ; implicit-def: $vgpr2_vgpr3
                                        ; implicit-def: $vgpr30_vgpr31
                                        ; implicit-def: $vgpr26_vgpr27
                                        ; implicit-def: $vgpr22_vgpr23
                                        ; implicit-def: $vgpr18_vgpr19
	s_cbranch_vccnz .LBB295_3
; %bb.23:                               ;   in Loop: Header=BB295_4 Depth=2
	v_lshlrev_b32_e32 v16, 3, v81
	v_lshlrev_b32_e32 v17, 3, v80
	;; [unrolled: 1-line block ×8, first 2 shown]
	; wave barrier
	ds_write_b64 v16, v[67:68]
	ds_write_b64 v17, v[65:66]
	;; [unrolled: 1-line block ×8, first 2 shown]
	s_waitcnt lgkmcnt(0)
	; wave barrier
	ds_read2st64_b64 v[0:3], v72 offset1:1
	ds_read2st64_b64 v[4:7], v72 offset0:2 offset1:3
	ds_read2st64_b64 v[8:11], v72 offset0:4 offset1:5
	;; [unrolled: 1-line block ×3, first 2 shown]
	s_waitcnt lgkmcnt(0)
	; wave barrier
	ds_write_b64 v16, v[49:50]
	ds_write_b64 v17, v[47:48]
	;; [unrolled: 1-line block ×8, first 2 shown]
	s_waitcnt lgkmcnt(0)
	; wave barrier
	ds_read2st64_b64 v[16:19], v72 offset1:1
	ds_read2st64_b64 v[20:23], v72 offset0:2 offset1:3
	ds_read2st64_b64 v[24:27], v72 offset0:4 offset1:5
	;; [unrolled: 1-line block ×3, first 2 shown]
	v_add_co_u32_e32 v51, vcc, 8, v51
	v_addc_co_u32_e32 v52, vcc, 0, v52, vcc
	s_mov_b64 s[14:15], 0
	s_waitcnt lgkmcnt(0)
	; wave barrier
	s_branch .LBB295_3
.LBB295_24:
	s_waitcnt lgkmcnt(3)
	v_add_co_u32_e32 v0, vcc, v15, v31
	v_addc_co_u32_e32 v1, vcc, v16, v32, vcc
	v_add_co_u32_e32 v15, vcc, v17, v33
	v_addc_co_u32_e32 v16, vcc, v18, v34, vcc
	s_waitcnt lgkmcnt(2)
	v_add_co_u32_e32 v11, vcc, v11, v27
	v_addc_co_u32_e32 v12, vcc, v12, v28, vcc
	v_add_co_u32_e32 v13, vcc, v13, v29
	v_addc_co_u32_e32 v14, vcc, v14, v30, vcc
	;; [unrolled: 5-line block ×3, first 2 shown]
	s_waitcnt lgkmcnt(0)
	v_add_co_u32_e32 v2, vcc, v3, v19
	v_addc_co_u32_e32 v3, vcc, v4, v20, vcc
	s_add_u32 s0, s18, s20
	v_add_co_u32_e32 v4, vcc, v5, v21
	s_addc_u32 s1, s19, s21
	v_addc_co_u32_e32 v5, vcc, v6, v22, vcc
	global_store_dwordx2 v69, v[0:1], s[0:1]
	global_store_dwordx2 v69, v[15:16], s[0:1] offset:512
	global_store_dwordx2 v69, v[11:12], s[0:1] offset:1024
	;; [unrolled: 1-line block ×7, first 2 shown]
	s_endpgm
	.section	.rodata,"a",@progbits
	.p2align	6, 0x0
	.amdhsa_kernel _Z17sort_pairs_kernelI22helper_blocked_stripedxLj64ELj8ELj10EEvPKT0_PS1_
		.amdhsa_group_segment_fixed_size 4096
		.amdhsa_private_segment_fixed_size 0
		.amdhsa_kernarg_size 272
		.amdhsa_user_sgpr_count 6
		.amdhsa_user_sgpr_private_segment_buffer 1
		.amdhsa_user_sgpr_dispatch_ptr 0
		.amdhsa_user_sgpr_queue_ptr 0
		.amdhsa_user_sgpr_kernarg_segment_ptr 1
		.amdhsa_user_sgpr_dispatch_id 0
		.amdhsa_user_sgpr_flat_scratch_init 0
		.amdhsa_user_sgpr_private_segment_size 0
		.amdhsa_uses_dynamic_stack 0
		.amdhsa_system_sgpr_private_segment_wavefront_offset 0
		.amdhsa_system_sgpr_workgroup_id_x 1
		.amdhsa_system_sgpr_workgroup_id_y 0
		.amdhsa_system_sgpr_workgroup_id_z 0
		.amdhsa_system_sgpr_workgroup_info 0
		.amdhsa_system_vgpr_workitem_id 2
		.amdhsa_next_free_vgpr 82
		.amdhsa_next_free_sgpr 98
		.amdhsa_reserve_vcc 1
		.amdhsa_reserve_flat_scratch 0
		.amdhsa_float_round_mode_32 0
		.amdhsa_float_round_mode_16_64 0
		.amdhsa_float_denorm_mode_32 3
		.amdhsa_float_denorm_mode_16_64 3
		.amdhsa_dx10_clamp 1
		.amdhsa_ieee_mode 1
		.amdhsa_fp16_overflow 0
		.amdhsa_exception_fp_ieee_invalid_op 0
		.amdhsa_exception_fp_denorm_src 0
		.amdhsa_exception_fp_ieee_div_zero 0
		.amdhsa_exception_fp_ieee_overflow 0
		.amdhsa_exception_fp_ieee_underflow 0
		.amdhsa_exception_fp_ieee_inexact 0
		.amdhsa_exception_int_div_zero 0
	.end_amdhsa_kernel
	.section	.text._Z17sort_pairs_kernelI22helper_blocked_stripedxLj64ELj8ELj10EEvPKT0_PS1_,"axG",@progbits,_Z17sort_pairs_kernelI22helper_blocked_stripedxLj64ELj8ELj10EEvPKT0_PS1_,comdat
.Lfunc_end295:
	.size	_Z17sort_pairs_kernelI22helper_blocked_stripedxLj64ELj8ELj10EEvPKT0_PS1_, .Lfunc_end295-_Z17sort_pairs_kernelI22helper_blocked_stripedxLj64ELj8ELj10EEvPKT0_PS1_
                                        ; -- End function
	.set _Z17sort_pairs_kernelI22helper_blocked_stripedxLj64ELj8ELj10EEvPKT0_PS1_.num_vgpr, 82
	.set _Z17sort_pairs_kernelI22helper_blocked_stripedxLj64ELj8ELj10EEvPKT0_PS1_.num_agpr, 0
	.set _Z17sort_pairs_kernelI22helper_blocked_stripedxLj64ELj8ELj10EEvPKT0_PS1_.numbered_sgpr, 26
	.set _Z17sort_pairs_kernelI22helper_blocked_stripedxLj64ELj8ELj10EEvPKT0_PS1_.num_named_barrier, 0
	.set _Z17sort_pairs_kernelI22helper_blocked_stripedxLj64ELj8ELj10EEvPKT0_PS1_.private_seg_size, 0
	.set _Z17sort_pairs_kernelI22helper_blocked_stripedxLj64ELj8ELj10EEvPKT0_PS1_.uses_vcc, 1
	.set _Z17sort_pairs_kernelI22helper_blocked_stripedxLj64ELj8ELj10EEvPKT0_PS1_.uses_flat_scratch, 0
	.set _Z17sort_pairs_kernelI22helper_blocked_stripedxLj64ELj8ELj10EEvPKT0_PS1_.has_dyn_sized_stack, 0
	.set _Z17sort_pairs_kernelI22helper_blocked_stripedxLj64ELj8ELj10EEvPKT0_PS1_.has_recursion, 0
	.set _Z17sort_pairs_kernelI22helper_blocked_stripedxLj64ELj8ELj10EEvPKT0_PS1_.has_indirect_call, 0
	.section	.AMDGPU.csdata,"",@progbits
; Kernel info:
; codeLenInByte = 4800
; TotalNumSgprs: 30
; NumVgprs: 82
; ScratchSize: 0
; MemoryBound: 0
; FloatMode: 240
; IeeeMode: 1
; LDSByteSize: 4096 bytes/workgroup (compile time only)
; SGPRBlocks: 12
; VGPRBlocks: 20
; NumSGPRsForWavesPerEU: 102
; NumVGPRsForWavesPerEU: 82
; Occupancy: 3
; WaveLimiterHint : 1
; COMPUTE_PGM_RSRC2:SCRATCH_EN: 0
; COMPUTE_PGM_RSRC2:USER_SGPR: 6
; COMPUTE_PGM_RSRC2:TRAP_HANDLER: 0
; COMPUTE_PGM_RSRC2:TGID_X_EN: 1
; COMPUTE_PGM_RSRC2:TGID_Y_EN: 0
; COMPUTE_PGM_RSRC2:TGID_Z_EN: 0
; COMPUTE_PGM_RSRC2:TIDIG_COMP_CNT: 2
	.section	.text._Z16sort_keys_kernelI22helper_blocked_stripedxLj128ELj1ELj10EEvPKT0_PS1_,"axG",@progbits,_Z16sort_keys_kernelI22helper_blocked_stripedxLj128ELj1ELj10EEvPKT0_PS1_,comdat
	.protected	_Z16sort_keys_kernelI22helper_blocked_stripedxLj128ELj1ELj10EEvPKT0_PS1_ ; -- Begin function _Z16sort_keys_kernelI22helper_blocked_stripedxLj128ELj1ELj10EEvPKT0_PS1_
	.globl	_Z16sort_keys_kernelI22helper_blocked_stripedxLj128ELj1ELj10EEvPKT0_PS1_
	.p2align	8
	.type	_Z16sort_keys_kernelI22helper_blocked_stripedxLj128ELj1ELj10EEvPKT0_PS1_,@function
_Z16sort_keys_kernelI22helper_blocked_stripedxLj128ELj1ELj10EEvPKT0_PS1_: ; @_Z16sort_keys_kernelI22helper_blocked_stripedxLj128ELj1ELj10EEvPKT0_PS1_
; %bb.0:
	s_load_dwordx4 s[24:27], s[4:5], 0x0
	s_load_dword s33, s[4:5], 0x1c
	s_lshl_b32 s30, s6, 7
	s_mov_b32 s31, 0
	s_lshl_b64 s[28:29], s[30:31], 3
	s_waitcnt lgkmcnt(0)
	s_add_u32 s0, s24, s28
	s_addc_u32 s1, s25, s29
	v_lshlrev_b32_e32 v3, 3, v0
	global_load_dwordx2 v[3:4], v3, s[0:1]
	v_mbcnt_lo_u32_b32 v6, -1, 0
	v_mbcnt_hi_u32_b32 v6, -1, v6
	s_lshr_b32 s24, s33, 16
	v_and_b32_e32 v7, 64, v0
	v_lshrrev_b32_e32 v8, 4, v0
	s_mov_b32 s10, s31
	v_subrev_co_u32_e64 v13, s[8:9], 1, v6
	v_and_b32_e32 v14, 64, v6
	s_and_b32 s25, s33, 0xffff
	v_mad_u32_u24 v1, v2, s24, v1
	v_lshlrev_b32_e32 v15, 4, v0
	s_mov_b32 s11, s31
	v_and_b32_e32 v9, 15, v6
	v_and_b32_e32 v10, 16, v6
	v_or_b32_e32 v12, 63, v7
	v_and_b32_e32 v16, 4, v8
	v_lshlrev_b32_e32 v19, 3, v7
	s_mov_b32 s30, s31
	v_mov_b32_e32 v7, s10
	v_cmp_lt_i32_e32 vcc, v13, v14
	v_mad_u32_u24 v1, v1, s25, v0
	v_lshlrev_b32_e32 v11, 2, v0
	v_mad_i32_i24 v17, v0, -12, v15
	v_and_b32_e32 v18, 1, v6
	v_mov_b32_e32 v8, s11
	v_cmp_eq_u32_e64 s[10:11], 0, v9
	v_cmp_lt_u32_e64 s[12:13], 1, v9
	v_cmp_lt_u32_e64 s[14:15], 3, v9
	;; [unrolled: 1-line block ×3, first 2 shown]
	v_cmp_eq_u32_e64 s[18:19], 0, v10
	v_cmp_eq_u32_e64 s[20:21], v0, v12
	v_cndmask_b32_e32 v12, v13, v6, vcc
	v_mov_b32_e32 v9, s30
	v_lshrrev_b32_e32 v1, 4, v1
	v_mov_b32_e32 v5, 0
	v_cmp_gt_u32_e64 s[0:1], 2, v0
	v_cmp_lt_u32_e64 s[2:3], 63, v0
	v_cmp_eq_u32_e64 s[4:5], 0, v0
	v_cmp_lt_u32_e64 s[6:7], 31, v6
	v_cmp_eq_u32_e64 s[22:23], 0, v18
	v_add_u32_e32 v18, -4, v16
	v_lshl_add_u32 v19, v6, 3, v19
	v_mov_b32_e32 v10, s31
	v_lshlrev_b32_e32 v20, 2, v12
	v_and_b32_e32 v21, 0xffffffc, v1
	v_add_u32_e32 v22, v17, v11
	s_waitcnt vmcnt(0)
	v_xor_b32_e32 v4, 0x80000000, v4
	s_branch .LBB296_2
.LBB296_1:                              ;   in Loop: Header=BB296_2 Depth=1
	v_lshlrev_b32_e32 v1, 3, v1
	s_barrier
	ds_write_b64 v1, v[13:14]
	s_waitcnt lgkmcnt(0)
	s_barrier
	ds_read_b64 v[3:4], v22
	s_add_i32 s31, s31, 1
	s_cmp_eq_u32 s31, 10
	s_cbranch_scc1 .LBB296_14
.LBB296_2:                              ; =>This Loop Header: Depth=1
                                        ;     Child Loop BB296_4 Depth 2
	v_mov_b32_e32 v11, 0
	v_mov_b32_e32 v12, 0
	s_branch .LBB296_4
.LBB296_3:                              ;   in Loop: Header=BB296_4 Depth=2
	s_andn2_b64 vcc, exec, s[24:25]
	s_cbranch_vccz .LBB296_1
.LBB296_4:                              ;   Parent Loop BB296_2 Depth=1
                                        ; =>  This Inner Loop Header: Depth=2
	s_waitcnt lgkmcnt(0)
	v_mov_b32_e32 v14, v4
	v_mov_b32_e32 v13, v3
	v_lshrrev_b64 v[1:2], v11, v[13:14]
	ds_write2_b64 v15, v[9:10], v[7:8] offset0:1 offset1:2
	v_lshlrev_b32_e32 v2, 3, v1
	v_and_b32_e32 v2, 0x7f8, v2
	v_add_u32_e32 v23, v21, v2
	v_and_b32_e32 v2, 1, v1
	v_add_co_u32_e32 v3, vcc, -1, v2
	v_addc_co_u32_e64 v4, s[24:25], 0, -1, vcc
	v_cmp_ne_u32_e32 vcc, 0, v2
	v_lshlrev_b32_e32 v6, 30, v1
	v_xor_b32_e32 v2, vcc_hi, v4
	v_xor_b32_e32 v3, vcc_lo, v3
	v_cmp_gt_i64_e32 vcc, 0, v[5:6]
	v_not_b32_e32 v4, v6
	v_ashrrev_i32_e32 v4, 31, v4
	v_and_b32_e32 v2, exec_hi, v2
	v_xor_b32_e32 v6, vcc_hi, v4
	v_and_b32_e32 v3, exec_lo, v3
	v_xor_b32_e32 v4, vcc_lo, v4
	v_and_b32_e32 v2, v2, v6
	v_lshlrev_b32_e32 v6, 29, v1
	v_and_b32_e32 v3, v3, v4
	v_cmp_gt_i64_e32 vcc, 0, v[5:6]
	v_not_b32_e32 v4, v6
	v_ashrrev_i32_e32 v4, 31, v4
	v_xor_b32_e32 v6, vcc_hi, v4
	v_xor_b32_e32 v4, vcc_lo, v4
	v_and_b32_e32 v2, v2, v6
	v_lshlrev_b32_e32 v6, 28, v1
	v_and_b32_e32 v3, v3, v4
	v_cmp_gt_i64_e32 vcc, 0, v[5:6]
	v_not_b32_e32 v4, v6
	v_ashrrev_i32_e32 v4, 31, v4
	v_xor_b32_e32 v6, vcc_hi, v4
	;; [unrolled: 8-line block ×5, first 2 shown]
	v_and_b32_e32 v2, v2, v6
	v_lshlrev_b32_e32 v6, 24, v1
	v_xor_b32_e32 v4, vcc_lo, v4
	v_cmp_gt_i64_e32 vcc, 0, v[5:6]
	v_not_b32_e32 v1, v6
	v_ashrrev_i32_e32 v1, 31, v1
	v_and_b32_e32 v3, v3, v4
	v_xor_b32_e32 v4, vcc_hi, v1
	v_xor_b32_e32 v1, vcc_lo, v1
	v_and_b32_e32 v1, v3, v1
	v_and_b32_e32 v2, v2, v4
	v_mbcnt_lo_u32_b32 v3, v1, 0
	v_mbcnt_hi_u32_b32 v6, v2, v3
	v_cmp_ne_u64_e32 vcc, 0, v[1:2]
	v_cmp_eq_u32_e64 s[24:25], 0, v6
	s_and_b64 s[34:35], vcc, s[24:25]
	s_waitcnt lgkmcnt(0)
	s_barrier
	; wave barrier
	s_and_saveexec_b64 s[24:25], s[34:35]
; %bb.5:                                ;   in Loop: Header=BB296_4 Depth=2
	v_bcnt_u32_b32 v1, v1, 0
	v_bcnt_u32_b32 v1, v2, v1
	ds_write_b32 v23, v1 offset:8
; %bb.6:                                ;   in Loop: Header=BB296_4 Depth=2
	s_or_b64 exec, exec, s[24:25]
	; wave barrier
	s_waitcnt lgkmcnt(0)
	s_barrier
	ds_read2_b64 v[1:4], v15 offset0:1 offset1:2
	s_waitcnt lgkmcnt(0)
	v_add_u32_e32 v24, v2, v1
	v_add3_u32 v4, v24, v3, v4
	s_nop 1
	v_mov_b32_dpp v24, v4 row_shr:1 row_mask:0xf bank_mask:0xf
	v_cndmask_b32_e64 v24, v24, 0, s[10:11]
	v_add_u32_e32 v4, v24, v4
	s_nop 1
	v_mov_b32_dpp v24, v4 row_shr:2 row_mask:0xf bank_mask:0xf
	v_cndmask_b32_e64 v24, 0, v24, s[12:13]
	v_add_u32_e32 v4, v4, v24
	;; [unrolled: 4-line block ×4, first 2 shown]
	s_nop 1
	v_mov_b32_dpp v24, v4 row_bcast:15 row_mask:0xf bank_mask:0xf
	v_cndmask_b32_e64 v24, v24, 0, s[18:19]
	v_add_u32_e32 v4, v4, v24
	s_nop 1
	v_mov_b32_dpp v24, v4 row_bcast:31 row_mask:0xf bank_mask:0xf
	v_cndmask_b32_e64 v24, 0, v24, s[6:7]
	v_add_u32_e32 v4, v4, v24
	s_and_saveexec_b64 s[24:25], s[20:21]
; %bb.7:                                ;   in Loop: Header=BB296_4 Depth=2
	ds_write_b32 v16, v4
; %bb.8:                                ;   in Loop: Header=BB296_4 Depth=2
	s_or_b64 exec, exec, s[24:25]
	s_waitcnt lgkmcnt(0)
	s_barrier
	s_and_saveexec_b64 s[24:25], s[0:1]
	s_cbranch_execz .LBB296_10
; %bb.9:                                ;   in Loop: Header=BB296_4 Depth=2
	ds_read_b32 v24, v17
	s_waitcnt lgkmcnt(0)
	s_nop 0
	v_mov_b32_dpp v25, v24 row_shr:1 row_mask:0xf bank_mask:0xf
	v_cndmask_b32_e64 v25, v25, 0, s[22:23]
	v_add_u32_e32 v24, v25, v24
	ds_write_b32 v17, v24
.LBB296_10:                             ;   in Loop: Header=BB296_4 Depth=2
	s_or_b64 exec, exec, s[24:25]
	v_mov_b32_e32 v24, 0
	s_waitcnt lgkmcnt(0)
	s_barrier
	s_and_saveexec_b64 s[24:25], s[2:3]
; %bb.11:                               ;   in Loop: Header=BB296_4 Depth=2
	ds_read_b32 v24, v18
; %bb.12:                               ;   in Loop: Header=BB296_4 Depth=2
	s_or_b64 exec, exec, s[24:25]
	s_waitcnt lgkmcnt(0)
	v_add_u32_e32 v4, v24, v4
	ds_bpermute_b32 v4, v20, v4
	v_cmp_lt_u32_e32 vcc, 55, v11
	s_and_b64 vcc, exec, vcc
	s_mov_b64 s[24:25], -1
	s_waitcnt lgkmcnt(0)
	v_cndmask_b32_e64 v4, v4, v24, s[8:9]
	v_cndmask_b32_e64 v24, v4, 0, s[4:5]
	v_add_u32_e32 v25, v24, v1
	v_add_u32_e32 v1, v25, v2
	v_add_u32_e32 v2, v1, v3
	ds_write2_b64 v15, v[24:25], v[1:2] offset0:1 offset1:2
	s_waitcnt lgkmcnt(0)
	s_barrier
	ds_read_b32 v1, v23 offset:8
                                        ; implicit-def: $vgpr3_vgpr4
	s_waitcnt lgkmcnt(0)
	v_add_u32_e32 v1, v1, v6
	s_cbranch_vccnz .LBB296_3
; %bb.13:                               ;   in Loop: Header=BB296_4 Depth=2
	v_lshlrev_b32_e32 v2, 3, v1
	s_barrier
	ds_write_b64 v2, v[13:14]
	s_waitcnt lgkmcnt(0)
	s_barrier
	ds_read_b64 v[3:4], v19
	v_add_co_u32_e32 v11, vcc, 8, v11
	v_addc_co_u32_e32 v12, vcc, 0, v12, vcc
	s_mov_b64 s[24:25], 0
	s_waitcnt lgkmcnt(0)
	s_barrier
	s_branch .LBB296_3
.LBB296_14:
	s_add_u32 s0, s26, s28
	s_waitcnt lgkmcnt(0)
	v_xor_b32_e32 v4, 0x80000000, v4
	s_addc_u32 s1, s27, s29
	v_lshlrev_b32_e32 v0, 3, v0
	global_store_dwordx2 v0, v[3:4], s[0:1]
	s_endpgm
	.section	.rodata,"a",@progbits
	.p2align	6, 0x0
	.amdhsa_kernel _Z16sort_keys_kernelI22helper_blocked_stripedxLj128ELj1ELj10EEvPKT0_PS1_
		.amdhsa_group_segment_fixed_size 2064
		.amdhsa_private_segment_fixed_size 0
		.amdhsa_kernarg_size 272
		.amdhsa_user_sgpr_count 6
		.amdhsa_user_sgpr_private_segment_buffer 1
		.amdhsa_user_sgpr_dispatch_ptr 0
		.amdhsa_user_sgpr_queue_ptr 0
		.amdhsa_user_sgpr_kernarg_segment_ptr 1
		.amdhsa_user_sgpr_dispatch_id 0
		.amdhsa_user_sgpr_flat_scratch_init 0
		.amdhsa_user_sgpr_private_segment_size 0
		.amdhsa_uses_dynamic_stack 0
		.amdhsa_system_sgpr_private_segment_wavefront_offset 0
		.amdhsa_system_sgpr_workgroup_id_x 1
		.amdhsa_system_sgpr_workgroup_id_y 0
		.amdhsa_system_sgpr_workgroup_id_z 0
		.amdhsa_system_sgpr_workgroup_info 0
		.amdhsa_system_vgpr_workitem_id 2
		.amdhsa_next_free_vgpr 29
		.amdhsa_next_free_sgpr 61
		.amdhsa_reserve_vcc 1
		.amdhsa_reserve_flat_scratch 0
		.amdhsa_float_round_mode_32 0
		.amdhsa_float_round_mode_16_64 0
		.amdhsa_float_denorm_mode_32 3
		.amdhsa_float_denorm_mode_16_64 3
		.amdhsa_dx10_clamp 1
		.amdhsa_ieee_mode 1
		.amdhsa_fp16_overflow 0
		.amdhsa_exception_fp_ieee_invalid_op 0
		.amdhsa_exception_fp_denorm_src 0
		.amdhsa_exception_fp_ieee_div_zero 0
		.amdhsa_exception_fp_ieee_overflow 0
		.amdhsa_exception_fp_ieee_underflow 0
		.amdhsa_exception_fp_ieee_inexact 0
		.amdhsa_exception_int_div_zero 0
	.end_amdhsa_kernel
	.section	.text._Z16sort_keys_kernelI22helper_blocked_stripedxLj128ELj1ELj10EEvPKT0_PS1_,"axG",@progbits,_Z16sort_keys_kernelI22helper_blocked_stripedxLj128ELj1ELj10EEvPKT0_PS1_,comdat
.Lfunc_end296:
	.size	_Z16sort_keys_kernelI22helper_blocked_stripedxLj128ELj1ELj10EEvPKT0_PS1_, .Lfunc_end296-_Z16sort_keys_kernelI22helper_blocked_stripedxLj128ELj1ELj10EEvPKT0_PS1_
                                        ; -- End function
	.set _Z16sort_keys_kernelI22helper_blocked_stripedxLj128ELj1ELj10EEvPKT0_PS1_.num_vgpr, 26
	.set _Z16sort_keys_kernelI22helper_blocked_stripedxLj128ELj1ELj10EEvPKT0_PS1_.num_agpr, 0
	.set _Z16sort_keys_kernelI22helper_blocked_stripedxLj128ELj1ELj10EEvPKT0_PS1_.numbered_sgpr, 36
	.set _Z16sort_keys_kernelI22helper_blocked_stripedxLj128ELj1ELj10EEvPKT0_PS1_.num_named_barrier, 0
	.set _Z16sort_keys_kernelI22helper_blocked_stripedxLj128ELj1ELj10EEvPKT0_PS1_.private_seg_size, 0
	.set _Z16sort_keys_kernelI22helper_blocked_stripedxLj128ELj1ELj10EEvPKT0_PS1_.uses_vcc, 1
	.set _Z16sort_keys_kernelI22helper_blocked_stripedxLj128ELj1ELj10EEvPKT0_PS1_.uses_flat_scratch, 0
	.set _Z16sort_keys_kernelI22helper_blocked_stripedxLj128ELj1ELj10EEvPKT0_PS1_.has_dyn_sized_stack, 0
	.set _Z16sort_keys_kernelI22helper_blocked_stripedxLj128ELj1ELj10EEvPKT0_PS1_.has_recursion, 0
	.set _Z16sort_keys_kernelI22helper_blocked_stripedxLj128ELj1ELj10EEvPKT0_PS1_.has_indirect_call, 0
	.section	.AMDGPU.csdata,"",@progbits
; Kernel info:
; codeLenInByte = 1244
; TotalNumSgprs: 40
; NumVgprs: 26
; ScratchSize: 0
; MemoryBound: 0
; FloatMode: 240
; IeeeMode: 1
; LDSByteSize: 2064 bytes/workgroup (compile time only)
; SGPRBlocks: 8
; VGPRBlocks: 7
; NumSGPRsForWavesPerEU: 65
; NumVGPRsForWavesPerEU: 29
; Occupancy: 8
; WaveLimiterHint : 0
; COMPUTE_PGM_RSRC2:SCRATCH_EN: 0
; COMPUTE_PGM_RSRC2:USER_SGPR: 6
; COMPUTE_PGM_RSRC2:TRAP_HANDLER: 0
; COMPUTE_PGM_RSRC2:TGID_X_EN: 1
; COMPUTE_PGM_RSRC2:TGID_Y_EN: 0
; COMPUTE_PGM_RSRC2:TGID_Z_EN: 0
; COMPUTE_PGM_RSRC2:TIDIG_COMP_CNT: 2
	.section	.text._Z17sort_pairs_kernelI22helper_blocked_stripedxLj128ELj1ELj10EEvPKT0_PS1_,"axG",@progbits,_Z17sort_pairs_kernelI22helper_blocked_stripedxLj128ELj1ELj10EEvPKT0_PS1_,comdat
	.protected	_Z17sort_pairs_kernelI22helper_blocked_stripedxLj128ELj1ELj10EEvPKT0_PS1_ ; -- Begin function _Z17sort_pairs_kernelI22helper_blocked_stripedxLj128ELj1ELj10EEvPKT0_PS1_
	.globl	_Z17sort_pairs_kernelI22helper_blocked_stripedxLj128ELj1ELj10EEvPKT0_PS1_
	.p2align	8
	.type	_Z17sort_pairs_kernelI22helper_blocked_stripedxLj128ELj1ELj10EEvPKT0_PS1_,@function
_Z17sort_pairs_kernelI22helper_blocked_stripedxLj128ELj1ELj10EEvPKT0_PS1_: ; @_Z17sort_pairs_kernelI22helper_blocked_stripedxLj128ELj1ELj10EEvPKT0_PS1_
; %bb.0:
	s_load_dwordx4 s[24:27], s[4:5], 0x0
	s_load_dword s33, s[4:5], 0x1c
	s_lshl_b32 s30, s6, 7
	s_mov_b32 s31, 0
	s_lshl_b64 s[28:29], s[30:31], 3
	s_waitcnt lgkmcnt(0)
	s_add_u32 s0, s24, s28
	s_addc_u32 s1, s25, s29
	v_lshlrev_b32_e32 v3, 3, v0
	global_load_dwordx2 v[3:4], v3, s[0:1]
	v_mbcnt_lo_u32_b32 v6, -1, 0
	s_lshr_b32 s24, s33, 16
	v_mbcnt_hi_u32_b32 v6, -1, v6
	s_and_b32 s25, s33, 0xffff
	v_mad_u32_u24 v1, v2, s24, v1
	v_and_b32_e32 v7, 64, v0
	v_lshrrev_b32_e32 v8, 4, v0
	s_mov_b32 s10, s31
	v_subrev_co_u32_e64 v13, s[8:9], 1, v6
	v_and_b32_e32 v14, 64, v6
	v_mad_u32_u24 v1, v1, s25, v0
	v_lshlrev_b32_e32 v17, 4, v0
	s_mov_b32 s11, s31
	v_and_b32_e32 v9, 15, v6
	v_and_b32_e32 v10, 16, v6
	v_or_b32_e32 v12, 63, v7
	v_and_b32_e32 v18, 4, v8
	v_lshlrev_b32_e32 v16, 3, v7
	s_mov_b32 s30, s31
	v_mov_b32_e32 v7, s10
	v_cmp_lt_i32_e32 vcc, v13, v14
	v_lshrrev_b32_e32 v1, 4, v1
	v_lshlrev_b32_e32 v11, 2, v0
	v_mad_i32_i24 v19, v0, -12, v17
	v_and_b32_e32 v15, 1, v6
	v_mov_b32_e32 v8, s11
	v_cmp_eq_u32_e64 s[10:11], 0, v9
	v_cmp_lt_u32_e64 s[12:13], 1, v9
	v_cmp_lt_u32_e64 s[14:15], 3, v9
	;; [unrolled: 1-line block ×3, first 2 shown]
	v_cmp_eq_u32_e64 s[18:19], 0, v10
	v_cmp_eq_u32_e64 s[20:21], v0, v12
	v_cndmask_b32_e32 v12, v13, v6, vcc
	v_mov_b32_e32 v9, s30
	v_and_b32_e32 v23, 0xffffffc, v1
	v_mov_b32_e32 v5, 0
	v_cmp_gt_u32_e64 s[0:1], 2, v0
	v_cmp_lt_u32_e64 s[2:3], 63, v0
	v_cmp_eq_u32_e64 s[4:5], 0, v0
	v_cmp_lt_u32_e64 s[6:7], 31, v6
	v_cmp_eq_u32_e64 s[22:23], 0, v15
	v_add_u32_e32 v20, -4, v18
	v_lshl_add_u32 v21, v6, 3, v16
	v_mov_b32_e32 v10, s31
	v_lshlrev_b32_e32 v22, 2, v12
	v_add_u32_e32 v24, v19, v11
	s_waitcnt vmcnt(0)
	v_add_co_u32_e32 v1, vcc, 1, v3
	v_addc_co_u32_e32 v2, vcc, 0, v4, vcc
	v_xor_b32_e32 v4, 0x80000000, v4
	s_branch .LBB297_2
.LBB297_1:                              ;   in Loop: Header=BB297_2 Depth=1
	v_lshlrev_b32_e32 v1, 3, v6
	s_barrier
	ds_write_b64 v1, v[15:16]
	s_waitcnt lgkmcnt(0)
	s_barrier
	ds_read_b64 v[3:4], v24
	s_waitcnt lgkmcnt(0)
	s_barrier
	ds_write_b64 v1, v[11:12]
	s_waitcnt lgkmcnt(0)
	s_barrier
	ds_read_b64 v[1:2], v24
	s_add_i32 s31, s31, 1
	s_cmp_eq_u32 s31, 10
	s_cbranch_scc1 .LBB297_14
.LBB297_2:                              ; =>This Loop Header: Depth=1
                                        ;     Child Loop BB297_4 Depth 2
	v_mov_b32_e32 v13, 0
	v_mov_b32_e32 v14, 0
	s_branch .LBB297_4
.LBB297_3:                              ;   in Loop: Header=BB297_4 Depth=2
	s_andn2_b64 vcc, exec, s[24:25]
	s_cbranch_vccz .LBB297_1
.LBB297_4:                              ;   Parent Loop BB297_2 Depth=1
                                        ; =>  This Inner Loop Header: Depth=2
	v_mov_b32_e32 v16, v4
	s_waitcnt lgkmcnt(0)
	v_mov_b32_e32 v12, v2
	v_mov_b32_e32 v15, v3
	;; [unrolled: 1-line block ×3, first 2 shown]
	v_lshrrev_b64 v[1:2], v13, v[15:16]
	ds_write2_b64 v17, v[9:10], v[7:8] offset0:1 offset1:2
	v_lshlrev_b32_e32 v2, 3, v1
	v_and_b32_e32 v2, 0x7f8, v2
	v_add_u32_e32 v25, v23, v2
	v_and_b32_e32 v2, 1, v1
	v_add_co_u32_e32 v3, vcc, -1, v2
	v_addc_co_u32_e64 v4, s[24:25], 0, -1, vcc
	v_cmp_ne_u32_e32 vcc, 0, v2
	v_lshlrev_b32_e32 v6, 30, v1
	v_xor_b32_e32 v2, vcc_hi, v4
	v_xor_b32_e32 v3, vcc_lo, v3
	v_cmp_gt_i64_e32 vcc, 0, v[5:6]
	v_not_b32_e32 v4, v6
	v_ashrrev_i32_e32 v4, 31, v4
	v_and_b32_e32 v2, exec_hi, v2
	v_xor_b32_e32 v6, vcc_hi, v4
	v_and_b32_e32 v3, exec_lo, v3
	v_xor_b32_e32 v4, vcc_lo, v4
	v_and_b32_e32 v2, v2, v6
	v_lshlrev_b32_e32 v6, 29, v1
	v_and_b32_e32 v3, v3, v4
	v_cmp_gt_i64_e32 vcc, 0, v[5:6]
	v_not_b32_e32 v4, v6
	v_ashrrev_i32_e32 v4, 31, v4
	v_xor_b32_e32 v6, vcc_hi, v4
	v_xor_b32_e32 v4, vcc_lo, v4
	v_and_b32_e32 v2, v2, v6
	v_lshlrev_b32_e32 v6, 28, v1
	v_and_b32_e32 v3, v3, v4
	v_cmp_gt_i64_e32 vcc, 0, v[5:6]
	v_not_b32_e32 v4, v6
	v_ashrrev_i32_e32 v4, 31, v4
	v_xor_b32_e32 v6, vcc_hi, v4
	;; [unrolled: 8-line block ×5, first 2 shown]
	v_and_b32_e32 v2, v2, v6
	v_lshlrev_b32_e32 v6, 24, v1
	v_xor_b32_e32 v4, vcc_lo, v4
	v_cmp_gt_i64_e32 vcc, 0, v[5:6]
	v_not_b32_e32 v1, v6
	v_ashrrev_i32_e32 v1, 31, v1
	v_and_b32_e32 v3, v3, v4
	v_xor_b32_e32 v4, vcc_hi, v1
	v_xor_b32_e32 v1, vcc_lo, v1
	v_and_b32_e32 v1, v3, v1
	v_and_b32_e32 v2, v2, v4
	v_mbcnt_lo_u32_b32 v3, v1, 0
	v_mbcnt_hi_u32_b32 v6, v2, v3
	v_cmp_ne_u64_e32 vcc, 0, v[1:2]
	v_cmp_eq_u32_e64 s[24:25], 0, v6
	s_and_b64 s[34:35], vcc, s[24:25]
	s_waitcnt lgkmcnt(0)
	s_barrier
	; wave barrier
	s_and_saveexec_b64 s[24:25], s[34:35]
; %bb.5:                                ;   in Loop: Header=BB297_4 Depth=2
	v_bcnt_u32_b32 v1, v1, 0
	v_bcnt_u32_b32 v1, v2, v1
	ds_write_b32 v25, v1 offset:8
; %bb.6:                                ;   in Loop: Header=BB297_4 Depth=2
	s_or_b64 exec, exec, s[24:25]
	; wave barrier
	s_waitcnt lgkmcnt(0)
	s_barrier
	ds_read2_b64 v[1:4], v17 offset0:1 offset1:2
	s_waitcnt lgkmcnt(0)
	v_add_u32_e32 v26, v2, v1
	v_add3_u32 v4, v26, v3, v4
	s_nop 1
	v_mov_b32_dpp v26, v4 row_shr:1 row_mask:0xf bank_mask:0xf
	v_cndmask_b32_e64 v26, v26, 0, s[10:11]
	v_add_u32_e32 v4, v26, v4
	s_nop 1
	v_mov_b32_dpp v26, v4 row_shr:2 row_mask:0xf bank_mask:0xf
	v_cndmask_b32_e64 v26, 0, v26, s[12:13]
	v_add_u32_e32 v4, v4, v26
	;; [unrolled: 4-line block ×4, first 2 shown]
	s_nop 1
	v_mov_b32_dpp v26, v4 row_bcast:15 row_mask:0xf bank_mask:0xf
	v_cndmask_b32_e64 v26, v26, 0, s[18:19]
	v_add_u32_e32 v4, v4, v26
	s_nop 1
	v_mov_b32_dpp v26, v4 row_bcast:31 row_mask:0xf bank_mask:0xf
	v_cndmask_b32_e64 v26, 0, v26, s[6:7]
	v_add_u32_e32 v4, v4, v26
	s_and_saveexec_b64 s[24:25], s[20:21]
; %bb.7:                                ;   in Loop: Header=BB297_4 Depth=2
	ds_write_b32 v18, v4
; %bb.8:                                ;   in Loop: Header=BB297_4 Depth=2
	s_or_b64 exec, exec, s[24:25]
	s_waitcnt lgkmcnt(0)
	s_barrier
	s_and_saveexec_b64 s[24:25], s[0:1]
	s_cbranch_execz .LBB297_10
; %bb.9:                                ;   in Loop: Header=BB297_4 Depth=2
	ds_read_b32 v26, v19
	s_waitcnt lgkmcnt(0)
	s_nop 0
	v_mov_b32_dpp v27, v26 row_shr:1 row_mask:0xf bank_mask:0xf
	v_cndmask_b32_e64 v27, v27, 0, s[22:23]
	v_add_u32_e32 v26, v27, v26
	ds_write_b32 v19, v26
.LBB297_10:                             ;   in Loop: Header=BB297_4 Depth=2
	s_or_b64 exec, exec, s[24:25]
	v_mov_b32_e32 v26, 0
	s_waitcnt lgkmcnt(0)
	s_barrier
	s_and_saveexec_b64 s[24:25], s[2:3]
; %bb.11:                               ;   in Loop: Header=BB297_4 Depth=2
	ds_read_b32 v26, v20
; %bb.12:                               ;   in Loop: Header=BB297_4 Depth=2
	s_or_b64 exec, exec, s[24:25]
	s_waitcnt lgkmcnt(0)
	v_add_u32_e32 v4, v26, v4
	ds_bpermute_b32 v4, v22, v4
	v_cmp_lt_u32_e32 vcc, 55, v13
	s_and_b64 vcc, exec, vcc
	s_mov_b64 s[24:25], -1
	s_waitcnt lgkmcnt(0)
	v_cndmask_b32_e64 v4, v4, v26, s[8:9]
	v_cndmask_b32_e64 v26, v4, 0, s[4:5]
	v_add_u32_e32 v27, v26, v1
	v_add_u32_e32 v1, v27, v2
	;; [unrolled: 1-line block ×3, first 2 shown]
	ds_write2_b64 v17, v[26:27], v[1:2] offset0:1 offset1:2
	s_waitcnt lgkmcnt(0)
	s_barrier
	ds_read_b32 v1, v25 offset:8
                                        ; implicit-def: $vgpr3_vgpr4
	s_waitcnt lgkmcnt(0)
	v_add_u32_e32 v6, v1, v6
                                        ; implicit-def: $vgpr1_vgpr2
	s_cbranch_vccnz .LBB297_3
; %bb.13:                               ;   in Loop: Header=BB297_4 Depth=2
	v_lshlrev_b32_e32 v1, 3, v6
	s_barrier
	ds_write_b64 v1, v[15:16]
	s_waitcnt lgkmcnt(0)
	s_barrier
	ds_read_b64 v[3:4], v21
	s_waitcnt lgkmcnt(0)
	s_barrier
	ds_write_b64 v1, v[11:12]
	s_waitcnt lgkmcnt(0)
	s_barrier
	ds_read_b64 v[1:2], v21
	v_add_co_u32_e32 v13, vcc, 8, v13
	v_addc_co_u32_e32 v14, vcc, 0, v14, vcc
	s_mov_b64 s[24:25], 0
	s_waitcnt lgkmcnt(0)
	s_barrier
	s_branch .LBB297_3
.LBB297_14:
	s_waitcnt lgkmcnt(0)
	v_add_co_u32_e32 v1, vcc, v1, v3
	v_addc_co_u32_e32 v2, vcc, v2, v4, vcc
	s_add_u32 s0, s26, s28
	v_add_u32_e32 v2, 0x80000000, v2
	s_addc_u32 s1, s27, s29
	v_lshlrev_b32_e32 v0, 3, v0
	global_store_dwordx2 v0, v[1:2], s[0:1]
	s_endpgm
	.section	.rodata,"a",@progbits
	.p2align	6, 0x0
	.amdhsa_kernel _Z17sort_pairs_kernelI22helper_blocked_stripedxLj128ELj1ELj10EEvPKT0_PS1_
		.amdhsa_group_segment_fixed_size 2064
		.amdhsa_private_segment_fixed_size 0
		.amdhsa_kernarg_size 272
		.amdhsa_user_sgpr_count 6
		.amdhsa_user_sgpr_private_segment_buffer 1
		.amdhsa_user_sgpr_dispatch_ptr 0
		.amdhsa_user_sgpr_queue_ptr 0
		.amdhsa_user_sgpr_kernarg_segment_ptr 1
		.amdhsa_user_sgpr_dispatch_id 0
		.amdhsa_user_sgpr_flat_scratch_init 0
		.amdhsa_user_sgpr_private_segment_size 0
		.amdhsa_uses_dynamic_stack 0
		.amdhsa_system_sgpr_private_segment_wavefront_offset 0
		.amdhsa_system_sgpr_workgroup_id_x 1
		.amdhsa_system_sgpr_workgroup_id_y 0
		.amdhsa_system_sgpr_workgroup_id_z 0
		.amdhsa_system_sgpr_workgroup_info 0
		.amdhsa_system_vgpr_workitem_id 2
		.amdhsa_next_free_vgpr 29
		.amdhsa_next_free_sgpr 61
		.amdhsa_reserve_vcc 1
		.amdhsa_reserve_flat_scratch 0
		.amdhsa_float_round_mode_32 0
		.amdhsa_float_round_mode_16_64 0
		.amdhsa_float_denorm_mode_32 3
		.amdhsa_float_denorm_mode_16_64 3
		.amdhsa_dx10_clamp 1
		.amdhsa_ieee_mode 1
		.amdhsa_fp16_overflow 0
		.amdhsa_exception_fp_ieee_invalid_op 0
		.amdhsa_exception_fp_denorm_src 0
		.amdhsa_exception_fp_ieee_div_zero 0
		.amdhsa_exception_fp_ieee_overflow 0
		.amdhsa_exception_fp_ieee_underflow 0
		.amdhsa_exception_fp_ieee_inexact 0
		.amdhsa_exception_int_div_zero 0
	.end_amdhsa_kernel
	.section	.text._Z17sort_pairs_kernelI22helper_blocked_stripedxLj128ELj1ELj10EEvPKT0_PS1_,"axG",@progbits,_Z17sort_pairs_kernelI22helper_blocked_stripedxLj128ELj1ELj10EEvPKT0_PS1_,comdat
.Lfunc_end297:
	.size	_Z17sort_pairs_kernelI22helper_blocked_stripedxLj128ELj1ELj10EEvPKT0_PS1_, .Lfunc_end297-_Z17sort_pairs_kernelI22helper_blocked_stripedxLj128ELj1ELj10EEvPKT0_PS1_
                                        ; -- End function
	.set _Z17sort_pairs_kernelI22helper_blocked_stripedxLj128ELj1ELj10EEvPKT0_PS1_.num_vgpr, 28
	.set _Z17sort_pairs_kernelI22helper_blocked_stripedxLj128ELj1ELj10EEvPKT0_PS1_.num_agpr, 0
	.set _Z17sort_pairs_kernelI22helper_blocked_stripedxLj128ELj1ELj10EEvPKT0_PS1_.numbered_sgpr, 36
	.set _Z17sort_pairs_kernelI22helper_blocked_stripedxLj128ELj1ELj10EEvPKT0_PS1_.num_named_barrier, 0
	.set _Z17sort_pairs_kernelI22helper_blocked_stripedxLj128ELj1ELj10EEvPKT0_PS1_.private_seg_size, 0
	.set _Z17sort_pairs_kernelI22helper_blocked_stripedxLj128ELj1ELj10EEvPKT0_PS1_.uses_vcc, 1
	.set _Z17sort_pairs_kernelI22helper_blocked_stripedxLj128ELj1ELj10EEvPKT0_PS1_.uses_flat_scratch, 0
	.set _Z17sort_pairs_kernelI22helper_blocked_stripedxLj128ELj1ELj10EEvPKT0_PS1_.has_dyn_sized_stack, 0
	.set _Z17sort_pairs_kernelI22helper_blocked_stripedxLj128ELj1ELj10EEvPKT0_PS1_.has_recursion, 0
	.set _Z17sort_pairs_kernelI22helper_blocked_stripedxLj128ELj1ELj10EEvPKT0_PS1_.has_indirect_call, 0
	.section	.AMDGPU.csdata,"",@progbits
; Kernel info:
; codeLenInByte = 1332
; TotalNumSgprs: 40
; NumVgprs: 28
; ScratchSize: 0
; MemoryBound: 0
; FloatMode: 240
; IeeeMode: 1
; LDSByteSize: 2064 bytes/workgroup (compile time only)
; SGPRBlocks: 8
; VGPRBlocks: 7
; NumSGPRsForWavesPerEU: 65
; NumVGPRsForWavesPerEU: 29
; Occupancy: 8
; WaveLimiterHint : 0
; COMPUTE_PGM_RSRC2:SCRATCH_EN: 0
; COMPUTE_PGM_RSRC2:USER_SGPR: 6
; COMPUTE_PGM_RSRC2:TRAP_HANDLER: 0
; COMPUTE_PGM_RSRC2:TGID_X_EN: 1
; COMPUTE_PGM_RSRC2:TGID_Y_EN: 0
; COMPUTE_PGM_RSRC2:TGID_Z_EN: 0
; COMPUTE_PGM_RSRC2:TIDIG_COMP_CNT: 2
	.section	.text._Z16sort_keys_kernelI22helper_blocked_stripedxLj128ELj3ELj10EEvPKT0_PS1_,"axG",@progbits,_Z16sort_keys_kernelI22helper_blocked_stripedxLj128ELj3ELj10EEvPKT0_PS1_,comdat
	.protected	_Z16sort_keys_kernelI22helper_blocked_stripedxLj128ELj3ELj10EEvPKT0_PS1_ ; -- Begin function _Z16sort_keys_kernelI22helper_blocked_stripedxLj128ELj3ELj10EEvPKT0_PS1_
	.globl	_Z16sort_keys_kernelI22helper_blocked_stripedxLj128ELj3ELj10EEvPKT0_PS1_
	.p2align	8
	.type	_Z16sort_keys_kernelI22helper_blocked_stripedxLj128ELj3ELj10EEvPKT0_PS1_,@function
_Z16sort_keys_kernelI22helper_blocked_stripedxLj128ELj3ELj10EEvPKT0_PS1_: ; @_Z16sort_keys_kernelI22helper_blocked_stripedxLj128ELj3ELj10EEvPKT0_PS1_
; %bb.0:
	s_load_dwordx4 s[24:27], s[4:5], 0x0
	s_load_dword s2, s[4:5], 0x1c
	s_mul_i32 s28, s6, 0x180
	s_mov_b32 s29, 0
	s_lshl_b64 s[30:31], s[28:29], 3
	s_waitcnt lgkmcnt(0)
	s_add_u32 s0, s24, s30
	v_mul_u32_u24_e32 v3, 3, v0
	s_addc_u32 s1, s25, s31
	v_lshlrev_b32_e32 v7, 3, v3
	global_load_dwordx2 v[8:9], v7, s[0:1] offset:16
	global_load_dwordx4 v[3:6], v7, s[0:1]
	v_mbcnt_lo_u32_b32 v7, -1, 0
	v_mbcnt_hi_u32_b32 v7, -1, v7
	s_lshr_b32 s0, s2, 16
	v_lshrrev_b32_e32 v10, 6, v0
	s_and_b32 s1, s2, 0xffff
	v_mad_u32_u24 v1, v2, s0, v1
	v_and_b32_e32 v2, 15, v7
	v_mul_u32_u24_e32 v11, 0xc0, v10
	v_mad_u32_u24 v1, v1, s1, v0
	v_cmp_eq_u32_e64 s[0:1], 0, v2
	v_cmp_lt_u32_e64 s[2:3], 1, v2
	v_cmp_lt_u32_e64 s[4:5], 3, v2
	;; [unrolled: 1-line block ×3, first 2 shown]
	v_and_b32_e32 v2, 16, v7
	v_lshlrev_b32_e32 v11, 3, v11
	v_lshlrev_b32_e32 v12, 3, v7
	v_cmp_eq_u32_e64 s[8:9], 0, v2
	v_and_b32_e32 v2, 64, v0
	v_mad_u32_u24 v17, v7, 24, v11
	v_add_u32_e32 v18, v12, v11
	v_or_b32_e32 v11, 63, v2
	v_cmp_eq_u32_e64 s[12:13], v0, v11
	v_subrev_co_u32_e64 v11, s[18:19], 1, v7
	v_and_b32_e32 v13, 64, v7
	v_lshlrev_b32_e32 v19, 4, v0
	v_cmp_lt_i32_e32 vcc, v11, v13
	v_lshrrev_b32_e32 v1, 4, v1
	v_cmp_lt_u32_e64 s[10:11], 31, v7
	v_cndmask_b32_e32 v11, v11, v7, vcc
	v_lshlrev_b32_e32 v21, 2, v10
	v_mad_i32_i24 v22, v0, -12, v19
	v_and_b32_e32 v7, 1, v7
	v_mul_u32_u24_e32 v2, 24, v2
	v_and_b32_e32 v24, 0xffffffc, v1
	v_lshlrev_b32_e32 v1, 2, v0
	v_cmp_gt_u32_e64 s[14:15], 2, v0
	v_cmp_lt_u32_e64 s[16:17], 63, v0
	v_lshlrev_b32_e32 v20, 2, v11
	v_cmp_eq_u32_e64 s[20:21], 0, v0
	v_cmp_eq_u32_e64 s[22:23], 0, v7
	v_add_u32_e32 v23, -4, v21
	s_mov_b32 s28, s29
	s_mov_b32 s34, s29
	;; [unrolled: 1-line block ×3, first 2 shown]
	v_mov_b32_e32 v7, 0
	v_add_u32_e32 v25, v12, v2
	v_add_u32_e32 v26, v22, v1
	s_mov_b32 s33, s29
	s_branch .LBB298_2
.LBB298_1:                              ;   in Loop: Header=BB298_2 Depth=1
	v_lshlrev_b32_e32 v1, 3, v28
	s_barrier
	ds_write_b64 v1, v[13:14]
	v_lshlrev_b32_e32 v1, 3, v27
	ds_write_b64 v1, v[11:12]
	v_lshlrev_b32_e32 v1, 3, v8
	ds_write_b64 v1, v[5:6]
	s_waitcnt lgkmcnt(0)
	s_barrier
	ds_read2st64_b64 v[3:6], v26 offset1:2
	ds_read_b64 v[8:9], v26 offset:2048
	s_add_i32 s33, s33, 1
	s_cmp_eq_u32 s33, 10
	s_waitcnt lgkmcnt(1)
	v_xor_b32_e32 v4, 0x80000000, v4
	v_xor_b32_e32 v6, 0x80000000, v6
	s_waitcnt lgkmcnt(0)
	v_xor_b32_e32 v9, 0x80000000, v9
	s_cbranch_scc1 .LBB298_18
.LBB298_2:                              ; =>This Loop Header: Depth=1
                                        ;     Child Loop BB298_4 Depth 2
	s_waitcnt vmcnt(0)
	v_xor_b32_e32 v4, 0x80000000, v4
	v_xor_b32_e32 v6, 0x80000000, v6
	;; [unrolled: 1-line block ×3, first 2 shown]
	ds_write2_b64 v17, v[3:4], v[5:6] offset1:1
	ds_write_b64 v17, v[8:9] offset:16
	; wave barrier
	ds_read2st64_b64 v[1:4], v18 offset1:1
	ds_read_b64 v[15:16], v18 offset:1024
	v_mov_b32_e32 v9, 0
	v_mov_b32_e32 v10, 0
	s_waitcnt lgkmcnt(0)
	s_barrier
	; wave barrier
	s_barrier
	s_branch .LBB298_4
.LBB298_3:                              ;   in Loop: Header=BB298_4 Depth=2
	s_andn2_b64 vcc, exec, s[24:25]
	s_cbranch_vccz .LBB298_1
.LBB298_4:                              ;   Parent Loop BB298_2 Depth=1
                                        ; =>  This Inner Loop Header: Depth=2
	v_mov_b32_e32 v12, v4
	v_mov_b32_e32 v14, v2
	v_mov_b32_e32 v11, v3
	v_mov_b32_e32 v13, v1
	v_mov_b32_e32 v1, s28
	v_mov_b32_e32 v3, s34
	v_mov_b32_e32 v2, s29
	v_mov_b32_e32 v4, s35
	ds_write2_b64 v19, v[1:2], v[3:4] offset0:1 offset1:2
	v_lshrrev_b64 v[1:2], v9, v[13:14]
	v_mov_b32_e32 v5, v15
	v_lshlrev_b32_e32 v2, 3, v1
	v_and_b32_e32 v2, 0x7f8, v2
	v_mov_b32_e32 v6, v16
	v_add_u32_e32 v15, v24, v2
	v_and_b32_e32 v2, 1, v1
	v_add_co_u32_e32 v3, vcc, -1, v2
	v_addc_co_u32_e64 v4, s[24:25], 0, -1, vcc
	v_cmp_ne_u32_e32 vcc, 0, v2
	v_lshlrev_b32_e32 v8, 30, v1
	v_xor_b32_e32 v2, vcc_hi, v4
	v_xor_b32_e32 v3, vcc_lo, v3
	v_cmp_gt_i64_e32 vcc, 0, v[7:8]
	v_not_b32_e32 v4, v8
	v_ashrrev_i32_e32 v4, 31, v4
	v_and_b32_e32 v2, exec_hi, v2
	v_xor_b32_e32 v8, vcc_hi, v4
	v_and_b32_e32 v3, exec_lo, v3
	v_xor_b32_e32 v4, vcc_lo, v4
	v_and_b32_e32 v2, v2, v8
	v_lshlrev_b32_e32 v8, 29, v1
	v_and_b32_e32 v3, v3, v4
	v_cmp_gt_i64_e32 vcc, 0, v[7:8]
	v_not_b32_e32 v4, v8
	v_ashrrev_i32_e32 v4, 31, v4
	v_xor_b32_e32 v8, vcc_hi, v4
	v_xor_b32_e32 v4, vcc_lo, v4
	v_and_b32_e32 v2, v2, v8
	v_lshlrev_b32_e32 v8, 28, v1
	v_and_b32_e32 v3, v3, v4
	v_cmp_gt_i64_e32 vcc, 0, v[7:8]
	v_not_b32_e32 v4, v8
	v_ashrrev_i32_e32 v4, 31, v4
	v_xor_b32_e32 v8, vcc_hi, v4
	;; [unrolled: 8-line block ×5, first 2 shown]
	v_and_b32_e32 v2, v2, v8
	v_lshlrev_b32_e32 v8, 24, v1
	v_xor_b32_e32 v4, vcc_lo, v4
	v_cmp_gt_i64_e32 vcc, 0, v[7:8]
	v_not_b32_e32 v1, v8
	v_ashrrev_i32_e32 v1, 31, v1
	v_and_b32_e32 v3, v3, v4
	v_xor_b32_e32 v4, vcc_hi, v1
	v_xor_b32_e32 v1, vcc_lo, v1
	v_and_b32_e32 v1, v3, v1
	v_and_b32_e32 v2, v2, v4
	v_mbcnt_lo_u32_b32 v3, v1, 0
	v_mbcnt_hi_u32_b32 v16, v2, v3
	v_cmp_ne_u64_e32 vcc, 0, v[1:2]
	v_cmp_eq_u32_e64 s[24:25], 0, v16
	s_and_b64 s[36:37], vcc, s[24:25]
	s_waitcnt lgkmcnt(0)
	s_barrier
	; wave barrier
	s_and_saveexec_b64 s[24:25], s[36:37]
; %bb.5:                                ;   in Loop: Header=BB298_4 Depth=2
	v_bcnt_u32_b32 v1, v1, 0
	v_bcnt_u32_b32 v1, v2, v1
	ds_write_b32 v15, v1 offset:8
; %bb.6:                                ;   in Loop: Header=BB298_4 Depth=2
	s_or_b64 exec, exec, s[24:25]
	v_lshrrev_b64 v[1:2], v9, v[11:12]
	v_lshlrev_b32_e32 v2, 3, v1
	v_and_b32_e32 v2, 0x7f8, v2
	v_add_u32_e32 v28, v24, v2
	v_and_b32_e32 v2, 1, v1
	v_add_co_u32_e32 v3, vcc, -1, v2
	v_addc_co_u32_e64 v4, s[24:25], 0, -1, vcc
	v_cmp_ne_u32_e32 vcc, 0, v2
	v_lshlrev_b32_e32 v8, 30, v1
	v_xor_b32_e32 v2, vcc_hi, v4
	v_xor_b32_e32 v3, vcc_lo, v3
	v_cmp_gt_i64_e32 vcc, 0, v[7:8]
	v_not_b32_e32 v4, v8
	v_ashrrev_i32_e32 v4, 31, v4
	v_and_b32_e32 v2, exec_hi, v2
	v_xor_b32_e32 v8, vcc_hi, v4
	v_and_b32_e32 v3, exec_lo, v3
	v_xor_b32_e32 v4, vcc_lo, v4
	v_and_b32_e32 v2, v2, v8
	v_lshlrev_b32_e32 v8, 29, v1
	v_and_b32_e32 v3, v3, v4
	v_cmp_gt_i64_e32 vcc, 0, v[7:8]
	v_not_b32_e32 v4, v8
	v_ashrrev_i32_e32 v4, 31, v4
	v_xor_b32_e32 v8, vcc_hi, v4
	v_xor_b32_e32 v4, vcc_lo, v4
	v_and_b32_e32 v2, v2, v8
	v_lshlrev_b32_e32 v8, 28, v1
	v_and_b32_e32 v3, v3, v4
	v_cmp_gt_i64_e32 vcc, 0, v[7:8]
	v_not_b32_e32 v4, v8
	v_ashrrev_i32_e32 v4, 31, v4
	v_xor_b32_e32 v8, vcc_hi, v4
	;; [unrolled: 8-line block ×5, first 2 shown]
	v_and_b32_e32 v2, v2, v8
	v_lshlrev_b32_e32 v8, 24, v1
	v_xor_b32_e32 v4, vcc_lo, v4
	v_cmp_gt_i64_e32 vcc, 0, v[7:8]
	v_not_b32_e32 v1, v8
	v_ashrrev_i32_e32 v1, 31, v1
	v_and_b32_e32 v3, v3, v4
	v_xor_b32_e32 v4, vcc_hi, v1
	v_xor_b32_e32 v1, vcc_lo, v1
	; wave barrier
	ds_read_b32 v27, v28 offset:8
	v_and_b32_e32 v1, v3, v1
	v_and_b32_e32 v2, v2, v4
	v_mbcnt_lo_u32_b32 v3, v1, 0
	v_mbcnt_hi_u32_b32 v29, v2, v3
	v_cmp_ne_u64_e32 vcc, 0, v[1:2]
	v_cmp_eq_u32_e64 s[24:25], 0, v29
	s_and_b64 s[36:37], vcc, s[24:25]
	; wave barrier
	s_and_saveexec_b64 s[24:25], s[36:37]
	s_cbranch_execz .LBB298_8
; %bb.7:                                ;   in Loop: Header=BB298_4 Depth=2
	v_bcnt_u32_b32 v1, v1, 0
	v_bcnt_u32_b32 v1, v2, v1
	s_waitcnt lgkmcnt(0)
	v_add_u32_e32 v1, v27, v1
	ds_write_b32 v28, v1 offset:8
.LBB298_8:                              ;   in Loop: Header=BB298_4 Depth=2
	s_or_b64 exec, exec, s[24:25]
	v_lshrrev_b64 v[1:2], v9, v[5:6]
	v_lshlrev_b32_e32 v2, 3, v1
	v_and_b32_e32 v2, 0x7f8, v2
	v_add_u32_e32 v31, v24, v2
	v_and_b32_e32 v2, 1, v1
	v_add_co_u32_e32 v3, vcc, -1, v2
	v_addc_co_u32_e64 v4, s[24:25], 0, -1, vcc
	v_cmp_ne_u32_e32 vcc, 0, v2
	v_lshlrev_b32_e32 v8, 30, v1
	v_xor_b32_e32 v2, vcc_hi, v4
	v_xor_b32_e32 v3, vcc_lo, v3
	v_cmp_gt_i64_e32 vcc, 0, v[7:8]
	v_not_b32_e32 v4, v8
	v_ashrrev_i32_e32 v4, 31, v4
	v_and_b32_e32 v2, exec_hi, v2
	v_xor_b32_e32 v8, vcc_hi, v4
	v_and_b32_e32 v3, exec_lo, v3
	v_xor_b32_e32 v4, vcc_lo, v4
	v_and_b32_e32 v2, v2, v8
	v_lshlrev_b32_e32 v8, 29, v1
	v_and_b32_e32 v3, v3, v4
	v_cmp_gt_i64_e32 vcc, 0, v[7:8]
	v_not_b32_e32 v4, v8
	v_ashrrev_i32_e32 v4, 31, v4
	v_xor_b32_e32 v8, vcc_hi, v4
	v_xor_b32_e32 v4, vcc_lo, v4
	v_and_b32_e32 v2, v2, v8
	v_lshlrev_b32_e32 v8, 28, v1
	v_and_b32_e32 v3, v3, v4
	v_cmp_gt_i64_e32 vcc, 0, v[7:8]
	v_not_b32_e32 v4, v8
	v_ashrrev_i32_e32 v4, 31, v4
	v_xor_b32_e32 v8, vcc_hi, v4
	;; [unrolled: 8-line block ×5, first 2 shown]
	v_and_b32_e32 v2, v2, v8
	v_lshlrev_b32_e32 v8, 24, v1
	v_xor_b32_e32 v4, vcc_lo, v4
	v_cmp_gt_i64_e32 vcc, 0, v[7:8]
	v_not_b32_e32 v1, v8
	v_ashrrev_i32_e32 v1, 31, v1
	v_and_b32_e32 v3, v3, v4
	v_xor_b32_e32 v4, vcc_hi, v1
	v_xor_b32_e32 v1, vcc_lo, v1
	; wave barrier
	ds_read_b32 v30, v31 offset:8
	v_and_b32_e32 v1, v3, v1
	v_and_b32_e32 v2, v2, v4
	v_mbcnt_lo_u32_b32 v3, v1, 0
	v_mbcnt_hi_u32_b32 v8, v2, v3
	v_cmp_ne_u64_e32 vcc, 0, v[1:2]
	v_cmp_eq_u32_e64 s[24:25], 0, v8
	s_and_b64 s[36:37], vcc, s[24:25]
	; wave barrier
	s_and_saveexec_b64 s[24:25], s[36:37]
	s_cbranch_execz .LBB298_10
; %bb.9:                                ;   in Loop: Header=BB298_4 Depth=2
	v_bcnt_u32_b32 v1, v1, 0
	v_bcnt_u32_b32 v1, v2, v1
	s_waitcnt lgkmcnt(0)
	v_add_u32_e32 v1, v30, v1
	ds_write_b32 v31, v1 offset:8
.LBB298_10:                             ;   in Loop: Header=BB298_4 Depth=2
	s_or_b64 exec, exec, s[24:25]
	; wave barrier
	s_waitcnt lgkmcnt(0)
	s_barrier
	ds_read2_b64 v[1:4], v19 offset0:1 offset1:2
	s_waitcnt lgkmcnt(0)
	v_add_u32_e32 v32, v2, v1
	v_add3_u32 v4, v32, v3, v4
	s_nop 1
	v_mov_b32_dpp v32, v4 row_shr:1 row_mask:0xf bank_mask:0xf
	v_cndmask_b32_e64 v32, v32, 0, s[0:1]
	v_add_u32_e32 v4, v32, v4
	s_nop 1
	v_mov_b32_dpp v32, v4 row_shr:2 row_mask:0xf bank_mask:0xf
	v_cndmask_b32_e64 v32, 0, v32, s[2:3]
	v_add_u32_e32 v4, v4, v32
	;; [unrolled: 4-line block ×4, first 2 shown]
	s_nop 1
	v_mov_b32_dpp v32, v4 row_bcast:15 row_mask:0xf bank_mask:0xf
	v_cndmask_b32_e64 v32, v32, 0, s[8:9]
	v_add_u32_e32 v4, v4, v32
	s_nop 1
	v_mov_b32_dpp v32, v4 row_bcast:31 row_mask:0xf bank_mask:0xf
	v_cndmask_b32_e64 v32, 0, v32, s[10:11]
	v_add_u32_e32 v4, v4, v32
	s_and_saveexec_b64 s[24:25], s[12:13]
; %bb.11:                               ;   in Loop: Header=BB298_4 Depth=2
	ds_write_b32 v21, v4
; %bb.12:                               ;   in Loop: Header=BB298_4 Depth=2
	s_or_b64 exec, exec, s[24:25]
	s_waitcnt lgkmcnt(0)
	s_barrier
	s_and_saveexec_b64 s[24:25], s[14:15]
	s_cbranch_execz .LBB298_14
; %bb.13:                               ;   in Loop: Header=BB298_4 Depth=2
	ds_read_b32 v32, v22
	s_waitcnt lgkmcnt(0)
	s_nop 0
	v_mov_b32_dpp v33, v32 row_shr:1 row_mask:0xf bank_mask:0xf
	v_cndmask_b32_e64 v33, v33, 0, s[22:23]
	v_add_u32_e32 v32, v33, v32
	ds_write_b32 v22, v32
.LBB298_14:                             ;   in Loop: Header=BB298_4 Depth=2
	s_or_b64 exec, exec, s[24:25]
	v_mov_b32_e32 v32, 0
	s_waitcnt lgkmcnt(0)
	s_barrier
	s_and_saveexec_b64 s[24:25], s[16:17]
; %bb.15:                               ;   in Loop: Header=BB298_4 Depth=2
	ds_read_b32 v32, v23
; %bb.16:                               ;   in Loop: Header=BB298_4 Depth=2
	s_or_b64 exec, exec, s[24:25]
	s_waitcnt lgkmcnt(0)
	v_add_u32_e32 v4, v32, v4
	ds_bpermute_b32 v4, v20, v4
	v_cmp_lt_u32_e32 vcc, 55, v9
	s_and_b64 vcc, exec, vcc
	s_mov_b64 s[24:25], -1
	s_waitcnt lgkmcnt(0)
	v_cndmask_b32_e64 v4, v4, v32, s[18:19]
	v_cndmask_b32_e64 v32, v4, 0, s[20:21]
	v_add_u32_e32 v33, v32, v1
	v_add_u32_e32 v1, v33, v2
	;; [unrolled: 1-line block ×3, first 2 shown]
	ds_write2_b64 v19, v[32:33], v[1:2] offset0:1 offset1:2
	s_waitcnt lgkmcnt(0)
	s_barrier
	ds_read_b32 v1, v15 offset:8
	ds_read_b32 v2, v28 offset:8
	;; [unrolled: 1-line block ×3, first 2 shown]
	s_waitcnt lgkmcnt(2)
	v_add_u32_e32 v28, v1, v16
	s_waitcnt lgkmcnt(1)
	v_add3_u32 v27, v29, v27, v2
	s_waitcnt lgkmcnt(0)
	v_add3_u32 v8, v8, v30, v3
                                        ; implicit-def: $vgpr15_vgpr16
                                        ; implicit-def: $vgpr3_vgpr4
	s_cbranch_vccnz .LBB298_3
; %bb.17:                               ;   in Loop: Header=BB298_4 Depth=2
	v_lshlrev_b32_e32 v1, 3, v28
	s_barrier
	ds_write_b64 v1, v[13:14]
	v_lshlrev_b32_e32 v1, 3, v27
	ds_write_b64 v1, v[11:12]
	v_lshlrev_b32_e32 v1, 3, v8
	ds_write_b64 v1, v[5:6]
	s_waitcnt lgkmcnt(0)
	s_barrier
	ds_read2st64_b64 v[1:4], v25 offset1:1
	ds_read_b64 v[15:16], v25 offset:1024
	v_add_co_u32_e32 v9, vcc, 8, v9
	v_addc_co_u32_e32 v10, vcc, 0, v10, vcc
	s_mov_b64 s[24:25], 0
	s_waitcnt lgkmcnt(0)
	s_barrier
	s_branch .LBB298_3
.LBB298_18:
	s_add_u32 s0, s26, s30
	s_addc_u32 s1, s27, s31
	v_lshlrev_b32_e32 v0, 3, v0
	global_store_dwordx2 v0, v[3:4], s[0:1]
	global_store_dwordx2 v0, v[5:6], s[0:1] offset:1024
	global_store_dwordx2 v0, v[8:9], s[0:1] offset:2048
	s_endpgm
	.section	.rodata,"a",@progbits
	.p2align	6, 0x0
	.amdhsa_kernel _Z16sort_keys_kernelI22helper_blocked_stripedxLj128ELj3ELj10EEvPKT0_PS1_
		.amdhsa_group_segment_fixed_size 3072
		.amdhsa_private_segment_fixed_size 0
		.amdhsa_kernarg_size 272
		.amdhsa_user_sgpr_count 6
		.amdhsa_user_sgpr_private_segment_buffer 1
		.amdhsa_user_sgpr_dispatch_ptr 0
		.amdhsa_user_sgpr_queue_ptr 0
		.amdhsa_user_sgpr_kernarg_segment_ptr 1
		.amdhsa_user_sgpr_dispatch_id 0
		.amdhsa_user_sgpr_flat_scratch_init 0
		.amdhsa_user_sgpr_private_segment_size 0
		.amdhsa_uses_dynamic_stack 0
		.amdhsa_system_sgpr_private_segment_wavefront_offset 0
		.amdhsa_system_sgpr_workgroup_id_x 1
		.amdhsa_system_sgpr_workgroup_id_y 0
		.amdhsa_system_sgpr_workgroup_id_z 0
		.amdhsa_system_sgpr_workgroup_info 0
		.amdhsa_system_vgpr_workitem_id 2
		.amdhsa_next_free_vgpr 34
		.amdhsa_next_free_sgpr 61
		.amdhsa_reserve_vcc 1
		.amdhsa_reserve_flat_scratch 0
		.amdhsa_float_round_mode_32 0
		.amdhsa_float_round_mode_16_64 0
		.amdhsa_float_denorm_mode_32 3
		.amdhsa_float_denorm_mode_16_64 3
		.amdhsa_dx10_clamp 1
		.amdhsa_ieee_mode 1
		.amdhsa_fp16_overflow 0
		.amdhsa_exception_fp_ieee_invalid_op 0
		.amdhsa_exception_fp_denorm_src 0
		.amdhsa_exception_fp_ieee_div_zero 0
		.amdhsa_exception_fp_ieee_overflow 0
		.amdhsa_exception_fp_ieee_underflow 0
		.amdhsa_exception_fp_ieee_inexact 0
		.amdhsa_exception_int_div_zero 0
	.end_amdhsa_kernel
	.section	.text._Z16sort_keys_kernelI22helper_blocked_stripedxLj128ELj3ELj10EEvPKT0_PS1_,"axG",@progbits,_Z16sort_keys_kernelI22helper_blocked_stripedxLj128ELj3ELj10EEvPKT0_PS1_,comdat
.Lfunc_end298:
	.size	_Z16sort_keys_kernelI22helper_blocked_stripedxLj128ELj3ELj10EEvPKT0_PS1_, .Lfunc_end298-_Z16sort_keys_kernelI22helper_blocked_stripedxLj128ELj3ELj10EEvPKT0_PS1_
                                        ; -- End function
	.set _Z16sort_keys_kernelI22helper_blocked_stripedxLj128ELj3ELj10EEvPKT0_PS1_.num_vgpr, 34
	.set _Z16sort_keys_kernelI22helper_blocked_stripedxLj128ELj3ELj10EEvPKT0_PS1_.num_agpr, 0
	.set _Z16sort_keys_kernelI22helper_blocked_stripedxLj128ELj3ELj10EEvPKT0_PS1_.numbered_sgpr, 38
	.set _Z16sort_keys_kernelI22helper_blocked_stripedxLj128ELj3ELj10EEvPKT0_PS1_.num_named_barrier, 0
	.set _Z16sort_keys_kernelI22helper_blocked_stripedxLj128ELj3ELj10EEvPKT0_PS1_.private_seg_size, 0
	.set _Z16sort_keys_kernelI22helper_blocked_stripedxLj128ELj3ELj10EEvPKT0_PS1_.uses_vcc, 1
	.set _Z16sort_keys_kernelI22helper_blocked_stripedxLj128ELj3ELj10EEvPKT0_PS1_.uses_flat_scratch, 0
	.set _Z16sort_keys_kernelI22helper_blocked_stripedxLj128ELj3ELj10EEvPKT0_PS1_.has_dyn_sized_stack, 0
	.set _Z16sort_keys_kernelI22helper_blocked_stripedxLj128ELj3ELj10EEvPKT0_PS1_.has_recursion, 0
	.set _Z16sort_keys_kernelI22helper_blocked_stripedxLj128ELj3ELj10EEvPKT0_PS1_.has_indirect_call, 0
	.section	.AMDGPU.csdata,"",@progbits
; Kernel info:
; codeLenInByte = 2236
; TotalNumSgprs: 42
; NumVgprs: 34
; ScratchSize: 0
; MemoryBound: 0
; FloatMode: 240
; IeeeMode: 1
; LDSByteSize: 3072 bytes/workgroup (compile time only)
; SGPRBlocks: 8
; VGPRBlocks: 8
; NumSGPRsForWavesPerEU: 65
; NumVGPRsForWavesPerEU: 34
; Occupancy: 7
; WaveLimiterHint : 1
; COMPUTE_PGM_RSRC2:SCRATCH_EN: 0
; COMPUTE_PGM_RSRC2:USER_SGPR: 6
; COMPUTE_PGM_RSRC2:TRAP_HANDLER: 0
; COMPUTE_PGM_RSRC2:TGID_X_EN: 1
; COMPUTE_PGM_RSRC2:TGID_Y_EN: 0
; COMPUTE_PGM_RSRC2:TGID_Z_EN: 0
; COMPUTE_PGM_RSRC2:TIDIG_COMP_CNT: 2
	.section	.text._Z17sort_pairs_kernelI22helper_blocked_stripedxLj128ELj3ELj10EEvPKT0_PS1_,"axG",@progbits,_Z17sort_pairs_kernelI22helper_blocked_stripedxLj128ELj3ELj10EEvPKT0_PS1_,comdat
	.protected	_Z17sort_pairs_kernelI22helper_blocked_stripedxLj128ELj3ELj10EEvPKT0_PS1_ ; -- Begin function _Z17sort_pairs_kernelI22helper_blocked_stripedxLj128ELj3ELj10EEvPKT0_PS1_
	.globl	_Z17sort_pairs_kernelI22helper_blocked_stripedxLj128ELj3ELj10EEvPKT0_PS1_
	.p2align	8
	.type	_Z17sort_pairs_kernelI22helper_blocked_stripedxLj128ELj3ELj10EEvPKT0_PS1_,@function
_Z17sort_pairs_kernelI22helper_blocked_stripedxLj128ELj3ELj10EEvPKT0_PS1_: ; @_Z17sort_pairs_kernelI22helper_blocked_stripedxLj128ELj3ELj10EEvPKT0_PS1_
; %bb.0:
	s_load_dwordx4 s[24:27], s[4:5], 0x0
	s_load_dword s33, s[4:5], 0x1c
	s_mul_i32 s30, s6, 0x180
	s_mov_b32 s31, 0
	s_lshl_b64 s[28:29], s[30:31], 3
	s_waitcnt lgkmcnt(0)
	s_add_u32 s0, s24, s28
	v_mul_u32_u24_e32 v3, 3, v0
	s_addc_u32 s1, s25, s29
	v_lshlrev_b32_e32 v7, 3, v3
	global_load_dwordx4 v[3:6], v7, s[0:1]
	global_load_dwordx2 v[17:18], v7, s[0:1] offset:16
	v_mbcnt_lo_u32_b32 v7, -1, 0
	v_mbcnt_hi_u32_b32 v7, -1, v7
	v_lshrrev_b32_e32 v8, 6, v0
	v_mul_u32_u24_e32 v12, 0xc0, v8
	v_subrev_co_u32_e64 v19, s[8:9], 1, v7
	v_and_b32_e32 v20, 64, v7
	v_and_b32_e32 v14, 15, v7
	v_lshlrev_b32_e32 v12, 3, v12
	v_cmp_lt_i32_e32 vcc, v19, v20
	v_and_b32_e32 v9, 64, v0
	v_lshlrev_b32_e32 v13, 3, v7
	v_and_b32_e32 v15, 16, v7
	v_cmp_lt_u32_e64 s[6:7], 31, v7
	v_lshlrev_b32_e32 v30, 2, v8
	v_and_b32_e32 v8, 1, v7
	v_cmp_eq_u32_e64 s[10:11], 0, v14
	v_cmp_lt_u32_e64 s[12:13], 1, v14
	v_cmp_lt_u32_e64 s[14:15], 3, v14
	;; [unrolled: 1-line block ×3, first 2 shown]
	v_cndmask_b32_e32 v14, v19, v7, vcc
	v_mad_u32_u24 v35, v7, 24, v12
	v_lshlrev_b32_e32 v29, 4, v0
	v_or_b32_e32 v16, 63, v9
	v_mul_u32_u24_e32 v9, 24, v9
	v_cmp_eq_u32_e64 s[22:23], 0, v8
	s_lshr_b32 s24, s33, 16
	v_lshlrev_b32_e32 v10, 2, v0
	v_mad_i32_i24 v31, v0, -12, v29
	v_add_u32_e32 v33, v13, v9
	s_and_b32 s25, s33, 0xffff
	v_mad_u32_u24 v1, v2, s24, v1
	v_add_u32_e32 v34, v31, v10
	v_mad_u32_u24 v1, v1, s25, v0
	v_add_u32_e32 v36, v13, v12
	v_lshrrev_b32_e32 v1, 4, v1
	v_mov_b32_e32 v11, 0
	v_cmp_gt_u32_e64 s[0:1], 2, v0
	v_cmp_lt_u32_e64 s[2:3], 63, v0
	v_cmp_eq_u32_e64 s[4:5], 0, v0
	s_mov_b32 s34, s31
	s_mov_b32 s35, s31
	;; [unrolled: 1-line block ×3, first 2 shown]
	v_cmp_eq_u32_e64 s[18:19], 0, v15
	v_cmp_eq_u32_e64 s[20:21], v0, v16
	v_add_u32_e32 v32, -4, v30
	v_lshlrev_b32_e32 v37, 2, v14
	v_and_b32_e32 v38, 0xffffffc, v1
	s_mov_b32 s33, s31
	s_waitcnt vmcnt(1)
	v_add_co_u32_e32 v7, vcc, 1, v3
	v_addc_co_u32_e32 v8, vcc, 0, v4, vcc
	v_add_co_u32_e32 v9, vcc, 1, v5
	v_addc_co_u32_e32 v10, vcc, 0, v6, vcc
	s_waitcnt vmcnt(0)
	v_add_co_u32_e32 v12, vcc, 1, v17
	v_addc_co_u32_e32 v13, vcc, 0, v18, vcc
	s_branch .LBB299_2
.LBB299_1:                              ;   in Loop: Header=BB299_2 Depth=1
	v_lshlrev_b32_e32 v1, 3, v40
	v_lshlrev_b32_e32 v2, 3, v39
	;; [unrolled: 1-line block ×3, first 2 shown]
	s_barrier
	ds_write_b64 v1, v[23:24]
	ds_write_b64 v2, v[21:22]
	;; [unrolled: 1-line block ×3, first 2 shown]
	s_waitcnt lgkmcnt(0)
	s_barrier
	ds_read2st64_b64 v[3:6], v34 offset1:2
	ds_read_b64 v[17:18], v34 offset:2048
	s_waitcnt lgkmcnt(0)
	s_barrier
	ds_write_b64 v1, v[15:16]
	ds_write_b64 v2, v[13:14]
	;; [unrolled: 1-line block ×3, first 2 shown]
	s_waitcnt lgkmcnt(0)
	s_barrier
	ds_read2st64_b64 v[7:10], v34 offset1:2
	ds_read_b64 v[12:13], v34 offset:2048
	s_add_i32 s33, s33, 1
	v_xor_b32_e32 v4, 0x80000000, v4
	v_xor_b32_e32 v6, 0x80000000, v6
	s_cmp_eq_u32 s33, 10
	v_xor_b32_e32 v18, 0x80000000, v18
	s_cbranch_scc1 .LBB299_18
.LBB299_2:                              ; =>This Loop Header: Depth=1
                                        ;     Child Loop BB299_4 Depth 2
	v_xor_b32_e32 v4, 0x80000000, v4
	v_xor_b32_e32 v6, 0x80000000, v6
	;; [unrolled: 1-line block ×3, first 2 shown]
	ds_write2_b64 v35, v[3:4], v[5:6] offset1:1
	ds_write_b64 v35, v[17:18] offset:16
	; wave barrier
	ds_read2st64_b64 v[1:4], v36 offset1:1
	ds_read_b64 v[25:26], v36 offset:1024
	; wave barrier
	s_waitcnt lgkmcnt(5)
	ds_write2_b64 v35, v[7:8], v[9:10] offset1:1
	s_waitcnt lgkmcnt(5)
	ds_write_b64 v35, v[12:13] offset:16
	; wave barrier
	ds_read2st64_b64 v[5:8], v36 offset1:1
	ds_read_b64 v[27:28], v36 offset:1024
	v_mov_b32_e32 v17, 0
	v_mov_b32_e32 v18, 0
	s_waitcnt lgkmcnt(0)
	s_barrier
	s_branch .LBB299_4
.LBB299_3:                              ;   in Loop: Header=BB299_4 Depth=2
	s_andn2_b64 vcc, exec, s[24:25]
	s_cbranch_vccz .LBB299_1
.LBB299_4:                              ;   Parent Loop BB299_2 Depth=1
                                        ; =>  This Inner Loop Header: Depth=2
	v_mov_b32_e32 v22, v4
	v_mov_b32_e32 v24, v2
	v_mov_b32_e32 v21, v3
	v_mov_b32_e32 v23, v1
	v_mov_b32_e32 v1, s30
	v_mov_b32_e32 v3, s34
	v_mov_b32_e32 v2, s31
	v_mov_b32_e32 v4, s35
	ds_write2_b64 v29, v[1:2], v[3:4] offset0:1 offset1:2
	v_lshrrev_b64 v[1:2], v17, v[23:24]
	v_mov_b32_e32 v16, v6
	v_lshlrev_b32_e32 v2, 3, v1
	v_and_b32_e32 v2, 0x7f8, v2
	v_mov_b32_e32 v15, v5
	v_add_u32_e32 v5, v38, v2
	v_and_b32_e32 v2, 1, v1
	v_add_co_u32_e32 v3, vcc, -1, v2
	v_addc_co_u32_e64 v4, s[24:25], 0, -1, vcc
	v_cmp_ne_u32_e32 vcc, 0, v2
	v_lshlrev_b32_e32 v12, 30, v1
	v_xor_b32_e32 v2, vcc_hi, v4
	v_xor_b32_e32 v3, vcc_lo, v3
	v_cmp_gt_i64_e32 vcc, 0, v[11:12]
	v_not_b32_e32 v4, v12
	v_ashrrev_i32_e32 v4, 31, v4
	v_and_b32_e32 v3, exec_lo, v3
	v_xor_b32_e32 v6, vcc_hi, v4
	v_xor_b32_e32 v4, vcc_lo, v4
	v_lshlrev_b32_e32 v12, 29, v1
	v_and_b32_e32 v3, v3, v4
	v_cmp_gt_i64_e32 vcc, 0, v[11:12]
	v_not_b32_e32 v4, v12
	v_and_b32_e32 v2, exec_hi, v2
	v_ashrrev_i32_e32 v4, 31, v4
	v_and_b32_e32 v2, v2, v6
	v_xor_b32_e32 v6, vcc_hi, v4
	v_xor_b32_e32 v4, vcc_lo, v4
	v_lshlrev_b32_e32 v12, 28, v1
	v_and_b32_e32 v3, v3, v4
	v_cmp_gt_i64_e32 vcc, 0, v[11:12]
	v_not_b32_e32 v4, v12
	v_ashrrev_i32_e32 v4, 31, v4
	v_and_b32_e32 v2, v2, v6
	v_xor_b32_e32 v6, vcc_hi, v4
	v_xor_b32_e32 v4, vcc_lo, v4
	v_lshlrev_b32_e32 v12, 27, v1
	v_and_b32_e32 v3, v3, v4
	v_cmp_gt_i64_e32 vcc, 0, v[11:12]
	v_not_b32_e32 v4, v12
	;; [unrolled: 8-line block ×4, first 2 shown]
	v_ashrrev_i32_e32 v4, 31, v4
	v_lshlrev_b32_e32 v12, 24, v1
	v_and_b32_e32 v2, v2, v6
	v_xor_b32_e32 v6, vcc_hi, v4
	v_xor_b32_e32 v4, vcc_lo, v4
	v_cmp_gt_i64_e32 vcc, 0, v[11:12]
	v_not_b32_e32 v1, v12
	v_ashrrev_i32_e32 v1, 31, v1
	v_and_b32_e32 v3, v3, v4
	v_xor_b32_e32 v4, vcc_hi, v1
	v_xor_b32_e32 v1, vcc_lo, v1
	v_and_b32_e32 v2, v2, v6
	v_and_b32_e32 v1, v3, v1
	;; [unrolled: 1-line block ×3, first 2 shown]
	v_mbcnt_lo_u32_b32 v3, v1, 0
	v_mbcnt_hi_u32_b32 v6, v2, v3
	v_cmp_ne_u64_e32 vcc, 0, v[1:2]
	v_mov_b32_e32 v19, v25
	v_mov_b32_e32 v9, v27
	;; [unrolled: 1-line block ×3, first 2 shown]
	v_cmp_eq_u32_e64 s[24:25], 0, v6
	v_mov_b32_e32 v20, v26
	v_mov_b32_e32 v10, v28
	;; [unrolled: 1-line block ×3, first 2 shown]
	s_and_b64 s[36:37], vcc, s[24:25]
	s_waitcnt lgkmcnt(0)
	s_barrier
	; wave barrier
	s_and_saveexec_b64 s[24:25], s[36:37]
; %bb.5:                                ;   in Loop: Header=BB299_4 Depth=2
	v_bcnt_u32_b32 v1, v1, 0
	v_bcnt_u32_b32 v1, v2, v1
	ds_write_b32 v5, v1 offset:8
; %bb.6:                                ;   in Loop: Header=BB299_4 Depth=2
	s_or_b64 exec, exec, s[24:25]
	v_lshrrev_b64 v[1:2], v17, v[21:22]
	v_lshlrev_b32_e32 v2, 3, v1
	v_and_b32_e32 v2, 0x7f8, v2
	v_add_u32_e32 v8, v38, v2
	v_and_b32_e32 v2, 1, v1
	v_add_co_u32_e32 v3, vcc, -1, v2
	v_addc_co_u32_e64 v4, s[24:25], 0, -1, vcc
	v_cmp_ne_u32_e32 vcc, 0, v2
	v_lshlrev_b32_e32 v12, 30, v1
	v_xor_b32_e32 v2, vcc_hi, v4
	v_xor_b32_e32 v3, vcc_lo, v3
	v_cmp_gt_i64_e32 vcc, 0, v[11:12]
	v_not_b32_e32 v4, v12
	v_ashrrev_i32_e32 v4, 31, v4
	v_and_b32_e32 v2, exec_hi, v2
	v_xor_b32_e32 v12, vcc_hi, v4
	v_and_b32_e32 v3, exec_lo, v3
	v_xor_b32_e32 v4, vcc_lo, v4
	v_and_b32_e32 v2, v2, v12
	v_lshlrev_b32_e32 v12, 29, v1
	v_and_b32_e32 v3, v3, v4
	v_cmp_gt_i64_e32 vcc, 0, v[11:12]
	v_not_b32_e32 v4, v12
	v_ashrrev_i32_e32 v4, 31, v4
	v_xor_b32_e32 v12, vcc_hi, v4
	v_xor_b32_e32 v4, vcc_lo, v4
	v_and_b32_e32 v2, v2, v12
	v_lshlrev_b32_e32 v12, 28, v1
	v_and_b32_e32 v3, v3, v4
	v_cmp_gt_i64_e32 vcc, 0, v[11:12]
	v_not_b32_e32 v4, v12
	v_ashrrev_i32_e32 v4, 31, v4
	v_xor_b32_e32 v12, vcc_hi, v4
	v_xor_b32_e32 v4, vcc_lo, v4
	v_and_b32_e32 v2, v2, v12
	v_lshlrev_b32_e32 v12, 27, v1
	v_and_b32_e32 v3, v3, v4
	v_cmp_gt_i64_e32 vcc, 0, v[11:12]
	v_not_b32_e32 v4, v12
	v_ashrrev_i32_e32 v4, 31, v4
	v_xor_b32_e32 v12, vcc_hi, v4
	v_xor_b32_e32 v4, vcc_lo, v4
	v_and_b32_e32 v2, v2, v12
	v_lshlrev_b32_e32 v12, 26, v1
	v_and_b32_e32 v3, v3, v4
	v_cmp_gt_i64_e32 vcc, 0, v[11:12]
	v_not_b32_e32 v4, v12
	v_ashrrev_i32_e32 v4, 31, v4
	v_xor_b32_e32 v12, vcc_hi, v4
	v_xor_b32_e32 v4, vcc_lo, v4
	v_and_b32_e32 v2, v2, v12
	v_lshlrev_b32_e32 v12, 25, v1
	v_and_b32_e32 v3, v3, v4
	v_cmp_gt_i64_e32 vcc, 0, v[11:12]
	v_not_b32_e32 v4, v12
	v_ashrrev_i32_e32 v4, 31, v4
	v_xor_b32_e32 v12, vcc_hi, v4
	v_and_b32_e32 v2, v2, v12
	v_lshlrev_b32_e32 v12, 24, v1
	v_xor_b32_e32 v4, vcc_lo, v4
	v_cmp_gt_i64_e32 vcc, 0, v[11:12]
	v_not_b32_e32 v1, v12
	v_ashrrev_i32_e32 v1, 31, v1
	v_and_b32_e32 v3, v3, v4
	v_xor_b32_e32 v4, vcc_hi, v1
	v_xor_b32_e32 v1, vcc_lo, v1
	; wave barrier
	ds_read_b32 v7, v8 offset:8
	v_and_b32_e32 v1, v3, v1
	v_and_b32_e32 v2, v2, v4
	v_mbcnt_lo_u32_b32 v3, v1, 0
	v_mbcnt_hi_u32_b32 v25, v2, v3
	v_cmp_ne_u64_e32 vcc, 0, v[1:2]
	v_cmp_eq_u32_e64 s[24:25], 0, v25
	s_and_b64 s[36:37], vcc, s[24:25]
	; wave barrier
	s_and_saveexec_b64 s[24:25], s[36:37]
	s_cbranch_execz .LBB299_8
; %bb.7:                                ;   in Loop: Header=BB299_4 Depth=2
	v_bcnt_u32_b32 v1, v1, 0
	v_bcnt_u32_b32 v1, v2, v1
	s_waitcnt lgkmcnt(0)
	v_add_u32_e32 v1, v7, v1
	ds_write_b32 v8, v1 offset:8
.LBB299_8:                              ;   in Loop: Header=BB299_4 Depth=2
	s_or_b64 exec, exec, s[24:25]
	v_lshrrev_b64 v[1:2], v17, v[19:20]
	v_lshlrev_b32_e32 v2, 3, v1
	v_and_b32_e32 v2, 0x7f8, v2
	v_add_u32_e32 v27, v38, v2
	v_and_b32_e32 v2, 1, v1
	v_add_co_u32_e32 v3, vcc, -1, v2
	v_addc_co_u32_e64 v4, s[24:25], 0, -1, vcc
	v_cmp_ne_u32_e32 vcc, 0, v2
	v_lshlrev_b32_e32 v12, 30, v1
	v_xor_b32_e32 v2, vcc_hi, v4
	v_xor_b32_e32 v3, vcc_lo, v3
	v_cmp_gt_i64_e32 vcc, 0, v[11:12]
	v_not_b32_e32 v4, v12
	v_ashrrev_i32_e32 v4, 31, v4
	v_and_b32_e32 v2, exec_hi, v2
	v_xor_b32_e32 v12, vcc_hi, v4
	v_and_b32_e32 v3, exec_lo, v3
	v_xor_b32_e32 v4, vcc_lo, v4
	v_and_b32_e32 v2, v2, v12
	v_lshlrev_b32_e32 v12, 29, v1
	v_and_b32_e32 v3, v3, v4
	v_cmp_gt_i64_e32 vcc, 0, v[11:12]
	v_not_b32_e32 v4, v12
	v_ashrrev_i32_e32 v4, 31, v4
	v_xor_b32_e32 v12, vcc_hi, v4
	v_xor_b32_e32 v4, vcc_lo, v4
	v_and_b32_e32 v2, v2, v12
	v_lshlrev_b32_e32 v12, 28, v1
	v_and_b32_e32 v3, v3, v4
	v_cmp_gt_i64_e32 vcc, 0, v[11:12]
	v_not_b32_e32 v4, v12
	v_ashrrev_i32_e32 v4, 31, v4
	v_xor_b32_e32 v12, vcc_hi, v4
	;; [unrolled: 8-line block ×5, first 2 shown]
	v_and_b32_e32 v2, v2, v12
	v_lshlrev_b32_e32 v12, 24, v1
	v_xor_b32_e32 v4, vcc_lo, v4
	v_cmp_gt_i64_e32 vcc, 0, v[11:12]
	v_not_b32_e32 v1, v12
	v_ashrrev_i32_e32 v1, 31, v1
	v_and_b32_e32 v3, v3, v4
	v_xor_b32_e32 v4, vcc_hi, v1
	v_xor_b32_e32 v1, vcc_lo, v1
	; wave barrier
	ds_read_b32 v26, v27 offset:8
	v_and_b32_e32 v1, v3, v1
	v_and_b32_e32 v2, v2, v4
	v_mbcnt_lo_u32_b32 v3, v1, 0
	v_mbcnt_hi_u32_b32 v12, v2, v3
	v_cmp_ne_u64_e32 vcc, 0, v[1:2]
	v_cmp_eq_u32_e64 s[24:25], 0, v12
	s_and_b64 s[36:37], vcc, s[24:25]
	; wave barrier
	s_and_saveexec_b64 s[24:25], s[36:37]
	s_cbranch_execz .LBB299_10
; %bb.9:                                ;   in Loop: Header=BB299_4 Depth=2
	v_bcnt_u32_b32 v1, v1, 0
	v_bcnt_u32_b32 v1, v2, v1
	s_waitcnt lgkmcnt(0)
	v_add_u32_e32 v1, v26, v1
	ds_write_b32 v27, v1 offset:8
.LBB299_10:                             ;   in Loop: Header=BB299_4 Depth=2
	s_or_b64 exec, exec, s[24:25]
	; wave barrier
	s_waitcnt lgkmcnt(0)
	s_barrier
	ds_read2_b64 v[1:4], v29 offset0:1 offset1:2
	s_waitcnt lgkmcnt(0)
	v_add_u32_e32 v28, v2, v1
	v_add3_u32 v4, v28, v3, v4
	s_nop 1
	v_mov_b32_dpp v28, v4 row_shr:1 row_mask:0xf bank_mask:0xf
	v_cndmask_b32_e64 v28, v28, 0, s[10:11]
	v_add_u32_e32 v4, v28, v4
	s_nop 1
	v_mov_b32_dpp v28, v4 row_shr:2 row_mask:0xf bank_mask:0xf
	v_cndmask_b32_e64 v28, 0, v28, s[12:13]
	v_add_u32_e32 v4, v4, v28
	;; [unrolled: 4-line block ×4, first 2 shown]
	s_nop 1
	v_mov_b32_dpp v28, v4 row_bcast:15 row_mask:0xf bank_mask:0xf
	v_cndmask_b32_e64 v28, v28, 0, s[18:19]
	v_add_u32_e32 v4, v4, v28
	s_nop 1
	v_mov_b32_dpp v28, v4 row_bcast:31 row_mask:0xf bank_mask:0xf
	v_cndmask_b32_e64 v28, 0, v28, s[6:7]
	v_add_u32_e32 v4, v4, v28
	s_and_saveexec_b64 s[24:25], s[20:21]
; %bb.11:                               ;   in Loop: Header=BB299_4 Depth=2
	ds_write_b32 v30, v4
; %bb.12:                               ;   in Loop: Header=BB299_4 Depth=2
	s_or_b64 exec, exec, s[24:25]
	s_waitcnt lgkmcnt(0)
	s_barrier
	s_and_saveexec_b64 s[24:25], s[0:1]
	s_cbranch_execz .LBB299_14
; %bb.13:                               ;   in Loop: Header=BB299_4 Depth=2
	ds_read_b32 v28, v31
	s_waitcnt lgkmcnt(0)
	s_nop 0
	v_mov_b32_dpp v39, v28 row_shr:1 row_mask:0xf bank_mask:0xf
	v_cndmask_b32_e64 v39, v39, 0, s[22:23]
	v_add_u32_e32 v28, v39, v28
	ds_write_b32 v31, v28
.LBB299_14:                             ;   in Loop: Header=BB299_4 Depth=2
	s_or_b64 exec, exec, s[24:25]
	v_mov_b32_e32 v28, 0
	s_waitcnt lgkmcnt(0)
	s_barrier
	s_and_saveexec_b64 s[24:25], s[2:3]
; %bb.15:                               ;   in Loop: Header=BB299_4 Depth=2
	ds_read_b32 v28, v32
; %bb.16:                               ;   in Loop: Header=BB299_4 Depth=2
	s_or_b64 exec, exec, s[24:25]
	s_waitcnt lgkmcnt(0)
	v_add_u32_e32 v4, v28, v4
	ds_bpermute_b32 v4, v37, v4
	v_cmp_lt_u32_e32 vcc, 55, v17
	s_and_b64 vcc, exec, vcc
	s_mov_b64 s[24:25], -1
	s_waitcnt lgkmcnt(0)
	v_cndmask_b32_e64 v4, v4, v28, s[8:9]
	v_cndmask_b32_e64 v39, v4, 0, s[4:5]
	v_add_u32_e32 v40, v39, v1
	v_add_u32_e32 v1, v40, v2
	;; [unrolled: 1-line block ×3, first 2 shown]
	ds_write2_b64 v29, v[39:40], v[1:2] offset0:1 offset1:2
	s_waitcnt lgkmcnt(0)
	s_barrier
	ds_read_b32 v1, v5 offset:8
	ds_read_b32 v2, v8 offset:8
	;; [unrolled: 1-line block ×3, first 2 shown]
                                        ; implicit-def: $vgpr27_vgpr28
	s_waitcnt lgkmcnt(2)
	v_add_u32_e32 v40, v1, v6
	s_waitcnt lgkmcnt(1)
	v_add3_u32 v39, v25, v7, v2
	s_waitcnt lgkmcnt(0)
	v_add3_u32 v12, v12, v26, v3
                                        ; implicit-def: $vgpr25_vgpr26
                                        ; implicit-def: $vgpr3_vgpr4
                                        ; implicit-def: $vgpr7_vgpr8
	s_cbranch_vccnz .LBB299_3
; %bb.17:                               ;   in Loop: Header=BB299_4 Depth=2
	v_lshlrev_b32_e32 v5, 3, v40
	v_lshlrev_b32_e32 v6, 3, v39
	;; [unrolled: 1-line block ×3, first 2 shown]
	s_barrier
	ds_write_b64 v5, v[23:24]
	ds_write_b64 v6, v[21:22]
	;; [unrolled: 1-line block ×3, first 2 shown]
	s_waitcnt lgkmcnt(0)
	s_barrier
	ds_read2st64_b64 v[1:4], v33 offset1:1
	ds_read_b64 v[25:26], v33 offset:1024
	s_waitcnt lgkmcnt(0)
	s_barrier
	ds_write_b64 v5, v[15:16]
	ds_write_b64 v6, v[13:14]
	;; [unrolled: 1-line block ×3, first 2 shown]
	s_waitcnt lgkmcnt(0)
	s_barrier
	ds_read2st64_b64 v[5:8], v33 offset1:1
	ds_read_b64 v[27:28], v33 offset:1024
	v_add_co_u32_e32 v17, vcc, 8, v17
	v_addc_co_u32_e32 v18, vcc, 0, v18, vcc
	s_mov_b64 s[24:25], 0
	s_waitcnt lgkmcnt(0)
	s_barrier
	s_branch .LBB299_3
.LBB299_18:
	s_waitcnt lgkmcnt(1)
	v_add_co_u32_e32 v1, vcc, v3, v7
	v_addc_co_u32_e32 v2, vcc, v4, v8, vcc
	v_add_co_u32_e32 v3, vcc, v5, v9
	v_addc_co_u32_e32 v4, vcc, v6, v10, vcc
	s_add_u32 s0, s26, s28
	s_waitcnt lgkmcnt(0)
	v_add_co_u32_e32 v5, vcc, v17, v12
	s_addc_u32 s1, s27, s29
	v_lshlrev_b32_e32 v0, 3, v0
	v_addc_co_u32_e32 v6, vcc, v18, v13, vcc
	global_store_dwordx2 v0, v[1:2], s[0:1]
	global_store_dwordx2 v0, v[3:4], s[0:1] offset:1024
	global_store_dwordx2 v0, v[5:6], s[0:1] offset:2048
	s_endpgm
	.section	.rodata,"a",@progbits
	.p2align	6, 0x0
	.amdhsa_kernel _Z17sort_pairs_kernelI22helper_blocked_stripedxLj128ELj3ELj10EEvPKT0_PS1_
		.amdhsa_group_segment_fixed_size 3072
		.amdhsa_private_segment_fixed_size 0
		.amdhsa_kernarg_size 272
		.amdhsa_user_sgpr_count 6
		.amdhsa_user_sgpr_private_segment_buffer 1
		.amdhsa_user_sgpr_dispatch_ptr 0
		.amdhsa_user_sgpr_queue_ptr 0
		.amdhsa_user_sgpr_kernarg_segment_ptr 1
		.amdhsa_user_sgpr_dispatch_id 0
		.amdhsa_user_sgpr_flat_scratch_init 0
		.amdhsa_user_sgpr_private_segment_size 0
		.amdhsa_uses_dynamic_stack 0
		.amdhsa_system_sgpr_private_segment_wavefront_offset 0
		.amdhsa_system_sgpr_workgroup_id_x 1
		.amdhsa_system_sgpr_workgroup_id_y 0
		.amdhsa_system_sgpr_workgroup_id_z 0
		.amdhsa_system_sgpr_workgroup_info 0
		.amdhsa_system_vgpr_workitem_id 2
		.amdhsa_next_free_vgpr 41
		.amdhsa_next_free_sgpr 61
		.amdhsa_reserve_vcc 1
		.amdhsa_reserve_flat_scratch 0
		.amdhsa_float_round_mode_32 0
		.amdhsa_float_round_mode_16_64 0
		.amdhsa_float_denorm_mode_32 3
		.amdhsa_float_denorm_mode_16_64 3
		.amdhsa_dx10_clamp 1
		.amdhsa_ieee_mode 1
		.amdhsa_fp16_overflow 0
		.amdhsa_exception_fp_ieee_invalid_op 0
		.amdhsa_exception_fp_denorm_src 0
		.amdhsa_exception_fp_ieee_div_zero 0
		.amdhsa_exception_fp_ieee_overflow 0
		.amdhsa_exception_fp_ieee_underflow 0
		.amdhsa_exception_fp_ieee_inexact 0
		.amdhsa_exception_int_div_zero 0
	.end_amdhsa_kernel
	.section	.text._Z17sort_pairs_kernelI22helper_blocked_stripedxLj128ELj3ELj10EEvPKT0_PS1_,"axG",@progbits,_Z17sort_pairs_kernelI22helper_blocked_stripedxLj128ELj3ELj10EEvPKT0_PS1_,comdat
.Lfunc_end299:
	.size	_Z17sort_pairs_kernelI22helper_blocked_stripedxLj128ELj3ELj10EEvPKT0_PS1_, .Lfunc_end299-_Z17sort_pairs_kernelI22helper_blocked_stripedxLj128ELj3ELj10EEvPKT0_PS1_
                                        ; -- End function
	.set _Z17sort_pairs_kernelI22helper_blocked_stripedxLj128ELj3ELj10EEvPKT0_PS1_.num_vgpr, 41
	.set _Z17sort_pairs_kernelI22helper_blocked_stripedxLj128ELj3ELj10EEvPKT0_PS1_.num_agpr, 0
	.set _Z17sort_pairs_kernelI22helper_blocked_stripedxLj128ELj3ELj10EEvPKT0_PS1_.numbered_sgpr, 38
	.set _Z17sort_pairs_kernelI22helper_blocked_stripedxLj128ELj3ELj10EEvPKT0_PS1_.num_named_barrier, 0
	.set _Z17sort_pairs_kernelI22helper_blocked_stripedxLj128ELj3ELj10EEvPKT0_PS1_.private_seg_size, 0
	.set _Z17sort_pairs_kernelI22helper_blocked_stripedxLj128ELj3ELj10EEvPKT0_PS1_.uses_vcc, 1
	.set _Z17sort_pairs_kernelI22helper_blocked_stripedxLj128ELj3ELj10EEvPKT0_PS1_.uses_flat_scratch, 0
	.set _Z17sort_pairs_kernelI22helper_blocked_stripedxLj128ELj3ELj10EEvPKT0_PS1_.has_dyn_sized_stack, 0
	.set _Z17sort_pairs_kernelI22helper_blocked_stripedxLj128ELj3ELj10EEvPKT0_PS1_.has_recursion, 0
	.set _Z17sort_pairs_kernelI22helper_blocked_stripedxLj128ELj3ELj10EEvPKT0_PS1_.has_indirect_call, 0
	.section	.AMDGPU.csdata,"",@progbits
; Kernel info:
; codeLenInByte = 2460
; TotalNumSgprs: 42
; NumVgprs: 41
; ScratchSize: 0
; MemoryBound: 0
; FloatMode: 240
; IeeeMode: 1
; LDSByteSize: 3072 bytes/workgroup (compile time only)
; SGPRBlocks: 8
; VGPRBlocks: 10
; NumSGPRsForWavesPerEU: 65
; NumVGPRsForWavesPerEU: 41
; Occupancy: 5
; WaveLimiterHint : 1
; COMPUTE_PGM_RSRC2:SCRATCH_EN: 0
; COMPUTE_PGM_RSRC2:USER_SGPR: 6
; COMPUTE_PGM_RSRC2:TRAP_HANDLER: 0
; COMPUTE_PGM_RSRC2:TGID_X_EN: 1
; COMPUTE_PGM_RSRC2:TGID_Y_EN: 0
; COMPUTE_PGM_RSRC2:TGID_Z_EN: 0
; COMPUTE_PGM_RSRC2:TIDIG_COMP_CNT: 2
	.section	.text._Z16sort_keys_kernelI22helper_blocked_stripedxLj128ELj4ELj10EEvPKT0_PS1_,"axG",@progbits,_Z16sort_keys_kernelI22helper_blocked_stripedxLj128ELj4ELj10EEvPKT0_PS1_,comdat
	.protected	_Z16sort_keys_kernelI22helper_blocked_stripedxLj128ELj4ELj10EEvPKT0_PS1_ ; -- Begin function _Z16sort_keys_kernelI22helper_blocked_stripedxLj128ELj4ELj10EEvPKT0_PS1_
	.globl	_Z16sort_keys_kernelI22helper_blocked_stripedxLj128ELj4ELj10EEvPKT0_PS1_
	.p2align	8
	.type	_Z16sort_keys_kernelI22helper_blocked_stripedxLj128ELj4ELj10EEvPKT0_PS1_,@function
_Z16sort_keys_kernelI22helper_blocked_stripedxLj128ELj4ELj10EEvPKT0_PS1_: ; @_Z16sort_keys_kernelI22helper_blocked_stripedxLj128ELj4ELj10EEvPKT0_PS1_
; %bb.0:
	s_load_dwordx4 s[36:39], s[4:5], 0x0
	s_load_dword s8, s[4:5], 0x1c
	s_lshl_b32 s40, s6, 9
	s_mov_b32 s41, 0
	s_lshl_b64 s[42:43], s[40:41], 3
	s_waitcnt lgkmcnt(0)
	s_add_u32 s0, s36, s42
	s_addc_u32 s1, s37, s43
	v_lshlrev_b32_e32 v11, 5, v0
	global_load_dwordx4 v[3:6], v11, s[0:1] offset:16
	global_load_dwordx4 v[7:10], v11, s[0:1]
	v_mbcnt_lo_u32_b32 v13, -1, 0
	v_mbcnt_hi_u32_b32 v13, -1, v13
	s_lshr_b32 s9, s8, 16
	s_and_b32 s8, s8, 0xffff
	v_mad_u32_u24 v1, v2, s9, v1
	v_and_b32_e32 v2, 15, v13
	v_mad_u32_u24 v1, v1, s8, v0
	v_cmp_eq_u32_e64 s[8:9], 0, v2
	v_cmp_lt_u32_e64 s[10:11], 1, v2
	v_cmp_lt_u32_e64 s[12:13], 3, v2
	;; [unrolled: 1-line block ×3, first 2 shown]
	v_and_b32_e32 v2, 16, v13
	v_and_b32_e32 v15, 3, v13
	v_cmp_eq_u32_e64 s[16:17], 0, v2
	v_or_b32_e32 v2, 63, v0
	v_cmp_eq_u32_e64 s[0:1], 3, v15
	v_cmp_eq_u32_e64 s[2:3], 2, v15
	;; [unrolled: 1-line block ×4, first 2 shown]
	v_and_b32_e32 v15, 64, v13
	v_cmp_eq_u32_e64 s[20:21], v0, v2
	v_subrev_co_u32_e64 v2, s[26:27], 1, v13
	v_cmp_lt_i32_e32 vcc, v2, v15
	v_cndmask_b32_e32 v2, v2, v13, vcc
	v_lshrrev_b32_e32 v14, 2, v13
	v_lshlrev_b32_e32 v27, 2, v2
	v_lshrrev_b32_e32 v2, 4, v0
	v_or_b32_e32 v16, v14, v15
	v_add_u32_e32 v14, 48, v14
	v_lshlrev_b32_e32 v26, 4, v0
	v_and_b32_e32 v28, 4, v2
	v_and_b32_e32 v2, 1, v13
	v_lshlrev_b32_e32 v12, 2, v0
	v_lshlrev_b32_e32 v22, 2, v16
	v_and_or_b32 v14, v14, 63, v15
	v_mad_i32_i24 v29, v0, -12, v26
	v_cmp_eq_u32_e64 s[30:31], 0, v2
	v_and_b32_e32 v2, 0x800, v11
	v_lshrrev_b32_e32 v1, 4, v1
	v_add_u32_e32 v23, 64, v22
	v_or_b32_e32 v24, 0x80, v22
	v_lshlrev_b32_e32 v25, 2, v14
	v_cmp_lt_u32_e64 s[18:19], 31, v13
	v_cmp_gt_u32_e64 s[22:23], 2, v0
	v_cmp_lt_u32_e64 s[24:25], 63, v0
	v_cmp_eq_u32_e64 s[28:29], 0, v0
	v_add_u32_e32 v30, -4, v28
	v_lshl_or_b32 v31, v13, 3, v2
	v_and_b32_e32 v32, 0xffffffc, v1
	s_mov_b32 s40, s41
	s_mov_b32 s36, s41
	;; [unrolled: 1-line block ×3, first 2 shown]
	v_mov_b32_e32 v14, 0
	v_add_u32_e32 v33, v29, v12
	s_mov_b32 s33, s41
	s_branch .LBB300_2
.LBB300_1:                              ;   in Loop: Header=BB300_2 Depth=1
	v_lshlrev_b32_e32 v1, 3, v38
	s_barrier
	ds_write_b64 v1, v[20:21]
	v_lshlrev_b32_e32 v1, 3, v35
	ds_write_b64 v1, v[18:19]
	v_lshlrev_b32_e32 v1, 3, v34
	;; [unrolled: 2-line block ×3, first 2 shown]
	ds_write_b64 v1, v[5:6]
	s_waitcnt lgkmcnt(0)
	s_barrier
	ds_read2st64_b64 v[7:10], v33 offset1:2
	ds_read2st64_b64 v[3:6], v33 offset0:4 offset1:6
	s_add_i32 s33, s33, 1
	s_cmp_eq_u32 s33, 10
	s_waitcnt lgkmcnt(1)
	v_xor_b32_e32 v8, 0x80000000, v8
	v_xor_b32_e32 v10, 0x80000000, v10
	s_waitcnt lgkmcnt(0)
	v_xor_b32_e32 v4, 0x80000000, v4
	v_xor_b32_e32 v6, 0x80000000, v6
	s_cbranch_scc1 .LBB300_20
.LBB300_2:                              ; =>This Loop Header: Depth=1
                                        ;     Child Loop BB300_4 Depth 2
	s_waitcnt vmcnt(0)
	v_xor_b32_e32 v1, 0x80000000, v8
	ds_bpermute_b32 v2, v22, v7
	ds_bpermute_b32 v8, v22, v1
	v_xor_b32_e32 v15, 0x80000000, v10
	ds_bpermute_b32 v10, v22, v9
	ds_bpermute_b32 v11, v22, v15
	v_xor_b32_e32 v4, 0x80000000, v4
	s_waitcnt lgkmcnt(3)
	v_cndmask_b32_e64 v2, 0, v2, s[6:7]
	ds_bpermute_b32 v12, v22, v4
	ds_bpermute_b32 v13, v22, v3
	s_waitcnt lgkmcnt(4)
	v_cndmask_b32_e64 v8, 0, v8, s[6:7]
	s_waitcnt lgkmcnt(3)
	v_cndmask_b32_e64 v2, v2, v10, s[4:5]
	ds_bpermute_b32 v10, v22, v5
	v_xor_b32_e32 v6, 0x80000000, v6
	s_waitcnt lgkmcnt(3)
	v_cndmask_b32_e64 v8, v8, v11, s[4:5]
	ds_bpermute_b32 v11, v22, v6
	s_waitcnt lgkmcnt(3)
	v_cndmask_b32_e64 v8, v8, v12, s[2:3]
	s_waitcnt lgkmcnt(2)
	v_cndmask_b32_e64 v2, v2, v13, s[2:3]
	ds_bpermute_b32 v12, v23, v7
	s_waitcnt lgkmcnt(2)
	v_cndmask_b32_e64 v10, v2, v10, s[0:1]
	ds_bpermute_b32 v2, v23, v1
	ds_bpermute_b32 v13, v23, v9
	s_waitcnt lgkmcnt(3)
	v_cndmask_b32_e64 v11, v8, v11, s[0:1]
	ds_bpermute_b32 v8, v23, v15
	s_waitcnt lgkmcnt(3)
	v_cndmask_b32_e64 v12, 0, v12, s[6:7]
	s_waitcnt lgkmcnt(2)
	v_cndmask_b32_e64 v2, 0, v2, s[6:7]
	;; [unrolled: 2-line block ×3, first 2 shown]
	ds_bpermute_b32 v13, v23, v4
	s_waitcnt lgkmcnt(1)
	v_cndmask_b32_e64 v2, v2, v8, s[4:5]
	ds_bpermute_b32 v8, v23, v3
	ds_bpermute_b32 v17, v23, v6
	ds_bpermute_b32 v16, v23, v5
	ds_bpermute_b32 v18, v24, v1
	s_waitcnt lgkmcnt(4)
	v_cndmask_b32_e64 v2, v2, v13, s[2:3]
	s_waitcnt lgkmcnt(3)
	v_cndmask_b32_e64 v8, v12, v8, s[2:3]
	;; [unrolled: 2-line block ×3, first 2 shown]
	ds_bpermute_b32 v2, v24, v7
	ds_bpermute_b32 v17, v24, v15
	s_waitcnt lgkmcnt(3)
	v_cndmask_b32_e64 v12, v8, v16, s[0:1]
	s_waitcnt lgkmcnt(2)
	v_cndmask_b32_e64 v8, 0, v18, s[6:7]
	ds_bpermute_b32 v16, v24, v9
	ds_bpermute_b32 v18, v24, v4
	s_waitcnt lgkmcnt(3)
	v_cndmask_b32_e64 v2, 0, v2, s[6:7]
	ds_bpermute_b32 v19, v24, v3
	s_waitcnt lgkmcnt(3)
	v_cndmask_b32_e64 v8, v8, v17, s[4:5]
	s_waitcnt lgkmcnt(2)
	v_cndmask_b32_e64 v2, v2, v16, s[4:5]
	;; [unrolled: 2-line block ×3, first 2 shown]
	ds_bpermute_b32 v16, v24, v5
	ds_bpermute_b32 v17, v24, v6
	;; [unrolled: 1-line block ×10, first 2 shown]
	s_waitcnt lgkmcnt(10)
	v_cndmask_b32_e64 v2, v2, v19, s[2:3]
	s_waitcnt lgkmcnt(9)
	v_cndmask_b32_e64 v1, v2, v16, s[0:1]
	;; [unrolled: 2-line block ×9, first 2 shown]
	v_mov_b32_e32 v16, 0
	s_waitcnt lgkmcnt(1)
	v_cndmask_b32_e64 v3, v3, v5, s[0:1]
	s_waitcnt lgkmcnt(0)
	v_cndmask_b32_e64 v4, v4, v6, s[0:1]
	v_mov_b32_e32 v17, 0
	s_barrier
	s_branch .LBB300_4
.LBB300_3:                              ;   in Loop: Header=BB300_4 Depth=2
	s_andn2_b64 vcc, exec, s[34:35]
	s_cbranch_vccz .LBB300_1
.LBB300_4:                              ;   Parent Loop BB300_2 Depth=1
                                        ; =>  This Inner Loop Header: Depth=2
	v_mov_b32_e32 v6, v4
	v_mov_b32_e32 v8, v2
	;; [unrolled: 1-line block ×10, first 2 shown]
	ds_write2_b64 v26, v[1:2], v[3:4] offset0:1 offset1:2
	v_lshrrev_b64 v[1:2], v16, v[20:21]
	v_mov_b32_e32 v19, v13
	v_lshlrev_b32_e32 v2, 3, v1
	v_and_b32_e32 v2, 0x7f8, v2
	v_add_u32_e32 v9, v32, v2
	v_and_b32_e32 v2, 1, v1
	v_add_co_u32_e32 v3, vcc, -1, v2
	v_addc_co_u32_e64 v4, s[34:35], 0, -1, vcc
	v_cmp_ne_u32_e32 vcc, 0, v2
	v_lshlrev_b32_e32 v15, 30, v1
	v_xor_b32_e32 v2, vcc_hi, v4
	v_xor_b32_e32 v3, vcc_lo, v3
	v_cmp_gt_i64_e32 vcc, 0, v[14:15]
	v_not_b32_e32 v4, v15
	v_ashrrev_i32_e32 v4, 31, v4
	v_and_b32_e32 v3, exec_lo, v3
	v_xor_b32_e32 v10, vcc_hi, v4
	v_xor_b32_e32 v4, vcc_lo, v4
	v_lshlrev_b32_e32 v15, 29, v1
	v_and_b32_e32 v3, v3, v4
	v_cmp_gt_i64_e32 vcc, 0, v[14:15]
	v_not_b32_e32 v4, v15
	v_and_b32_e32 v2, exec_hi, v2
	v_ashrrev_i32_e32 v4, 31, v4
	v_and_b32_e32 v2, v2, v10
	v_xor_b32_e32 v10, vcc_hi, v4
	v_xor_b32_e32 v4, vcc_lo, v4
	v_lshlrev_b32_e32 v15, 28, v1
	v_and_b32_e32 v3, v3, v4
	v_cmp_gt_i64_e32 vcc, 0, v[14:15]
	v_not_b32_e32 v4, v15
	v_ashrrev_i32_e32 v4, 31, v4
	v_and_b32_e32 v2, v2, v10
	v_xor_b32_e32 v10, vcc_hi, v4
	v_xor_b32_e32 v4, vcc_lo, v4
	v_lshlrev_b32_e32 v15, 27, v1
	v_and_b32_e32 v3, v3, v4
	v_cmp_gt_i64_e32 vcc, 0, v[14:15]
	v_not_b32_e32 v4, v15
	;; [unrolled: 8-line block ×4, first 2 shown]
	v_ashrrev_i32_e32 v4, 31, v4
	v_lshlrev_b32_e32 v15, 24, v1
	v_and_b32_e32 v2, v2, v10
	v_xor_b32_e32 v10, vcc_hi, v4
	v_xor_b32_e32 v4, vcc_lo, v4
	v_cmp_gt_i64_e32 vcc, 0, v[14:15]
	v_not_b32_e32 v1, v15
	v_ashrrev_i32_e32 v1, 31, v1
	v_and_b32_e32 v3, v3, v4
	v_xor_b32_e32 v4, vcc_hi, v1
	v_xor_b32_e32 v1, vcc_lo, v1
	v_and_b32_e32 v2, v2, v10
	v_and_b32_e32 v1, v3, v1
	;; [unrolled: 1-line block ×3, first 2 shown]
	v_mbcnt_lo_u32_b32 v3, v1, 0
	v_mbcnt_hi_u32_b32 v10, v2, v3
	v_cmp_ne_u64_e32 vcc, 0, v[1:2]
	v_cmp_eq_u32_e64 s[34:35], 0, v10
	v_mov_b32_e32 v18, v12
	s_and_b64 s[44:45], vcc, s[34:35]
	s_waitcnt lgkmcnt(0)
	s_barrier
	; wave barrier
	s_and_saveexec_b64 s[34:35], s[44:45]
; %bb.5:                                ;   in Loop: Header=BB300_4 Depth=2
	v_bcnt_u32_b32 v1, v1, 0
	v_bcnt_u32_b32 v1, v2, v1
	ds_write_b32 v9, v1 offset:8
; %bb.6:                                ;   in Loop: Header=BB300_4 Depth=2
	s_or_b64 exec, exec, s[34:35]
	v_lshrrev_b64 v[1:2], v16, v[18:19]
	v_lshlrev_b32_e32 v2, 3, v1
	v_and_b32_e32 v2, 0x7f8, v2
	v_add_u32_e32 v12, v32, v2
	v_and_b32_e32 v2, 1, v1
	v_add_co_u32_e32 v3, vcc, -1, v2
	v_addc_co_u32_e64 v4, s[34:35], 0, -1, vcc
	v_cmp_ne_u32_e32 vcc, 0, v2
	v_lshlrev_b32_e32 v15, 30, v1
	v_xor_b32_e32 v2, vcc_hi, v4
	v_xor_b32_e32 v3, vcc_lo, v3
	v_cmp_gt_i64_e32 vcc, 0, v[14:15]
	v_not_b32_e32 v4, v15
	v_ashrrev_i32_e32 v4, 31, v4
	v_and_b32_e32 v3, exec_lo, v3
	v_xor_b32_e32 v13, vcc_hi, v4
	v_xor_b32_e32 v4, vcc_lo, v4
	v_lshlrev_b32_e32 v15, 29, v1
	v_and_b32_e32 v3, v3, v4
	v_cmp_gt_i64_e32 vcc, 0, v[14:15]
	v_not_b32_e32 v4, v15
	v_and_b32_e32 v2, exec_hi, v2
	v_ashrrev_i32_e32 v4, 31, v4
	v_and_b32_e32 v2, v2, v13
	v_xor_b32_e32 v13, vcc_hi, v4
	v_xor_b32_e32 v4, vcc_lo, v4
	v_lshlrev_b32_e32 v15, 28, v1
	v_and_b32_e32 v3, v3, v4
	v_cmp_gt_i64_e32 vcc, 0, v[14:15]
	v_not_b32_e32 v4, v15
	v_ashrrev_i32_e32 v4, 31, v4
	v_and_b32_e32 v2, v2, v13
	v_xor_b32_e32 v13, vcc_hi, v4
	v_xor_b32_e32 v4, vcc_lo, v4
	v_lshlrev_b32_e32 v15, 27, v1
	v_and_b32_e32 v3, v3, v4
	v_cmp_gt_i64_e32 vcc, 0, v[14:15]
	v_not_b32_e32 v4, v15
	;; [unrolled: 8-line block ×4, first 2 shown]
	v_ashrrev_i32_e32 v4, 31, v4
	v_lshlrev_b32_e32 v15, 24, v1
	v_and_b32_e32 v2, v2, v13
	v_xor_b32_e32 v13, vcc_hi, v4
	v_xor_b32_e32 v4, vcc_lo, v4
	v_cmp_gt_i64_e32 vcc, 0, v[14:15]
	v_not_b32_e32 v1, v15
	v_ashrrev_i32_e32 v1, 31, v1
	v_and_b32_e32 v3, v3, v4
	v_xor_b32_e32 v4, vcc_hi, v1
	v_xor_b32_e32 v1, vcc_lo, v1
	; wave barrier
	ds_read_b32 v11, v12 offset:8
	v_and_b32_e32 v2, v2, v13
	v_and_b32_e32 v1, v3, v1
	;; [unrolled: 1-line block ×3, first 2 shown]
	v_mbcnt_lo_u32_b32 v3, v1, 0
	v_mbcnt_hi_u32_b32 v13, v2, v3
	v_cmp_ne_u64_e32 vcc, 0, v[1:2]
	v_cmp_eq_u32_e64 s[34:35], 0, v13
	s_and_b64 s[44:45], vcc, s[34:35]
	; wave barrier
	s_and_saveexec_b64 s[34:35], s[44:45]
	s_cbranch_execz .LBB300_8
; %bb.7:                                ;   in Loop: Header=BB300_4 Depth=2
	v_bcnt_u32_b32 v1, v1, 0
	v_bcnt_u32_b32 v1, v2, v1
	s_waitcnt lgkmcnt(0)
	v_add_u32_e32 v1, v11, v1
	ds_write_b32 v12, v1 offset:8
.LBB300_8:                              ;   in Loop: Header=BB300_4 Depth=2
	s_or_b64 exec, exec, s[34:35]
	v_lshrrev_b64 v[1:2], v16, v[7:8]
	v_lshlrev_b32_e32 v2, 3, v1
	v_and_b32_e32 v2, 0x7f8, v2
	v_add_u32_e32 v35, v32, v2
	v_and_b32_e32 v2, 1, v1
	v_add_co_u32_e32 v3, vcc, -1, v2
	v_addc_co_u32_e64 v4, s[34:35], 0, -1, vcc
	v_cmp_ne_u32_e32 vcc, 0, v2
	v_lshlrev_b32_e32 v15, 30, v1
	v_xor_b32_e32 v2, vcc_hi, v4
	v_xor_b32_e32 v3, vcc_lo, v3
	v_cmp_gt_i64_e32 vcc, 0, v[14:15]
	v_not_b32_e32 v4, v15
	v_ashrrev_i32_e32 v4, 31, v4
	v_and_b32_e32 v2, exec_hi, v2
	v_xor_b32_e32 v15, vcc_hi, v4
	v_and_b32_e32 v3, exec_lo, v3
	v_xor_b32_e32 v4, vcc_lo, v4
	v_and_b32_e32 v2, v2, v15
	v_lshlrev_b32_e32 v15, 29, v1
	v_and_b32_e32 v3, v3, v4
	v_cmp_gt_i64_e32 vcc, 0, v[14:15]
	v_not_b32_e32 v4, v15
	v_ashrrev_i32_e32 v4, 31, v4
	v_xor_b32_e32 v15, vcc_hi, v4
	v_xor_b32_e32 v4, vcc_lo, v4
	v_and_b32_e32 v2, v2, v15
	v_lshlrev_b32_e32 v15, 28, v1
	v_and_b32_e32 v3, v3, v4
	v_cmp_gt_i64_e32 vcc, 0, v[14:15]
	v_not_b32_e32 v4, v15
	v_ashrrev_i32_e32 v4, 31, v4
	v_xor_b32_e32 v15, vcc_hi, v4
	;; [unrolled: 8-line block ×5, first 2 shown]
	v_and_b32_e32 v2, v2, v15
	v_lshlrev_b32_e32 v15, 24, v1
	v_xor_b32_e32 v4, vcc_lo, v4
	v_cmp_gt_i64_e32 vcc, 0, v[14:15]
	v_not_b32_e32 v1, v15
	v_ashrrev_i32_e32 v1, 31, v1
	v_and_b32_e32 v3, v3, v4
	v_xor_b32_e32 v4, vcc_hi, v1
	v_xor_b32_e32 v1, vcc_lo, v1
	; wave barrier
	ds_read_b32 v34, v35 offset:8
	v_and_b32_e32 v1, v3, v1
	v_and_b32_e32 v2, v2, v4
	v_mbcnt_lo_u32_b32 v3, v1, 0
	v_mbcnt_hi_u32_b32 v36, v2, v3
	v_cmp_ne_u64_e32 vcc, 0, v[1:2]
	v_cmp_eq_u32_e64 s[34:35], 0, v36
	s_and_b64 s[44:45], vcc, s[34:35]
	; wave barrier
	s_and_saveexec_b64 s[34:35], s[44:45]
	s_cbranch_execz .LBB300_10
; %bb.9:                                ;   in Loop: Header=BB300_4 Depth=2
	v_bcnt_u32_b32 v1, v1, 0
	v_bcnt_u32_b32 v1, v2, v1
	s_waitcnt lgkmcnt(0)
	v_add_u32_e32 v1, v34, v1
	ds_write_b32 v35, v1 offset:8
.LBB300_10:                             ;   in Loop: Header=BB300_4 Depth=2
	s_or_b64 exec, exec, s[34:35]
	v_lshrrev_b64 v[1:2], v16, v[5:6]
	v_lshlrev_b32_e32 v2, 3, v1
	v_and_b32_e32 v2, 0x7f8, v2
	v_add_u32_e32 v38, v32, v2
	v_and_b32_e32 v2, 1, v1
	v_add_co_u32_e32 v3, vcc, -1, v2
	v_addc_co_u32_e64 v4, s[34:35], 0, -1, vcc
	v_cmp_ne_u32_e32 vcc, 0, v2
	v_lshlrev_b32_e32 v15, 30, v1
	v_xor_b32_e32 v2, vcc_hi, v4
	v_xor_b32_e32 v3, vcc_lo, v3
	v_cmp_gt_i64_e32 vcc, 0, v[14:15]
	v_not_b32_e32 v4, v15
	v_ashrrev_i32_e32 v4, 31, v4
	v_and_b32_e32 v2, exec_hi, v2
	v_xor_b32_e32 v15, vcc_hi, v4
	v_and_b32_e32 v3, exec_lo, v3
	v_xor_b32_e32 v4, vcc_lo, v4
	v_and_b32_e32 v2, v2, v15
	v_lshlrev_b32_e32 v15, 29, v1
	v_and_b32_e32 v3, v3, v4
	v_cmp_gt_i64_e32 vcc, 0, v[14:15]
	v_not_b32_e32 v4, v15
	v_ashrrev_i32_e32 v4, 31, v4
	v_xor_b32_e32 v15, vcc_hi, v4
	v_xor_b32_e32 v4, vcc_lo, v4
	v_and_b32_e32 v2, v2, v15
	v_lshlrev_b32_e32 v15, 28, v1
	v_and_b32_e32 v3, v3, v4
	v_cmp_gt_i64_e32 vcc, 0, v[14:15]
	v_not_b32_e32 v4, v15
	v_ashrrev_i32_e32 v4, 31, v4
	v_xor_b32_e32 v15, vcc_hi, v4
	;; [unrolled: 8-line block ×5, first 2 shown]
	v_and_b32_e32 v2, v2, v15
	v_lshlrev_b32_e32 v15, 24, v1
	v_xor_b32_e32 v4, vcc_lo, v4
	v_cmp_gt_i64_e32 vcc, 0, v[14:15]
	v_not_b32_e32 v1, v15
	v_ashrrev_i32_e32 v1, 31, v1
	v_and_b32_e32 v3, v3, v4
	v_xor_b32_e32 v4, vcc_hi, v1
	v_xor_b32_e32 v1, vcc_lo, v1
	; wave barrier
	ds_read_b32 v37, v38 offset:8
	v_and_b32_e32 v1, v3, v1
	v_and_b32_e32 v2, v2, v4
	v_mbcnt_lo_u32_b32 v3, v1, 0
	v_mbcnt_hi_u32_b32 v15, v2, v3
	v_cmp_ne_u64_e32 vcc, 0, v[1:2]
	v_cmp_eq_u32_e64 s[34:35], 0, v15
	s_and_b64 s[44:45], vcc, s[34:35]
	; wave barrier
	s_and_saveexec_b64 s[34:35], s[44:45]
	s_cbranch_execz .LBB300_12
; %bb.11:                               ;   in Loop: Header=BB300_4 Depth=2
	v_bcnt_u32_b32 v1, v1, 0
	v_bcnt_u32_b32 v1, v2, v1
	s_waitcnt lgkmcnt(0)
	v_add_u32_e32 v1, v37, v1
	ds_write_b32 v38, v1 offset:8
.LBB300_12:                             ;   in Loop: Header=BB300_4 Depth=2
	s_or_b64 exec, exec, s[34:35]
	; wave barrier
	s_waitcnt lgkmcnt(0)
	s_barrier
	ds_read2_b64 v[1:4], v26 offset0:1 offset1:2
	s_waitcnt lgkmcnt(0)
	v_add_u32_e32 v39, v2, v1
	v_add3_u32 v4, v39, v3, v4
	s_nop 1
	v_mov_b32_dpp v39, v4 row_shr:1 row_mask:0xf bank_mask:0xf
	v_cndmask_b32_e64 v39, v39, 0, s[8:9]
	v_add_u32_e32 v4, v39, v4
	s_nop 1
	v_mov_b32_dpp v39, v4 row_shr:2 row_mask:0xf bank_mask:0xf
	v_cndmask_b32_e64 v39, 0, v39, s[10:11]
	v_add_u32_e32 v4, v4, v39
	;; [unrolled: 4-line block ×4, first 2 shown]
	s_nop 1
	v_mov_b32_dpp v39, v4 row_bcast:15 row_mask:0xf bank_mask:0xf
	v_cndmask_b32_e64 v39, v39, 0, s[16:17]
	v_add_u32_e32 v4, v4, v39
	s_nop 1
	v_mov_b32_dpp v39, v4 row_bcast:31 row_mask:0xf bank_mask:0xf
	v_cndmask_b32_e64 v39, 0, v39, s[18:19]
	v_add_u32_e32 v4, v4, v39
	s_and_saveexec_b64 s[34:35], s[20:21]
; %bb.13:                               ;   in Loop: Header=BB300_4 Depth=2
	ds_write_b32 v28, v4
; %bb.14:                               ;   in Loop: Header=BB300_4 Depth=2
	s_or_b64 exec, exec, s[34:35]
	s_waitcnt lgkmcnt(0)
	s_barrier
	s_and_saveexec_b64 s[34:35], s[22:23]
	s_cbranch_execz .LBB300_16
; %bb.15:                               ;   in Loop: Header=BB300_4 Depth=2
	ds_read_b32 v39, v29
	s_waitcnt lgkmcnt(0)
	s_nop 0
	v_mov_b32_dpp v40, v39 row_shr:1 row_mask:0xf bank_mask:0xf
	v_cndmask_b32_e64 v40, v40, 0, s[30:31]
	v_add_u32_e32 v39, v40, v39
	ds_write_b32 v29, v39
.LBB300_16:                             ;   in Loop: Header=BB300_4 Depth=2
	s_or_b64 exec, exec, s[34:35]
	v_mov_b32_e32 v39, 0
	s_waitcnt lgkmcnt(0)
	s_barrier
	s_and_saveexec_b64 s[34:35], s[24:25]
; %bb.17:                               ;   in Loop: Header=BB300_4 Depth=2
	ds_read_b32 v39, v30
; %bb.18:                               ;   in Loop: Header=BB300_4 Depth=2
	s_or_b64 exec, exec, s[34:35]
	s_waitcnt lgkmcnt(0)
	v_add_u32_e32 v4, v39, v4
	ds_bpermute_b32 v4, v27, v4
	v_cmp_lt_u32_e32 vcc, 55, v16
	s_and_b64 vcc, exec, vcc
	s_mov_b64 s[34:35], -1
	s_waitcnt lgkmcnt(0)
	v_cndmask_b32_e64 v4, v4, v39, s[26:27]
	v_cndmask_b32_e64 v39, v4, 0, s[28:29]
	v_add_u32_e32 v40, v39, v1
	v_add_u32_e32 v1, v40, v2
	;; [unrolled: 1-line block ×3, first 2 shown]
	ds_write2_b64 v26, v[39:40], v[1:2] offset0:1 offset1:2
	s_waitcnt lgkmcnt(0)
	s_barrier
	ds_read_b32 v1, v9 offset:8
	ds_read_b32 v2, v12 offset:8
	;; [unrolled: 1-line block ×4, first 2 shown]
	s_waitcnt lgkmcnt(3)
	v_add_u32_e32 v38, v1, v10
	s_waitcnt lgkmcnt(2)
	v_add3_u32 v35, v13, v11, v2
	s_waitcnt lgkmcnt(1)
	v_add3_u32 v34, v36, v34, v3
	;; [unrolled: 2-line block ×3, first 2 shown]
                                        ; implicit-def: $vgpr3_vgpr4
                                        ; implicit-def: $vgpr12_vgpr13
	s_cbranch_vccnz .LBB300_3
; %bb.19:                               ;   in Loop: Header=BB300_4 Depth=2
	v_lshlrev_b32_e32 v1, 3, v38
	s_barrier
	ds_write_b64 v1, v[20:21]
	v_lshlrev_b32_e32 v1, 3, v35
	ds_write_b64 v1, v[18:19]
	v_lshlrev_b32_e32 v1, 3, v34
	;; [unrolled: 2-line block ×3, first 2 shown]
	ds_write_b64 v1, v[5:6]
	s_waitcnt lgkmcnt(0)
	s_barrier
	ds_read2st64_b64 v[10:13], v31 offset1:1
	ds_read2st64_b64 v[1:4], v31 offset0:2 offset1:3
	v_add_co_u32_e32 v16, vcc, 8, v16
	v_addc_co_u32_e32 v17, vcc, 0, v17, vcc
	s_mov_b64 s[34:35], 0
	s_waitcnt lgkmcnt(0)
	s_barrier
	s_branch .LBB300_3
.LBB300_20:
	s_add_u32 s0, s38, s42
	s_addc_u32 s1, s39, s43
	v_lshlrev_b32_e32 v0, 3, v0
	global_store_dwordx2 v0, v[7:8], s[0:1]
	global_store_dwordx2 v0, v[9:10], s[0:1] offset:1024
	global_store_dwordx2 v0, v[3:4], s[0:1] offset:2048
	;; [unrolled: 1-line block ×3, first 2 shown]
	s_endpgm
	.section	.rodata,"a",@progbits
	.p2align	6, 0x0
	.amdhsa_kernel _Z16sort_keys_kernelI22helper_blocked_stripedxLj128ELj4ELj10EEvPKT0_PS1_
		.amdhsa_group_segment_fixed_size 4096
		.amdhsa_private_segment_fixed_size 0
		.amdhsa_kernarg_size 272
		.amdhsa_user_sgpr_count 6
		.amdhsa_user_sgpr_private_segment_buffer 1
		.amdhsa_user_sgpr_dispatch_ptr 0
		.amdhsa_user_sgpr_queue_ptr 0
		.amdhsa_user_sgpr_kernarg_segment_ptr 1
		.amdhsa_user_sgpr_dispatch_id 0
		.amdhsa_user_sgpr_flat_scratch_init 0
		.amdhsa_user_sgpr_private_segment_size 0
		.amdhsa_uses_dynamic_stack 0
		.amdhsa_system_sgpr_private_segment_wavefront_offset 0
		.amdhsa_system_sgpr_workgroup_id_x 1
		.amdhsa_system_sgpr_workgroup_id_y 0
		.amdhsa_system_sgpr_workgroup_id_z 0
		.amdhsa_system_sgpr_workgroup_info 0
		.amdhsa_system_vgpr_workitem_id 2
		.amdhsa_next_free_vgpr 41
		.amdhsa_next_free_sgpr 61
		.amdhsa_reserve_vcc 1
		.amdhsa_reserve_flat_scratch 0
		.amdhsa_float_round_mode_32 0
		.amdhsa_float_round_mode_16_64 0
		.amdhsa_float_denorm_mode_32 3
		.amdhsa_float_denorm_mode_16_64 3
		.amdhsa_dx10_clamp 1
		.amdhsa_ieee_mode 1
		.amdhsa_fp16_overflow 0
		.amdhsa_exception_fp_ieee_invalid_op 0
		.amdhsa_exception_fp_denorm_src 0
		.amdhsa_exception_fp_ieee_div_zero 0
		.amdhsa_exception_fp_ieee_overflow 0
		.amdhsa_exception_fp_ieee_underflow 0
		.amdhsa_exception_fp_ieee_inexact 0
		.amdhsa_exception_int_div_zero 0
	.end_amdhsa_kernel
	.section	.text._Z16sort_keys_kernelI22helper_blocked_stripedxLj128ELj4ELj10EEvPKT0_PS1_,"axG",@progbits,_Z16sort_keys_kernelI22helper_blocked_stripedxLj128ELj4ELj10EEvPKT0_PS1_,comdat
.Lfunc_end300:
	.size	_Z16sort_keys_kernelI22helper_blocked_stripedxLj128ELj4ELj10EEvPKT0_PS1_, .Lfunc_end300-_Z16sort_keys_kernelI22helper_blocked_stripedxLj128ELj4ELj10EEvPKT0_PS1_
                                        ; -- End function
	.set _Z16sort_keys_kernelI22helper_blocked_stripedxLj128ELj4ELj10EEvPKT0_PS1_.num_vgpr, 41
	.set _Z16sort_keys_kernelI22helper_blocked_stripedxLj128ELj4ELj10EEvPKT0_PS1_.num_agpr, 0
	.set _Z16sort_keys_kernelI22helper_blocked_stripedxLj128ELj4ELj10EEvPKT0_PS1_.numbered_sgpr, 46
	.set _Z16sort_keys_kernelI22helper_blocked_stripedxLj128ELj4ELj10EEvPKT0_PS1_.num_named_barrier, 0
	.set _Z16sort_keys_kernelI22helper_blocked_stripedxLj128ELj4ELj10EEvPKT0_PS1_.private_seg_size, 0
	.set _Z16sort_keys_kernelI22helper_blocked_stripedxLj128ELj4ELj10EEvPKT0_PS1_.uses_vcc, 1
	.set _Z16sort_keys_kernelI22helper_blocked_stripedxLj128ELj4ELj10EEvPKT0_PS1_.uses_flat_scratch, 0
	.set _Z16sort_keys_kernelI22helper_blocked_stripedxLj128ELj4ELj10EEvPKT0_PS1_.has_dyn_sized_stack, 0
	.set _Z16sort_keys_kernelI22helper_blocked_stripedxLj128ELj4ELj10EEvPKT0_PS1_.has_recursion, 0
	.set _Z16sort_keys_kernelI22helper_blocked_stripedxLj128ELj4ELj10EEvPKT0_PS1_.has_indirect_call, 0
	.section	.AMDGPU.csdata,"",@progbits
; Kernel info:
; codeLenInByte = 3324
; TotalNumSgprs: 50
; NumVgprs: 41
; ScratchSize: 0
; MemoryBound: 0
; FloatMode: 240
; IeeeMode: 1
; LDSByteSize: 4096 bytes/workgroup (compile time only)
; SGPRBlocks: 8
; VGPRBlocks: 10
; NumSGPRsForWavesPerEU: 65
; NumVGPRsForWavesPerEU: 41
; Occupancy: 5
; WaveLimiterHint : 1
; COMPUTE_PGM_RSRC2:SCRATCH_EN: 0
; COMPUTE_PGM_RSRC2:USER_SGPR: 6
; COMPUTE_PGM_RSRC2:TRAP_HANDLER: 0
; COMPUTE_PGM_RSRC2:TGID_X_EN: 1
; COMPUTE_PGM_RSRC2:TGID_Y_EN: 0
; COMPUTE_PGM_RSRC2:TGID_Z_EN: 0
; COMPUTE_PGM_RSRC2:TIDIG_COMP_CNT: 2
	.section	.text._Z17sort_pairs_kernelI22helper_blocked_stripedxLj128ELj4ELj10EEvPKT0_PS1_,"axG",@progbits,_Z17sort_pairs_kernelI22helper_blocked_stripedxLj128ELj4ELj10EEvPKT0_PS1_,comdat
	.protected	_Z17sort_pairs_kernelI22helper_blocked_stripedxLj128ELj4ELj10EEvPKT0_PS1_ ; -- Begin function _Z17sort_pairs_kernelI22helper_blocked_stripedxLj128ELj4ELj10EEvPKT0_PS1_
	.globl	_Z17sort_pairs_kernelI22helper_blocked_stripedxLj128ELj4ELj10EEvPKT0_PS1_
	.p2align	8
	.type	_Z17sort_pairs_kernelI22helper_blocked_stripedxLj128ELj4ELj10EEvPKT0_PS1_,@function
_Z17sort_pairs_kernelI22helper_blocked_stripedxLj128ELj4ELj10EEvPKT0_PS1_: ; @_Z17sort_pairs_kernelI22helper_blocked_stripedxLj128ELj4ELj10EEvPKT0_PS1_
; %bb.0:
	s_load_dwordx4 s[36:39], s[4:5], 0x0
	s_load_dword s34, s[4:5], 0x1c
	s_lshl_b32 s42, s6, 9
	s_mov_b32 s43, 0
	s_lshl_b64 s[40:41], s[42:43], 3
	s_waitcnt lgkmcnt(0)
	s_add_u32 s0, s36, s40
	s_addc_u32 s1, s37, s41
	v_lshlrev_b32_e32 v3, 5, v0
	global_load_dwordx4 v[19:22], v3, s[0:1]
	global_load_dwordx4 v[7:10], v3, s[0:1] offset:16
	v_mbcnt_lo_u32_b32 v4, -1, 0
	v_mbcnt_hi_u32_b32 v4, -1, v4
	v_or_b32_e32 v6, 63, v0
	v_and_b32_e32 v14, 64, v4
	v_cmp_eq_u32_e64 s[8:9], v0, v6
	v_subrev_co_u32_e64 v6, s[10:11], 1, v4
	v_and_b32_e32 v15, 15, v4
	v_cmp_lt_i32_e32 vcc, v6, v14
	v_and_b32_e32 v16, 16, v4
	v_cmp_eq_u32_e64 s[20:21], 0, v15
	v_cmp_lt_u32_e64 s[22:23], 1, v15
	v_cmp_lt_u32_e64 s[24:25], 3, v15
	v_cmp_lt_u32_e64 s[26:27], 7, v15
	v_cndmask_b32_e32 v6, v6, v4, vcc
	v_cmp_eq_u32_e64 s[28:29], 0, v16
	v_lshrrev_b32_e32 v11, 4, v0
	v_lshrrev_b32_e32 v12, 2, v4
	v_and_b32_e32 v13, 3, v4
	v_and_b32_e32 v38, 4, v11
	;; [unrolled: 1-line block ×3, first 2 shown]
	s_lshr_b32 s35, s34, 16
	v_and_b32_e32 v3, 0x800, v3
	v_cmp_eq_u32_e64 s[12:13], 3, v13
	v_cmp_eq_u32_e64 s[14:15], 2, v13
	;; [unrolled: 1-line block ×4, first 2 shown]
	v_or_b32_e32 v13, v12, v14
	v_add_u32_e32 v12, 48, v12
	v_cmp_eq_u32_e64 s[30:31], 0, v11
	s_and_b32 s34, s34, 0xffff
	v_mad_u32_u24 v1, v2, s35, v1
	v_lshlrev_b32_e32 v37, 4, v0
	v_lshl_or_b32 v41, v4, 3, v3
	v_and_or_b32 v3, v12, 63, v14
	v_mad_u32_u24 v1, v1, s34, v0
	v_lshlrev_b32_e32 v5, 2, v0
	v_mad_i32_i24 v39, v0, -12, v37
	v_lshlrev_b32_e32 v43, 2, v13
	v_lshrrev_b32_e32 v1, 4, v1
	v_cmp_gt_u32_e64 s[0:1], 2, v0
	v_cmp_lt_u32_e64 s[2:3], 63, v0
	v_cmp_eq_u32_e64 s[4:5], 0, v0
	s_mov_b32 s36, s43
	s_mov_b32 s37, s43
	;; [unrolled: 1-line block ×3, first 2 shown]
	v_cmp_lt_u32_e64 s[6:7], 31, v4
	s_mov_b32 s42, s43
	v_add_u32_e32 v40, -4, v38
	v_add_u32_e32 v42, v39, v5
	v_lshlrev_b32_e32 v44, 2, v6
	v_add_u32_e32 v45, 64, v43
	v_lshlrev_b32_e32 v46, 2, v3
	v_or_b32_e32 v47, 0x80, v43
	v_and_b32_e32 v48, 0xffffffc, v1
	v_mov_b32_e32 v23, 0
	s_waitcnt vmcnt(1)
	v_add_co_u32_e32 v15, vcc, 1, v19
	v_addc_co_u32_e32 v16, vcc, 0, v20, vcc
	v_add_co_u32_e32 v17, vcc, 1, v21
	v_addc_co_u32_e32 v18, vcc, 0, v22, vcc
	s_waitcnt vmcnt(0)
	v_add_co_u32_e32 v11, vcc, 1, v7
	v_addc_co_u32_e32 v12, vcc, 0, v8, vcc
	v_add_co_u32_e32 v13, vcc, 1, v9
	v_addc_co_u32_e32 v14, vcc, 0, v10, vcc
	s_branch .LBB301_2
.LBB301_1:                              ;   in Loop: Header=BB301_2 Depth=1
	v_lshlrev_b32_e32 v1, 3, v51
	v_lshlrev_b32_e32 v2, 3, v50
	;; [unrolled: 1-line block ×4, first 2 shown]
	s_barrier
	ds_write_b64 v1, v[35:36]
	ds_write_b64 v2, v[33:34]
	ds_write_b64 v3, v[31:32]
	ds_write_b64 v4, v[29:30]
	s_waitcnt lgkmcnt(0)
	s_barrier
	ds_read2st64_b64 v[19:22], v42 offset1:2
	ds_read2st64_b64 v[7:10], v42 offset0:4 offset1:6
	s_waitcnt lgkmcnt(0)
	s_barrier
	ds_write_b64 v1, v[25:26]
	ds_write_b64 v2, v[17:18]
	;; [unrolled: 1-line block ×4, first 2 shown]
	s_waitcnt lgkmcnt(0)
	s_barrier
	ds_read2st64_b64 v[15:18], v42 offset1:2
	ds_read2st64_b64 v[11:14], v42 offset0:4 offset1:6
	s_add_i32 s33, s33, 1
	v_xor_b32_e32 v20, 0x80000000, v20
	v_xor_b32_e32 v22, 0x80000000, v22
	;; [unrolled: 1-line block ×3, first 2 shown]
	s_cmp_lg_u32 s33, 10
	v_xor_b32_e32 v10, 0x80000000, v10
	s_cbranch_scc0 .LBB301_20
.LBB301_2:                              ; =>This Loop Header: Depth=1
                                        ;     Child Loop BB301_4 Depth 2
	v_xor_b32_e32 v6, 0x80000000, v20
	ds_bpermute_b32 v1, v43, v19
	ds_bpermute_b32 v2, v43, v6
	v_xor_b32_e32 v20, 0x80000000, v22
	ds_bpermute_b32 v3, v43, v21
	ds_bpermute_b32 v4, v43, v20
	s_waitcnt lgkmcnt(3)
	v_cndmask_b32_e64 v1, 0, v1, s[18:19]
	s_waitcnt lgkmcnt(2)
	v_cndmask_b32_e64 v2, 0, v2, s[18:19]
	v_xor_b32_e32 v8, 0x80000000, v8
	s_waitcnt lgkmcnt(1)
	v_cndmask_b32_e64 v1, v1, v3, s[16:17]
	s_waitcnt lgkmcnt(0)
	v_cndmask_b32_e64 v2, v2, v4, s[16:17]
	ds_bpermute_b32 v3, v43, v8
	ds_bpermute_b32 v4, v43, v7
	v_xor_b32_e32 v10, 0x80000000, v10
	ds_bpermute_b32 v5, v43, v9
	ds_bpermute_b32 v22, v43, v10
	s_waitcnt lgkmcnt(3)
	v_cndmask_b32_e64 v2, v2, v3, s[14:15]
	ds_bpermute_b32 v3, v45, v6
	s_waitcnt lgkmcnt(3)
	v_cndmask_b32_e64 v1, v1, v4, s[14:15]
	;; [unrolled: 3-line block ×3, first 2 shown]
	s_waitcnt lgkmcnt(2)
	v_cndmask_b32_e64 v2, v2, v22, s[12:13]
	ds_bpermute_b32 v5, v45, v21
	ds_bpermute_b32 v22, v45, v20
	;; [unrolled: 1-line block ×4, first 2 shown]
	s_waitcnt lgkmcnt(5)
	v_cndmask_b32_e64 v3, 0, v3, s[18:19]
	s_waitcnt lgkmcnt(4)
	v_cndmask_b32_e64 v4, 0, v4, s[18:19]
	;; [unrolled: 2-line block ×5, first 2 shown]
	ds_bpermute_b32 v3, v45, v9
	s_waitcnt lgkmcnt(1)
	v_cndmask_b32_e64 v4, v4, v25, s[14:15]
	ds_bpermute_b32 v22, v45, v10
	ds_bpermute_b32 v24, v47, v6
	;; [unrolled: 1-line block ×4, first 2 shown]
	s_waitcnt lgkmcnt(4)
	v_cndmask_b32_e64 v3, v4, v3, s[12:13]
	s_waitcnt lgkmcnt(3)
	v_cndmask_b32_e64 v4, v5, v22, s[12:13]
	;; [unrolled: 2-line block ×4, first 2 shown]
	ds_bpermute_b32 v24, v47, v20
	s_waitcnt lgkmcnt(1)
	v_cndmask_b32_e64 v22, v22, v26, s[16:17]
	ds_bpermute_b32 v25, v47, v8
	ds_bpermute_b32 v26, v47, v7
	;; [unrolled: 1-line block ×3, first 2 shown]
	s_waitcnt lgkmcnt(3)
	v_cndmask_b32_e64 v5, v5, v24, s[16:17]
	ds_bpermute_b32 v8, v46, v8
	s_waitcnt lgkmcnt(3)
	v_cndmask_b32_e64 v25, v5, v25, s[14:15]
	s_waitcnt lgkmcnt(2)
	v_cndmask_b32_e64 v5, v22, v26, s[14:15]
	ds_bpermute_b32 v22, v46, v6
	ds_bpermute_b32 v19, v46, v19
	;; [unrolled: 1-line block ×5, first 2 shown]
	s_waitcnt lgkmcnt(4)
	v_cndmask_b32_e64 v22, 0, v22, s[18:19]
	v_cndmask_b32_e64 v20, v22, v20, s[16:17]
	ds_bpermute_b32 v24, v47, v10
	v_cndmask_b32_e64 v8, v20, v8, s[14:15]
	ds_bpermute_b32 v9, v46, v9
	ds_bpermute_b32 v10, v46, v10
	;; [unrolled: 1-line block ×3, first 2 shown]
	s_waitcnt lgkmcnt(7)
	v_cndmask_b32_e64 v19, 0, v19, s[18:19]
	s_waitcnt lgkmcnt(6)
	v_cndmask_b32_e64 v19, v19, v21, s[16:17]
	;; [unrolled: 2-line block ×3, first 2 shown]
	ds_bpermute_b32 v19, v43, v16
	s_waitcnt lgkmcnt(3)
	v_cndmask_b32_e64 v7, v7, v9, s[12:13]
	s_waitcnt lgkmcnt(2)
	v_cndmask_b32_e64 v8, v8, v10, s[12:13]
	;; [unrolled: 2-line block ×3, first 2 shown]
	ds_bpermute_b32 v10, v43, v18
	ds_bpermute_b32 v20, v43, v17
	;; [unrolled: 1-line block ×3, first 2 shown]
	s_waitcnt lgkmcnt(3)
	v_cndmask_b32_e64 v19, 0, v19, s[18:19]
	ds_bpermute_b32 v22, v43, v12
	s_waitcnt lgkmcnt(3)
	v_cndmask_b32_e64 v10, v19, v10, s[16:17]
	ds_bpermute_b32 v19, v43, v14
	s_waitcnt lgkmcnt(3)
	v_cndmask_b32_e64 v9, v9, v20, s[16:17]
	s_waitcnt lgkmcnt(2)
	v_cndmask_b32_e64 v9, v9, v21, s[14:15]
	ds_bpermute_b32 v21, v43, v13
	s_waitcnt lgkmcnt(2)
	v_cndmask_b32_e64 v10, v10, v22, s[14:15]
	s_waitcnt lgkmcnt(1)
	v_cndmask_b32_e64 v20, v10, v19, s[12:13]
	ds_bpermute_b32 v10, v45, v15
	ds_bpermute_b32 v22, v45, v16
	s_waitcnt lgkmcnt(2)
	v_cndmask_b32_e64 v19, v9, v21, s[12:13]
	ds_bpermute_b32 v9, v45, v17
	v_cndmask_b32_e64 v6, v25, v24, s[12:13]
	ds_bpermute_b32 v24, v45, v18
	s_waitcnt lgkmcnt(3)
	v_cndmask_b32_e64 v10, 0, v10, s[18:19]
	s_waitcnt lgkmcnt(2)
	v_cndmask_b32_e64 v21, 0, v22, s[18:19]
	ds_bpermute_b32 v22, v45, v11
	s_waitcnt lgkmcnt(2)
	v_cndmask_b32_e64 v9, v10, v9, s[16:17]
	ds_bpermute_b32 v10, v45, v12
	ds_bpermute_b32 v25, v45, v13
	s_waitcnt lgkmcnt(3)
	v_cndmask_b32_e64 v21, v21, v24, s[16:17]
	ds_bpermute_b32 v24, v45, v14
	ds_bpermute_b32 v26, v47, v15
	s_waitcnt lgkmcnt(4)
	v_cndmask_b32_e64 v9, v9, v22, s[14:15]
	s_waitcnt lgkmcnt(3)
	v_cndmask_b32_e64 v10, v21, v10, s[14:15]
	;; [unrolled: 2-line block ×3, first 2 shown]
	ds_bpermute_b32 v9, v47, v16
	ds_bpermute_b32 v25, v47, v17
	s_waitcnt lgkmcnt(3)
	v_cndmask_b32_e64 v22, v10, v24, s[12:13]
	s_waitcnt lgkmcnt(2)
	v_cndmask_b32_e64 v10, 0, v26, s[18:19]
	ds_bpermute_b32 v24, v47, v18
	ds_bpermute_b32 v26, v47, v11
	;; [unrolled: 1-line block ×6, first 2 shown]
	v_cndmask_b32_e64 v5, v5, v27, s[12:13]
	s_waitcnt lgkmcnt(7)
	v_cndmask_b32_e64 v9, 0, v9, s[18:19]
	ds_bpermute_b32 v27, v47, v12
	s_waitcnt lgkmcnt(7)
	v_cndmask_b32_e64 v10, v10, v25, s[16:17]
	ds_bpermute_b32 v11, v46, v11
	ds_bpermute_b32 v12, v46, v12
	s_waitcnt lgkmcnt(8)
	v_cndmask_b32_e64 v9, v9, v24, s[16:17]
	s_waitcnt lgkmcnt(7)
	v_cndmask_b32_e64 v24, v10, v26, s[14:15]
	ds_bpermute_b32 v10, v47, v14
	ds_bpermute_b32 v25, v47, v13
	;; [unrolled: 1-line block ×4, first 2 shown]
	s_waitcnt lgkmcnt(10)
	v_cndmask_b32_e64 v15, 0, v15, s[18:19]
	s_waitcnt lgkmcnt(9)
	v_cndmask_b32_e64 v16, 0, v16, s[18:19]
	;; [unrolled: 2-line block ×7, first 2 shown]
	v_mov_b32_e32 v27, 0
	s_waitcnt lgkmcnt(3)
	v_cndmask_b32_e64 v10, v9, v10, s[12:13]
	s_waitcnt lgkmcnt(2)
	v_cndmask_b32_e64 v9, v24, v25, s[12:13]
	;; [unrolled: 2-line block ×4, first 2 shown]
	v_mov_b32_e32 v28, 0
	s_barrier
	s_branch .LBB301_4
.LBB301_3:                              ;   in Loop: Header=BB301_4 Depth=2
	s_andn2_b64 vcc, exec, s[34:35]
	s_cbranch_vccz .LBB301_1
.LBB301_4:                              ;   Parent Loop BB301_2 Depth=1
                                        ; =>  This Inner Loop Header: Depth=2
	v_mov_b32_e32 v34, v4
	v_mov_b32_e32 v36, v2
	;; [unrolled: 1-line block ×8, first 2 shown]
	ds_write2_b64 v37, v[1:2], v[3:4] offset0:1 offset1:2
	v_lshrrev_b64 v[1:2], v27, v[35:36]
	v_mov_b32_e32 v32, v6
	v_lshlrev_b32_e32 v2, 3, v1
	v_and_b32_e32 v2, 0x7f8, v2
	v_mov_b32_e32 v31, v5
	v_add_u32_e32 v5, v48, v2
	v_and_b32_e32 v2, 1, v1
	v_add_co_u32_e32 v3, vcc, -1, v2
	v_addc_co_u32_e64 v4, s[34:35], 0, -1, vcc
	v_cmp_ne_u32_e32 vcc, 0, v2
	v_lshlrev_b32_e32 v24, 30, v1
	v_xor_b32_e32 v2, vcc_hi, v4
	v_xor_b32_e32 v3, vcc_lo, v3
	v_cmp_gt_i64_e32 vcc, 0, v[23:24]
	v_not_b32_e32 v4, v24
	v_ashrrev_i32_e32 v4, 31, v4
	v_and_b32_e32 v3, exec_lo, v3
	v_xor_b32_e32 v6, vcc_hi, v4
	v_xor_b32_e32 v4, vcc_lo, v4
	v_lshlrev_b32_e32 v24, 29, v1
	v_and_b32_e32 v3, v3, v4
	v_cmp_gt_i64_e32 vcc, 0, v[23:24]
	v_not_b32_e32 v4, v24
	v_and_b32_e32 v2, exec_hi, v2
	v_ashrrev_i32_e32 v4, 31, v4
	v_and_b32_e32 v2, v2, v6
	v_xor_b32_e32 v6, vcc_hi, v4
	v_xor_b32_e32 v4, vcc_lo, v4
	v_lshlrev_b32_e32 v24, 28, v1
	v_and_b32_e32 v3, v3, v4
	v_cmp_gt_i64_e32 vcc, 0, v[23:24]
	v_not_b32_e32 v4, v24
	v_ashrrev_i32_e32 v4, 31, v4
	v_and_b32_e32 v2, v2, v6
	v_xor_b32_e32 v6, vcc_hi, v4
	v_xor_b32_e32 v4, vcc_lo, v4
	v_lshlrev_b32_e32 v24, 27, v1
	v_and_b32_e32 v3, v3, v4
	v_cmp_gt_i64_e32 vcc, 0, v[23:24]
	v_not_b32_e32 v4, v24
	v_ashrrev_i32_e32 v4, 31, v4
	v_and_b32_e32 v2, v2, v6
	v_xor_b32_e32 v6, vcc_hi, v4
	v_xor_b32_e32 v4, vcc_lo, v4
	v_lshlrev_b32_e32 v24, 26, v1
	v_and_b32_e32 v3, v3, v4
	v_cmp_gt_i64_e32 vcc, 0, v[23:24]
	v_not_b32_e32 v4, v24
	v_ashrrev_i32_e32 v4, 31, v4
	v_and_b32_e32 v2, v2, v6
	v_xor_b32_e32 v6, vcc_hi, v4
	v_xor_b32_e32 v4, vcc_lo, v4
	v_lshlrev_b32_e32 v24, 25, v1
	v_and_b32_e32 v3, v3, v4
	v_cmp_gt_i64_e32 vcc, 0, v[23:24]
	v_not_b32_e32 v4, v24
	v_ashrrev_i32_e32 v4, 31, v4
	v_lshlrev_b32_e32 v24, 24, v1
	v_and_b32_e32 v2, v2, v6
	v_xor_b32_e32 v6, vcc_hi, v4
	v_xor_b32_e32 v4, vcc_lo, v4
	v_cmp_gt_i64_e32 vcc, 0, v[23:24]
	v_not_b32_e32 v1, v24
	v_ashrrev_i32_e32 v1, 31, v1
	v_and_b32_e32 v3, v3, v4
	v_xor_b32_e32 v4, vcc_hi, v1
	v_xor_b32_e32 v1, vcc_lo, v1
	v_and_b32_e32 v2, v2, v6
	v_and_b32_e32 v1, v3, v1
	;; [unrolled: 1-line block ×3, first 2 shown]
	v_mbcnt_lo_u32_b32 v3, v1, 0
	v_mbcnt_hi_u32_b32 v6, v2, v3
	v_cmp_ne_u64_e32 vcc, 0, v[1:2]
	v_mov_b32_e32 v30, v8
	v_mov_b32_e32 v26, v20
	;; [unrolled: 1-line block ×5, first 2 shown]
	v_cmp_eq_u32_e64 s[34:35], 0, v6
	v_mov_b32_e32 v29, v7
	v_mov_b32_e32 v25, v19
	;; [unrolled: 1-line block ×5, first 2 shown]
	s_and_b64 s[44:45], vcc, s[34:35]
	s_waitcnt lgkmcnt(0)
	s_barrier
	; wave barrier
	s_and_saveexec_b64 s[34:35], s[44:45]
; %bb.5:                                ;   in Loop: Header=BB301_4 Depth=2
	v_bcnt_u32_b32 v1, v1, 0
	v_bcnt_u32_b32 v1, v2, v1
	ds_write_b32 v5, v1 offset:8
; %bb.6:                                ;   in Loop: Header=BB301_4 Depth=2
	s_or_b64 exec, exec, s[34:35]
	v_lshrrev_b64 v[1:2], v27, v[33:34]
	v_lshlrev_b32_e32 v2, 3, v1
	v_and_b32_e32 v2, 0x7f8, v2
	v_add_u32_e32 v8, v48, v2
	v_and_b32_e32 v2, 1, v1
	v_add_co_u32_e32 v3, vcc, -1, v2
	v_addc_co_u32_e64 v4, s[34:35], 0, -1, vcc
	v_cmp_ne_u32_e32 vcc, 0, v2
	v_lshlrev_b32_e32 v24, 30, v1
	v_xor_b32_e32 v2, vcc_hi, v4
	v_xor_b32_e32 v3, vcc_lo, v3
	v_cmp_gt_i64_e32 vcc, 0, v[23:24]
	v_not_b32_e32 v4, v24
	v_ashrrev_i32_e32 v4, 31, v4
	v_and_b32_e32 v3, exec_lo, v3
	v_xor_b32_e32 v9, vcc_hi, v4
	v_xor_b32_e32 v4, vcc_lo, v4
	v_lshlrev_b32_e32 v24, 29, v1
	v_and_b32_e32 v3, v3, v4
	v_cmp_gt_i64_e32 vcc, 0, v[23:24]
	v_not_b32_e32 v4, v24
	v_and_b32_e32 v2, exec_hi, v2
	v_ashrrev_i32_e32 v4, 31, v4
	v_and_b32_e32 v2, v2, v9
	v_xor_b32_e32 v9, vcc_hi, v4
	v_xor_b32_e32 v4, vcc_lo, v4
	v_lshlrev_b32_e32 v24, 28, v1
	v_and_b32_e32 v3, v3, v4
	v_cmp_gt_i64_e32 vcc, 0, v[23:24]
	v_not_b32_e32 v4, v24
	v_ashrrev_i32_e32 v4, 31, v4
	v_and_b32_e32 v2, v2, v9
	v_xor_b32_e32 v9, vcc_hi, v4
	v_xor_b32_e32 v4, vcc_lo, v4
	v_lshlrev_b32_e32 v24, 27, v1
	v_and_b32_e32 v3, v3, v4
	v_cmp_gt_i64_e32 vcc, 0, v[23:24]
	v_not_b32_e32 v4, v24
	;; [unrolled: 8-line block ×4, first 2 shown]
	v_ashrrev_i32_e32 v4, 31, v4
	v_lshlrev_b32_e32 v24, 24, v1
	v_and_b32_e32 v2, v2, v9
	v_xor_b32_e32 v9, vcc_hi, v4
	v_xor_b32_e32 v4, vcc_lo, v4
	v_cmp_gt_i64_e32 vcc, 0, v[23:24]
	v_not_b32_e32 v1, v24
	v_ashrrev_i32_e32 v1, 31, v1
	v_and_b32_e32 v3, v3, v4
	v_xor_b32_e32 v4, vcc_hi, v1
	v_xor_b32_e32 v1, vcc_lo, v1
	; wave barrier
	ds_read_b32 v7, v8 offset:8
	v_and_b32_e32 v2, v2, v9
	v_and_b32_e32 v1, v3, v1
	;; [unrolled: 1-line block ×3, first 2 shown]
	v_mbcnt_lo_u32_b32 v3, v1, 0
	v_mbcnt_hi_u32_b32 v9, v2, v3
	v_cmp_ne_u64_e32 vcc, 0, v[1:2]
	v_cmp_eq_u32_e64 s[34:35], 0, v9
	s_and_b64 s[44:45], vcc, s[34:35]
	; wave barrier
	s_and_saveexec_b64 s[34:35], s[44:45]
	s_cbranch_execz .LBB301_8
; %bb.7:                                ;   in Loop: Header=BB301_4 Depth=2
	v_bcnt_u32_b32 v1, v1, 0
	v_bcnt_u32_b32 v1, v2, v1
	s_waitcnt lgkmcnt(0)
	v_add_u32_e32 v1, v7, v1
	ds_write_b32 v8, v1 offset:8
.LBB301_8:                              ;   in Loop: Header=BB301_4 Depth=2
	s_or_b64 exec, exec, s[34:35]
	v_lshrrev_b64 v[1:2], v27, v[31:32]
	v_lshlrev_b32_e32 v2, 3, v1
	v_and_b32_e32 v2, 0x7f8, v2
	v_add_u32_e32 v11, v48, v2
	v_and_b32_e32 v2, 1, v1
	v_add_co_u32_e32 v3, vcc, -1, v2
	v_addc_co_u32_e64 v4, s[34:35], 0, -1, vcc
	v_cmp_ne_u32_e32 vcc, 0, v2
	v_lshlrev_b32_e32 v24, 30, v1
	v_xor_b32_e32 v2, vcc_hi, v4
	v_xor_b32_e32 v3, vcc_lo, v3
	v_cmp_gt_i64_e32 vcc, 0, v[23:24]
	v_not_b32_e32 v4, v24
	v_ashrrev_i32_e32 v4, 31, v4
	v_and_b32_e32 v3, exec_lo, v3
	v_xor_b32_e32 v12, vcc_hi, v4
	v_xor_b32_e32 v4, vcc_lo, v4
	v_lshlrev_b32_e32 v24, 29, v1
	v_and_b32_e32 v3, v3, v4
	v_cmp_gt_i64_e32 vcc, 0, v[23:24]
	v_not_b32_e32 v4, v24
	v_and_b32_e32 v2, exec_hi, v2
	v_ashrrev_i32_e32 v4, 31, v4
	v_and_b32_e32 v2, v2, v12
	v_xor_b32_e32 v12, vcc_hi, v4
	v_xor_b32_e32 v4, vcc_lo, v4
	v_lshlrev_b32_e32 v24, 28, v1
	v_and_b32_e32 v3, v3, v4
	v_cmp_gt_i64_e32 vcc, 0, v[23:24]
	v_not_b32_e32 v4, v24
	v_ashrrev_i32_e32 v4, 31, v4
	v_and_b32_e32 v2, v2, v12
	v_xor_b32_e32 v12, vcc_hi, v4
	v_xor_b32_e32 v4, vcc_lo, v4
	v_lshlrev_b32_e32 v24, 27, v1
	v_and_b32_e32 v3, v3, v4
	v_cmp_gt_i64_e32 vcc, 0, v[23:24]
	v_not_b32_e32 v4, v24
	;; [unrolled: 8-line block ×4, first 2 shown]
	v_ashrrev_i32_e32 v4, 31, v4
	v_lshlrev_b32_e32 v24, 24, v1
	v_and_b32_e32 v2, v2, v12
	v_xor_b32_e32 v12, vcc_hi, v4
	v_xor_b32_e32 v4, vcc_lo, v4
	v_cmp_gt_i64_e32 vcc, 0, v[23:24]
	v_not_b32_e32 v1, v24
	v_ashrrev_i32_e32 v1, 31, v1
	v_and_b32_e32 v3, v3, v4
	v_xor_b32_e32 v4, vcc_hi, v1
	v_xor_b32_e32 v1, vcc_lo, v1
	; wave barrier
	ds_read_b32 v10, v11 offset:8
	v_and_b32_e32 v2, v2, v12
	v_and_b32_e32 v1, v3, v1
	;; [unrolled: 1-line block ×3, first 2 shown]
	v_mbcnt_lo_u32_b32 v3, v1, 0
	v_mbcnt_hi_u32_b32 v12, v2, v3
	v_cmp_ne_u64_e32 vcc, 0, v[1:2]
	v_cmp_eq_u32_e64 s[34:35], 0, v12
	s_and_b64 s[44:45], vcc, s[34:35]
	; wave barrier
	s_and_saveexec_b64 s[34:35], s[44:45]
	s_cbranch_execz .LBB301_10
; %bb.9:                                ;   in Loop: Header=BB301_4 Depth=2
	v_bcnt_u32_b32 v1, v1, 0
	v_bcnt_u32_b32 v1, v2, v1
	s_waitcnt lgkmcnt(0)
	v_add_u32_e32 v1, v10, v1
	ds_write_b32 v11, v1 offset:8
.LBB301_10:                             ;   in Loop: Header=BB301_4 Depth=2
	s_or_b64 exec, exec, s[34:35]
	v_lshrrev_b64 v[1:2], v27, v[29:30]
	v_lshlrev_b32_e32 v2, 3, v1
	v_and_b32_e32 v2, 0x7f8, v2
	v_add_u32_e32 v20, v48, v2
	v_and_b32_e32 v2, 1, v1
	v_add_co_u32_e32 v3, vcc, -1, v2
	v_addc_co_u32_e64 v4, s[34:35], 0, -1, vcc
	v_cmp_ne_u32_e32 vcc, 0, v2
	v_lshlrev_b32_e32 v24, 30, v1
	v_xor_b32_e32 v2, vcc_hi, v4
	v_xor_b32_e32 v3, vcc_lo, v3
	v_cmp_gt_i64_e32 vcc, 0, v[23:24]
	v_not_b32_e32 v4, v24
	v_ashrrev_i32_e32 v4, 31, v4
	v_and_b32_e32 v3, exec_lo, v3
	v_xor_b32_e32 v21, vcc_hi, v4
	v_xor_b32_e32 v4, vcc_lo, v4
	v_lshlrev_b32_e32 v24, 29, v1
	v_and_b32_e32 v3, v3, v4
	v_cmp_gt_i64_e32 vcc, 0, v[23:24]
	v_not_b32_e32 v4, v24
	v_and_b32_e32 v2, exec_hi, v2
	v_ashrrev_i32_e32 v4, 31, v4
	v_and_b32_e32 v2, v2, v21
	v_xor_b32_e32 v21, vcc_hi, v4
	v_xor_b32_e32 v4, vcc_lo, v4
	v_lshlrev_b32_e32 v24, 28, v1
	v_and_b32_e32 v3, v3, v4
	v_cmp_gt_i64_e32 vcc, 0, v[23:24]
	v_not_b32_e32 v4, v24
	v_ashrrev_i32_e32 v4, 31, v4
	v_and_b32_e32 v2, v2, v21
	v_xor_b32_e32 v21, vcc_hi, v4
	v_xor_b32_e32 v4, vcc_lo, v4
	v_lshlrev_b32_e32 v24, 27, v1
	v_and_b32_e32 v3, v3, v4
	v_cmp_gt_i64_e32 vcc, 0, v[23:24]
	v_not_b32_e32 v4, v24
	;; [unrolled: 8-line block ×4, first 2 shown]
	v_ashrrev_i32_e32 v4, 31, v4
	v_lshlrev_b32_e32 v24, 24, v1
	v_and_b32_e32 v2, v2, v21
	v_xor_b32_e32 v21, vcc_hi, v4
	v_xor_b32_e32 v4, vcc_lo, v4
	v_cmp_gt_i64_e32 vcc, 0, v[23:24]
	v_not_b32_e32 v1, v24
	v_ashrrev_i32_e32 v1, 31, v1
	v_and_b32_e32 v3, v3, v4
	v_xor_b32_e32 v4, vcc_hi, v1
	v_xor_b32_e32 v1, vcc_lo, v1
	; wave barrier
	ds_read_b32 v19, v20 offset:8
	v_and_b32_e32 v2, v2, v21
	v_and_b32_e32 v1, v3, v1
	;; [unrolled: 1-line block ×3, first 2 shown]
	v_mbcnt_lo_u32_b32 v3, v1, 0
	v_mbcnt_hi_u32_b32 v21, v2, v3
	v_cmp_ne_u64_e32 vcc, 0, v[1:2]
	v_cmp_eq_u32_e64 s[34:35], 0, v21
	s_and_b64 s[44:45], vcc, s[34:35]
	; wave barrier
	s_and_saveexec_b64 s[34:35], s[44:45]
	s_cbranch_execz .LBB301_12
; %bb.11:                               ;   in Loop: Header=BB301_4 Depth=2
	v_bcnt_u32_b32 v1, v1, 0
	v_bcnt_u32_b32 v1, v2, v1
	s_waitcnt lgkmcnt(0)
	v_add_u32_e32 v1, v19, v1
	ds_write_b32 v20, v1 offset:8
.LBB301_12:                             ;   in Loop: Header=BB301_4 Depth=2
	s_or_b64 exec, exec, s[34:35]
	; wave barrier
	s_waitcnt lgkmcnt(0)
	s_barrier
	ds_read2_b64 v[1:4], v37 offset0:1 offset1:2
	s_waitcnt lgkmcnt(0)
	v_add_u32_e32 v22, v2, v1
	v_add3_u32 v4, v22, v3, v4
	s_nop 1
	v_mov_b32_dpp v22, v4 row_shr:1 row_mask:0xf bank_mask:0xf
	v_cndmask_b32_e64 v22, v22, 0, s[20:21]
	v_add_u32_e32 v4, v22, v4
	s_nop 1
	v_mov_b32_dpp v22, v4 row_shr:2 row_mask:0xf bank_mask:0xf
	v_cndmask_b32_e64 v22, 0, v22, s[22:23]
	v_add_u32_e32 v4, v4, v22
	;; [unrolled: 4-line block ×4, first 2 shown]
	s_nop 1
	v_mov_b32_dpp v22, v4 row_bcast:15 row_mask:0xf bank_mask:0xf
	v_cndmask_b32_e64 v22, v22, 0, s[28:29]
	v_add_u32_e32 v4, v4, v22
	s_nop 1
	v_mov_b32_dpp v22, v4 row_bcast:31 row_mask:0xf bank_mask:0xf
	v_cndmask_b32_e64 v22, 0, v22, s[6:7]
	v_add_u32_e32 v4, v4, v22
	s_and_saveexec_b64 s[34:35], s[8:9]
; %bb.13:                               ;   in Loop: Header=BB301_4 Depth=2
	ds_write_b32 v38, v4
; %bb.14:                               ;   in Loop: Header=BB301_4 Depth=2
	s_or_b64 exec, exec, s[34:35]
	s_waitcnt lgkmcnt(0)
	s_barrier
	s_and_saveexec_b64 s[34:35], s[0:1]
	s_cbranch_execz .LBB301_16
; %bb.15:                               ;   in Loop: Header=BB301_4 Depth=2
	ds_read_b32 v22, v39
	s_waitcnt lgkmcnt(0)
	s_nop 0
	v_mov_b32_dpp v24, v22 row_shr:1 row_mask:0xf bank_mask:0xf
	v_cndmask_b32_e64 v24, v24, 0, s[30:31]
	v_add_u32_e32 v22, v24, v22
	ds_write_b32 v39, v22
.LBB301_16:                             ;   in Loop: Header=BB301_4 Depth=2
	s_or_b64 exec, exec, s[34:35]
	v_mov_b32_e32 v22, 0
	s_waitcnt lgkmcnt(0)
	s_barrier
	s_and_saveexec_b64 s[34:35], s[2:3]
; %bb.17:                               ;   in Loop: Header=BB301_4 Depth=2
	ds_read_b32 v22, v40
; %bb.18:                               ;   in Loop: Header=BB301_4 Depth=2
	s_or_b64 exec, exec, s[34:35]
	s_waitcnt lgkmcnt(0)
	v_add_u32_e32 v4, v22, v4
	ds_bpermute_b32 v4, v44, v4
	v_cmp_lt_u32_e32 vcc, 55, v27
	s_and_b64 vcc, exec, vcc
	s_mov_b64 s[34:35], -1
	s_waitcnt lgkmcnt(0)
	v_cndmask_b32_e64 v4, v4, v22, s[10:11]
	v_cndmask_b32_e64 v49, v4, 0, s[4:5]
	v_add_u32_e32 v50, v49, v1
	v_add_u32_e32 v1, v50, v2
	;; [unrolled: 1-line block ×3, first 2 shown]
	ds_write2_b64 v37, v[49:50], v[1:2] offset0:1 offset1:2
	s_waitcnt lgkmcnt(0)
	s_barrier
	ds_read_b32 v1, v5 offset:8
	ds_read_b32 v2, v8 offset:8
	;; [unrolled: 1-line block ×4, first 2 shown]
	s_waitcnt lgkmcnt(3)
	v_add_u32_e32 v51, v1, v6
	s_waitcnt lgkmcnt(2)
	v_add3_u32 v50, v9, v7, v2
	s_waitcnt lgkmcnt(1)
	v_add3_u32 v49, v12, v10, v3
	;; [unrolled: 2-line block ×3, first 2 shown]
                                        ; implicit-def: $vgpr7_vgpr8
                                        ; implicit-def: $vgpr3_vgpr4
                                        ; implicit-def: $vgpr19_vgpr20
                                        ; implicit-def: $vgpr9_vgpr10
	s_cbranch_vccnz .LBB301_3
; %bb.19:                               ;   in Loop: Header=BB301_4 Depth=2
	v_lshlrev_b32_e32 v9, 3, v51
	v_lshlrev_b32_e32 v10, 3, v50
	;; [unrolled: 1-line block ×4, first 2 shown]
	s_barrier
	ds_write_b64 v9, v[35:36]
	ds_write_b64 v10, v[33:34]
	;; [unrolled: 1-line block ×4, first 2 shown]
	s_waitcnt lgkmcnt(0)
	s_barrier
	ds_read2st64_b64 v[1:4], v41 offset1:1
	ds_read2st64_b64 v[5:8], v41 offset0:2 offset1:3
	s_waitcnt lgkmcnt(0)
	s_barrier
	ds_write_b64 v9, v[25:26]
	ds_write_b64 v10, v[17:18]
	;; [unrolled: 1-line block ×4, first 2 shown]
	s_waitcnt lgkmcnt(0)
	s_barrier
	ds_read2st64_b64 v[19:22], v41 offset1:1
	ds_read2st64_b64 v[9:12], v41 offset0:2 offset1:3
	v_add_co_u32_e32 v27, vcc, 8, v27
	v_addc_co_u32_e32 v28, vcc, 0, v28, vcc
	s_mov_b64 s[34:35], 0
	s_waitcnt lgkmcnt(0)
	s_barrier
	s_branch .LBB301_3
.LBB301_20:
	s_waitcnt lgkmcnt(1)
	v_add_co_u32_e32 v1, vcc, v15, v19
	v_addc_co_u32_e32 v2, vcc, v16, v20, vcc
	v_add_co_u32_e32 v3, vcc, v17, v21
	v_addc_co_u32_e32 v4, vcc, v18, v22, vcc
	s_waitcnt lgkmcnt(0)
	v_add_co_u32_e32 v5, vcc, v11, v7
	v_addc_co_u32_e32 v6, vcc, v12, v8, vcc
	s_add_u32 s0, s38, s40
	v_add_co_u32_e32 v7, vcc, v13, v9
	s_addc_u32 s1, s39, s41
	v_lshlrev_b32_e32 v0, 3, v0
	v_addc_co_u32_e32 v8, vcc, v14, v10, vcc
	global_store_dwordx2 v0, v[1:2], s[0:1]
	global_store_dwordx2 v0, v[3:4], s[0:1] offset:1024
	global_store_dwordx2 v0, v[5:6], s[0:1] offset:2048
	;; [unrolled: 1-line block ×3, first 2 shown]
	s_endpgm
	.section	.rodata,"a",@progbits
	.p2align	6, 0x0
	.amdhsa_kernel _Z17sort_pairs_kernelI22helper_blocked_stripedxLj128ELj4ELj10EEvPKT0_PS1_
		.amdhsa_group_segment_fixed_size 4096
		.amdhsa_private_segment_fixed_size 0
		.amdhsa_kernarg_size 272
		.amdhsa_user_sgpr_count 6
		.amdhsa_user_sgpr_private_segment_buffer 1
		.amdhsa_user_sgpr_dispatch_ptr 0
		.amdhsa_user_sgpr_queue_ptr 0
		.amdhsa_user_sgpr_kernarg_segment_ptr 1
		.amdhsa_user_sgpr_dispatch_id 0
		.amdhsa_user_sgpr_flat_scratch_init 0
		.amdhsa_user_sgpr_private_segment_size 0
		.amdhsa_uses_dynamic_stack 0
		.amdhsa_system_sgpr_private_segment_wavefront_offset 0
		.amdhsa_system_sgpr_workgroup_id_x 1
		.amdhsa_system_sgpr_workgroup_id_y 0
		.amdhsa_system_sgpr_workgroup_id_z 0
		.amdhsa_system_sgpr_workgroup_info 0
		.amdhsa_system_vgpr_workitem_id 2
		.amdhsa_next_free_vgpr 52
		.amdhsa_next_free_sgpr 61
		.amdhsa_reserve_vcc 1
		.amdhsa_reserve_flat_scratch 0
		.amdhsa_float_round_mode_32 0
		.amdhsa_float_round_mode_16_64 0
		.amdhsa_float_denorm_mode_32 3
		.amdhsa_float_denorm_mode_16_64 3
		.amdhsa_dx10_clamp 1
		.amdhsa_ieee_mode 1
		.amdhsa_fp16_overflow 0
		.amdhsa_exception_fp_ieee_invalid_op 0
		.amdhsa_exception_fp_denorm_src 0
		.amdhsa_exception_fp_ieee_div_zero 0
		.amdhsa_exception_fp_ieee_overflow 0
		.amdhsa_exception_fp_ieee_underflow 0
		.amdhsa_exception_fp_ieee_inexact 0
		.amdhsa_exception_int_div_zero 0
	.end_amdhsa_kernel
	.section	.text._Z17sort_pairs_kernelI22helper_blocked_stripedxLj128ELj4ELj10EEvPKT0_PS1_,"axG",@progbits,_Z17sort_pairs_kernelI22helper_blocked_stripedxLj128ELj4ELj10EEvPKT0_PS1_,comdat
.Lfunc_end301:
	.size	_Z17sort_pairs_kernelI22helper_blocked_stripedxLj128ELj4ELj10EEvPKT0_PS1_, .Lfunc_end301-_Z17sort_pairs_kernelI22helper_blocked_stripedxLj128ELj4ELj10EEvPKT0_PS1_
                                        ; -- End function
	.set _Z17sort_pairs_kernelI22helper_blocked_stripedxLj128ELj4ELj10EEvPKT0_PS1_.num_vgpr, 52
	.set _Z17sort_pairs_kernelI22helper_blocked_stripedxLj128ELj4ELj10EEvPKT0_PS1_.num_agpr, 0
	.set _Z17sort_pairs_kernelI22helper_blocked_stripedxLj128ELj4ELj10EEvPKT0_PS1_.numbered_sgpr, 46
	.set _Z17sort_pairs_kernelI22helper_blocked_stripedxLj128ELj4ELj10EEvPKT0_PS1_.num_named_barrier, 0
	.set _Z17sort_pairs_kernelI22helper_blocked_stripedxLj128ELj4ELj10EEvPKT0_PS1_.private_seg_size, 0
	.set _Z17sort_pairs_kernelI22helper_blocked_stripedxLj128ELj4ELj10EEvPKT0_PS1_.uses_vcc, 1
	.set _Z17sort_pairs_kernelI22helper_blocked_stripedxLj128ELj4ELj10EEvPKT0_PS1_.uses_flat_scratch, 0
	.set _Z17sort_pairs_kernelI22helper_blocked_stripedxLj128ELj4ELj10EEvPKT0_PS1_.has_dyn_sized_stack, 0
	.set _Z17sort_pairs_kernelI22helper_blocked_stripedxLj128ELj4ELj10EEvPKT0_PS1_.has_recursion, 0
	.set _Z17sort_pairs_kernelI22helper_blocked_stripedxLj128ELj4ELj10EEvPKT0_PS1_.has_indirect_call, 0
	.section	.AMDGPU.csdata,"",@progbits
; Kernel info:
; codeLenInByte = 4176
; TotalNumSgprs: 50
; NumVgprs: 52
; ScratchSize: 0
; MemoryBound: 0
; FloatMode: 240
; IeeeMode: 1
; LDSByteSize: 4096 bytes/workgroup (compile time only)
; SGPRBlocks: 8
; VGPRBlocks: 12
; NumSGPRsForWavesPerEU: 65
; NumVGPRsForWavesPerEU: 52
; Occupancy: 4
; WaveLimiterHint : 1
; COMPUTE_PGM_RSRC2:SCRATCH_EN: 0
; COMPUTE_PGM_RSRC2:USER_SGPR: 6
; COMPUTE_PGM_RSRC2:TRAP_HANDLER: 0
; COMPUTE_PGM_RSRC2:TGID_X_EN: 1
; COMPUTE_PGM_RSRC2:TGID_Y_EN: 0
; COMPUTE_PGM_RSRC2:TGID_Z_EN: 0
; COMPUTE_PGM_RSRC2:TIDIG_COMP_CNT: 2
	.section	.text._Z16sort_keys_kernelI22helper_blocked_stripedxLj128ELj8ELj10EEvPKT0_PS1_,"axG",@progbits,_Z16sort_keys_kernelI22helper_blocked_stripedxLj128ELj8ELj10EEvPKT0_PS1_,comdat
	.protected	_Z16sort_keys_kernelI22helper_blocked_stripedxLj128ELj8ELj10EEvPKT0_PS1_ ; -- Begin function _Z16sort_keys_kernelI22helper_blocked_stripedxLj128ELj8ELj10EEvPKT0_PS1_
	.globl	_Z16sort_keys_kernelI22helper_blocked_stripedxLj128ELj8ELj10EEvPKT0_PS1_
	.p2align	8
	.type	_Z16sort_keys_kernelI22helper_blocked_stripedxLj128ELj8ELj10EEvPKT0_PS1_,@function
_Z16sort_keys_kernelI22helper_blocked_stripedxLj128ELj8ELj10EEvPKT0_PS1_: ; @_Z16sort_keys_kernelI22helper_blocked_stripedxLj128ELj8ELj10EEvPKT0_PS1_
; %bb.0:
	s_load_dwordx4 s[24:27], s[4:5], 0x0
	s_load_dword s2, s[4:5], 0x1c
	s_lshl_b32 s28, s6, 10
	s_mov_b32 s29, 0
	s_lshl_b64 s[30:31], s[28:29], 3
	s_waitcnt lgkmcnt(0)
	s_add_u32 s0, s24, s30
	s_addc_u32 s1, s25, s31
	v_lshlrev_b32_e32 v19, 6, v0
	global_load_dwordx4 v[3:6], v19, s[0:1] offset:48
	global_load_dwordx4 v[7:10], v19, s[0:1] offset:32
	;; [unrolled: 1-line block ×3, first 2 shown]
	global_load_dwordx4 v[15:18], v19, s[0:1]
	v_mbcnt_lo_u32_b32 v20, -1, 0
	v_mbcnt_hi_u32_b32 v20, -1, v20
	s_lshr_b32 s0, s2, 16
	s_and_b32 s1, s2, 0xffff
	v_mad_u32_u24 v1, v2, s0, v1
	v_and_b32_e32 v2, 15, v20
	v_and_b32_e32 v21, 64, v0
	v_mad_u32_u24 v1, v1, s1, v0
	v_cmp_eq_u32_e64 s[0:1], 0, v2
	v_cmp_lt_u32_e64 s[2:3], 1, v2
	v_cmp_lt_u32_e64 s[4:5], 3, v2
	;; [unrolled: 1-line block ×3, first 2 shown]
	v_and_b32_e32 v2, 16, v20
	v_and_b32_e32 v19, 0x1000, v19
	v_cmp_eq_u32_e64 s[8:9], 0, v2
	v_or_b32_e32 v2, 63, v21
	v_lshl_or_b32 v42, v20, 3, v19
	v_cmp_eq_u32_e64 s[12:13], v0, v2
	v_subrev_co_u32_e64 v2, s[18:19], 1, v20
	v_and_b32_e32 v19, 64, v20
	v_cmp_lt_i32_e32 vcc, v2, v19
	v_cndmask_b32_e32 v2, v2, v20, vcc
	v_lshlrev_b32_e32 v43, 4, v0
	v_lshlrev_b32_e32 v44, 2, v2
	v_lshrrev_b32_e32 v2, 4, v0
	v_lshrrev_b32_e32 v1, 4, v1
	s_mov_b32 s28, s29
	s_mov_b32 s24, s29
	v_add_lshl_u32 v41, v20, v21, 6
	v_cmp_lt_u32_e64 s[10:11], 31, v20
	v_and_b32_e32 v45, 4, v2
	v_mad_i32_i24 v46, v0, -12, v43
	v_and_b32_e32 v2, 1, v20
	v_and_b32_e32 v48, 0xffffffc, v1
	v_lshlrev_b32_e32 v1, 2, v0
	s_mov_b32 s25, s29
	v_mov_b32_e32 v19, s28
	v_mov_b32_e32 v21, s24
	v_cmp_gt_u32_e64 s[14:15], 2, v0
	v_cmp_lt_u32_e64 s[16:17], 63, v0
	v_cmp_eq_u32_e64 s[20:21], 0, v0
	v_cmp_eq_u32_e64 s[22:23], 0, v2
	v_add_u32_e32 v47, -4, v45
	v_mov_b32_e32 v20, s29
	v_mov_b32_e32 v22, s25
	;; [unrolled: 1-line block ×3, first 2 shown]
	v_add_u32_e32 v49, v46, v1
	s_branch .LBB302_2
.LBB302_1:                              ;   in Loop: Header=BB302_2 Depth=1
	v_lshlrev_b32_e32 v1, 3, v61
	s_barrier
	ds_write_b64 v1, v[39:40]
	v_lshlrev_b32_e32 v1, 3, v60
	ds_write_b64 v1, v[37:38]
	v_lshlrev_b32_e32 v1, 3, v59
	;; [unrolled: 2-line block ×7, first 2 shown]
	ds_write_b64 v1, v[17:18]
	s_waitcnt lgkmcnt(0)
	s_barrier
	ds_read2st64_b64 v[15:18], v49 offset1:2
	ds_read2st64_b64 v[11:14], v49 offset0:4 offset1:6
	ds_read2st64_b64 v[7:10], v49 offset0:8 offset1:10
	;; [unrolled: 1-line block ×3, first 2 shown]
	s_add_i32 s29, s29, 1
	s_waitcnt lgkmcnt(3)
	v_xor_b32_e32 v16, 0x80000000, v16
	v_xor_b32_e32 v18, 0x80000000, v18
	s_waitcnt lgkmcnt(2)
	v_xor_b32_e32 v12, 0x80000000, v12
	v_xor_b32_e32 v14, 0x80000000, v14
	;; [unrolled: 3-line block ×3, first 2 shown]
	s_waitcnt lgkmcnt(0)
	v_xor_b32_e32 v4, 0x80000000, v4
	s_cmp_eq_u32 s29, 10
	v_xor_b32_e32 v6, 0x80000000, v6
	s_cbranch_scc1 .LBB302_28
.LBB302_2:                              ; =>This Loop Header: Depth=1
                                        ;     Child Loop BB302_4 Depth 2
	s_waitcnt vmcnt(0)
	v_xor_b32_e32 v16, 0x80000000, v16
	v_xor_b32_e32 v18, 0x80000000, v18
	v_xor_b32_e32 v12, 0x80000000, v12
	v_xor_b32_e32 v14, 0x80000000, v14
	v_xor_b32_e32 v8, 0x80000000, v8
	v_xor_b32_e32 v10, 0x80000000, v10
	v_xor_b32_e32 v4, 0x80000000, v4
	v_xor_b32_e32 v6, 0x80000000, v6
	ds_write2_b64 v41, v[15:16], v[17:18] offset1:1
	ds_write2_b64 v41, v[11:12], v[13:14] offset0:2 offset1:3
	ds_write2_b64 v41, v[7:8], v[9:10] offset0:4 offset1:5
	;; [unrolled: 1-line block ×3, first 2 shown]
	; wave barrier
	ds_read2st64_b64 v[1:4], v42 offset1:1
	ds_read2st64_b64 v[5:8], v42 offset0:2 offset1:3
	ds_read2st64_b64 v[9:12], v42 offset0:4 offset1:5
	;; [unrolled: 1-line block ×3, first 2 shown]
	v_mov_b32_e32 v29, 0
	v_mov_b32_e32 v30, 0
	s_waitcnt lgkmcnt(0)
	s_barrier
	; wave barrier
	s_barrier
	s_branch .LBB302_4
.LBB302_3:                              ;   in Loop: Header=BB302_4 Depth=2
	s_andn2_b64 vcc, exec, s[24:25]
	s_cbranch_vccz .LBB302_1
.LBB302_4:                              ;   Parent Loop BB302_2 Depth=1
                                        ; =>  This Inner Loop Header: Depth=2
	v_mov_b32_e32 v40, v2
	v_mov_b32_e32 v39, v1
	v_lshrrev_b64 v[1:2], v29, v[39:40]
	v_mov_b32_e32 v36, v6
	v_lshlrev_b32_e32 v2, 3, v1
	v_and_b32_e32 v2, 0x7f8, v2
	v_mov_b32_e32 v35, v5
	v_mov_b32_e32 v38, v4
	v_add_u32_e32 v5, v48, v2
	v_and_b32_e32 v2, 1, v1
	v_mov_b32_e32 v37, v3
	v_add_co_u32_e32 v3, vcc, -1, v2
	v_addc_co_u32_e64 v4, s[24:25], 0, -1, vcc
	v_cmp_ne_u32_e32 vcc, 0, v2
	v_lshlrev_b32_e32 v24, 30, v1
	v_xor_b32_e32 v2, vcc_hi, v4
	v_xor_b32_e32 v3, vcc_lo, v3
	v_cmp_gt_i64_e32 vcc, 0, v[23:24]
	v_not_b32_e32 v4, v24
	v_ashrrev_i32_e32 v4, 31, v4
	v_and_b32_e32 v3, exec_lo, v3
	v_xor_b32_e32 v6, vcc_hi, v4
	v_xor_b32_e32 v4, vcc_lo, v4
	v_lshlrev_b32_e32 v24, 29, v1
	v_and_b32_e32 v3, v3, v4
	v_cmp_gt_i64_e32 vcc, 0, v[23:24]
	v_not_b32_e32 v4, v24
	v_and_b32_e32 v2, exec_hi, v2
	v_ashrrev_i32_e32 v4, 31, v4
	v_and_b32_e32 v2, v2, v6
	v_xor_b32_e32 v6, vcc_hi, v4
	v_xor_b32_e32 v4, vcc_lo, v4
	v_lshlrev_b32_e32 v24, 28, v1
	v_and_b32_e32 v3, v3, v4
	v_cmp_gt_i64_e32 vcc, 0, v[23:24]
	v_not_b32_e32 v4, v24
	v_ashrrev_i32_e32 v4, 31, v4
	v_and_b32_e32 v2, v2, v6
	v_xor_b32_e32 v6, vcc_hi, v4
	v_xor_b32_e32 v4, vcc_lo, v4
	v_lshlrev_b32_e32 v24, 27, v1
	v_and_b32_e32 v3, v3, v4
	v_cmp_gt_i64_e32 vcc, 0, v[23:24]
	v_not_b32_e32 v4, v24
	;; [unrolled: 8-line block ×4, first 2 shown]
	v_ashrrev_i32_e32 v4, 31, v4
	v_lshlrev_b32_e32 v24, 24, v1
	v_and_b32_e32 v2, v2, v6
	v_xor_b32_e32 v6, vcc_hi, v4
	v_xor_b32_e32 v4, vcc_lo, v4
	v_cmp_gt_i64_e32 vcc, 0, v[23:24]
	v_not_b32_e32 v1, v24
	v_ashrrev_i32_e32 v1, 31, v1
	v_and_b32_e32 v3, v3, v4
	v_xor_b32_e32 v4, vcc_hi, v1
	v_xor_b32_e32 v1, vcc_lo, v1
	v_and_b32_e32 v2, v2, v6
	v_and_b32_e32 v1, v3, v1
	;; [unrolled: 1-line block ×3, first 2 shown]
	v_mbcnt_lo_u32_b32 v3, v1, 0
	v_mbcnt_hi_u32_b32 v6, v2, v3
	v_cmp_ne_u64_e32 vcc, 0, v[1:2]
	v_mov_b32_e32 v18, v16
	v_mov_b32_e32 v26, v14
	;; [unrolled: 1-line block ×5, first 2 shown]
	v_cmp_eq_u32_e64 s[24:25], 0, v6
	v_mov_b32_e32 v17, v15
	v_mov_b32_e32 v25, v13
	;; [unrolled: 1-line block ×5, first 2 shown]
	s_and_b64 s[34:35], vcc, s[24:25]
	ds_write2_b64 v43, v[19:20], v[21:22] offset0:1 offset1:2
	s_waitcnt lgkmcnt(0)
	s_barrier
	; wave barrier
	s_and_saveexec_b64 s[24:25], s[34:35]
; %bb.5:                                ;   in Loop: Header=BB302_4 Depth=2
	v_bcnt_u32_b32 v1, v1, 0
	v_bcnt_u32_b32 v1, v2, v1
	ds_write_b32 v5, v1 offset:8
; %bb.6:                                ;   in Loop: Header=BB302_4 Depth=2
	s_or_b64 exec, exec, s[24:25]
	v_lshrrev_b64 v[1:2], v29, v[37:38]
	v_lshlrev_b32_e32 v2, 3, v1
	v_and_b32_e32 v2, 0x7f8, v2
	v_add_u32_e32 v8, v48, v2
	v_and_b32_e32 v2, 1, v1
	v_add_co_u32_e32 v3, vcc, -1, v2
	v_addc_co_u32_e64 v4, s[24:25], 0, -1, vcc
	v_cmp_ne_u32_e32 vcc, 0, v2
	v_lshlrev_b32_e32 v24, 30, v1
	v_xor_b32_e32 v2, vcc_hi, v4
	v_xor_b32_e32 v3, vcc_lo, v3
	v_cmp_gt_i64_e32 vcc, 0, v[23:24]
	v_not_b32_e32 v4, v24
	v_ashrrev_i32_e32 v4, 31, v4
	v_and_b32_e32 v3, exec_lo, v3
	v_xor_b32_e32 v9, vcc_hi, v4
	v_xor_b32_e32 v4, vcc_lo, v4
	v_lshlrev_b32_e32 v24, 29, v1
	v_and_b32_e32 v3, v3, v4
	v_cmp_gt_i64_e32 vcc, 0, v[23:24]
	v_not_b32_e32 v4, v24
	v_and_b32_e32 v2, exec_hi, v2
	v_ashrrev_i32_e32 v4, 31, v4
	v_and_b32_e32 v2, v2, v9
	v_xor_b32_e32 v9, vcc_hi, v4
	v_xor_b32_e32 v4, vcc_lo, v4
	v_lshlrev_b32_e32 v24, 28, v1
	v_and_b32_e32 v3, v3, v4
	v_cmp_gt_i64_e32 vcc, 0, v[23:24]
	v_not_b32_e32 v4, v24
	v_ashrrev_i32_e32 v4, 31, v4
	v_and_b32_e32 v2, v2, v9
	v_xor_b32_e32 v9, vcc_hi, v4
	v_xor_b32_e32 v4, vcc_lo, v4
	v_lshlrev_b32_e32 v24, 27, v1
	v_and_b32_e32 v3, v3, v4
	v_cmp_gt_i64_e32 vcc, 0, v[23:24]
	v_not_b32_e32 v4, v24
	;; [unrolled: 8-line block ×4, first 2 shown]
	v_ashrrev_i32_e32 v4, 31, v4
	v_lshlrev_b32_e32 v24, 24, v1
	v_and_b32_e32 v2, v2, v9
	v_xor_b32_e32 v9, vcc_hi, v4
	v_xor_b32_e32 v4, vcc_lo, v4
	v_cmp_gt_i64_e32 vcc, 0, v[23:24]
	v_not_b32_e32 v1, v24
	v_ashrrev_i32_e32 v1, 31, v1
	v_and_b32_e32 v3, v3, v4
	v_xor_b32_e32 v4, vcc_hi, v1
	v_xor_b32_e32 v1, vcc_lo, v1
	; wave barrier
	ds_read_b32 v7, v8 offset:8
	v_and_b32_e32 v2, v2, v9
	v_and_b32_e32 v1, v3, v1
	;; [unrolled: 1-line block ×3, first 2 shown]
	v_mbcnt_lo_u32_b32 v3, v1, 0
	v_mbcnt_hi_u32_b32 v9, v2, v3
	v_cmp_ne_u64_e32 vcc, 0, v[1:2]
	v_cmp_eq_u32_e64 s[24:25], 0, v9
	s_and_b64 s[34:35], vcc, s[24:25]
	; wave barrier
	s_and_saveexec_b64 s[24:25], s[34:35]
	s_cbranch_execz .LBB302_8
; %bb.7:                                ;   in Loop: Header=BB302_4 Depth=2
	v_bcnt_u32_b32 v1, v1, 0
	v_bcnt_u32_b32 v1, v2, v1
	s_waitcnt lgkmcnt(0)
	v_add_u32_e32 v1, v7, v1
	ds_write_b32 v8, v1 offset:8
.LBB302_8:                              ;   in Loop: Header=BB302_4 Depth=2
	s_or_b64 exec, exec, s[24:25]
	v_lshrrev_b64 v[1:2], v29, v[35:36]
	v_lshlrev_b32_e32 v2, 3, v1
	v_and_b32_e32 v2, 0x7f8, v2
	v_add_u32_e32 v11, v48, v2
	v_and_b32_e32 v2, 1, v1
	v_add_co_u32_e32 v3, vcc, -1, v2
	v_addc_co_u32_e64 v4, s[24:25], 0, -1, vcc
	v_cmp_ne_u32_e32 vcc, 0, v2
	v_lshlrev_b32_e32 v24, 30, v1
	v_xor_b32_e32 v2, vcc_hi, v4
	v_xor_b32_e32 v3, vcc_lo, v3
	v_cmp_gt_i64_e32 vcc, 0, v[23:24]
	v_not_b32_e32 v4, v24
	v_ashrrev_i32_e32 v4, 31, v4
	v_and_b32_e32 v3, exec_lo, v3
	v_xor_b32_e32 v12, vcc_hi, v4
	v_xor_b32_e32 v4, vcc_lo, v4
	v_lshlrev_b32_e32 v24, 29, v1
	v_and_b32_e32 v3, v3, v4
	v_cmp_gt_i64_e32 vcc, 0, v[23:24]
	v_not_b32_e32 v4, v24
	v_and_b32_e32 v2, exec_hi, v2
	v_ashrrev_i32_e32 v4, 31, v4
	v_and_b32_e32 v2, v2, v12
	v_xor_b32_e32 v12, vcc_hi, v4
	v_xor_b32_e32 v4, vcc_lo, v4
	v_lshlrev_b32_e32 v24, 28, v1
	v_and_b32_e32 v3, v3, v4
	v_cmp_gt_i64_e32 vcc, 0, v[23:24]
	v_not_b32_e32 v4, v24
	v_ashrrev_i32_e32 v4, 31, v4
	v_and_b32_e32 v2, v2, v12
	v_xor_b32_e32 v12, vcc_hi, v4
	v_xor_b32_e32 v4, vcc_lo, v4
	v_lshlrev_b32_e32 v24, 27, v1
	v_and_b32_e32 v3, v3, v4
	v_cmp_gt_i64_e32 vcc, 0, v[23:24]
	v_not_b32_e32 v4, v24
	;; [unrolled: 8-line block ×4, first 2 shown]
	v_ashrrev_i32_e32 v4, 31, v4
	v_lshlrev_b32_e32 v24, 24, v1
	v_and_b32_e32 v2, v2, v12
	v_xor_b32_e32 v12, vcc_hi, v4
	v_xor_b32_e32 v4, vcc_lo, v4
	v_cmp_gt_i64_e32 vcc, 0, v[23:24]
	v_not_b32_e32 v1, v24
	v_ashrrev_i32_e32 v1, 31, v1
	v_and_b32_e32 v3, v3, v4
	v_xor_b32_e32 v4, vcc_hi, v1
	v_xor_b32_e32 v1, vcc_lo, v1
	; wave barrier
	ds_read_b32 v10, v11 offset:8
	v_and_b32_e32 v2, v2, v12
	v_and_b32_e32 v1, v3, v1
	v_and_b32_e32 v2, v2, v4
	v_mbcnt_lo_u32_b32 v3, v1, 0
	v_mbcnt_hi_u32_b32 v12, v2, v3
	v_cmp_ne_u64_e32 vcc, 0, v[1:2]
	v_cmp_eq_u32_e64 s[24:25], 0, v12
	s_and_b64 s[34:35], vcc, s[24:25]
	; wave barrier
	s_and_saveexec_b64 s[24:25], s[34:35]
	s_cbranch_execz .LBB302_10
; %bb.9:                                ;   in Loop: Header=BB302_4 Depth=2
	v_bcnt_u32_b32 v1, v1, 0
	v_bcnt_u32_b32 v1, v2, v1
	s_waitcnt lgkmcnt(0)
	v_add_u32_e32 v1, v10, v1
	ds_write_b32 v11, v1 offset:8
.LBB302_10:                             ;   in Loop: Header=BB302_4 Depth=2
	s_or_b64 exec, exec, s[24:25]
	v_lshrrev_b64 v[1:2], v29, v[33:34]
	v_lshlrev_b32_e32 v2, 3, v1
	v_and_b32_e32 v2, 0x7f8, v2
	v_add_u32_e32 v14, v48, v2
	v_and_b32_e32 v2, 1, v1
	v_add_co_u32_e32 v3, vcc, -1, v2
	v_addc_co_u32_e64 v4, s[24:25], 0, -1, vcc
	v_cmp_ne_u32_e32 vcc, 0, v2
	v_lshlrev_b32_e32 v24, 30, v1
	v_xor_b32_e32 v2, vcc_hi, v4
	v_xor_b32_e32 v3, vcc_lo, v3
	v_cmp_gt_i64_e32 vcc, 0, v[23:24]
	v_not_b32_e32 v4, v24
	v_ashrrev_i32_e32 v4, 31, v4
	v_and_b32_e32 v3, exec_lo, v3
	v_xor_b32_e32 v15, vcc_hi, v4
	v_xor_b32_e32 v4, vcc_lo, v4
	v_lshlrev_b32_e32 v24, 29, v1
	v_and_b32_e32 v3, v3, v4
	v_cmp_gt_i64_e32 vcc, 0, v[23:24]
	v_not_b32_e32 v4, v24
	v_and_b32_e32 v2, exec_hi, v2
	v_ashrrev_i32_e32 v4, 31, v4
	v_and_b32_e32 v2, v2, v15
	v_xor_b32_e32 v15, vcc_hi, v4
	v_xor_b32_e32 v4, vcc_lo, v4
	v_lshlrev_b32_e32 v24, 28, v1
	v_and_b32_e32 v3, v3, v4
	v_cmp_gt_i64_e32 vcc, 0, v[23:24]
	v_not_b32_e32 v4, v24
	v_ashrrev_i32_e32 v4, 31, v4
	v_and_b32_e32 v2, v2, v15
	v_xor_b32_e32 v15, vcc_hi, v4
	v_xor_b32_e32 v4, vcc_lo, v4
	v_lshlrev_b32_e32 v24, 27, v1
	v_and_b32_e32 v3, v3, v4
	v_cmp_gt_i64_e32 vcc, 0, v[23:24]
	v_not_b32_e32 v4, v24
	;; [unrolled: 8-line block ×4, first 2 shown]
	v_ashrrev_i32_e32 v4, 31, v4
	v_lshlrev_b32_e32 v24, 24, v1
	v_and_b32_e32 v2, v2, v15
	v_xor_b32_e32 v15, vcc_hi, v4
	v_xor_b32_e32 v4, vcc_lo, v4
	v_cmp_gt_i64_e32 vcc, 0, v[23:24]
	v_not_b32_e32 v1, v24
	v_ashrrev_i32_e32 v1, 31, v1
	v_and_b32_e32 v3, v3, v4
	v_xor_b32_e32 v4, vcc_hi, v1
	v_xor_b32_e32 v1, vcc_lo, v1
	; wave barrier
	ds_read_b32 v13, v14 offset:8
	v_and_b32_e32 v2, v2, v15
	v_and_b32_e32 v1, v3, v1
	;; [unrolled: 1-line block ×3, first 2 shown]
	v_mbcnt_lo_u32_b32 v3, v1, 0
	v_mbcnt_hi_u32_b32 v15, v2, v3
	v_cmp_ne_u64_e32 vcc, 0, v[1:2]
	v_cmp_eq_u32_e64 s[24:25], 0, v15
	s_and_b64 s[34:35], vcc, s[24:25]
	; wave barrier
	s_and_saveexec_b64 s[24:25], s[34:35]
	s_cbranch_execz .LBB302_12
; %bb.11:                               ;   in Loop: Header=BB302_4 Depth=2
	v_bcnt_u32_b32 v1, v1, 0
	v_bcnt_u32_b32 v1, v2, v1
	s_waitcnt lgkmcnt(0)
	v_add_u32_e32 v1, v13, v1
	ds_write_b32 v14, v1 offset:8
.LBB302_12:                             ;   in Loop: Header=BB302_4 Depth=2
	s_or_b64 exec, exec, s[24:25]
	v_lshrrev_b64 v[1:2], v29, v[31:32]
	v_lshlrev_b32_e32 v2, 3, v1
	v_and_b32_e32 v2, 0x7f8, v2
	v_add_u32_e32 v50, v48, v2
	v_and_b32_e32 v2, 1, v1
	v_add_co_u32_e32 v3, vcc, -1, v2
	v_addc_co_u32_e64 v4, s[24:25], 0, -1, vcc
	v_cmp_ne_u32_e32 vcc, 0, v2
	v_lshlrev_b32_e32 v24, 30, v1
	v_xor_b32_e32 v2, vcc_hi, v4
	v_xor_b32_e32 v3, vcc_lo, v3
	v_cmp_gt_i64_e32 vcc, 0, v[23:24]
	v_not_b32_e32 v4, v24
	v_ashrrev_i32_e32 v4, 31, v4
	v_and_b32_e32 v2, exec_hi, v2
	v_xor_b32_e32 v24, vcc_hi, v4
	v_and_b32_e32 v3, exec_lo, v3
	v_xor_b32_e32 v4, vcc_lo, v4
	v_and_b32_e32 v2, v2, v24
	v_lshlrev_b32_e32 v24, 29, v1
	v_and_b32_e32 v3, v3, v4
	v_cmp_gt_i64_e32 vcc, 0, v[23:24]
	v_not_b32_e32 v4, v24
	v_ashrrev_i32_e32 v4, 31, v4
	v_xor_b32_e32 v24, vcc_hi, v4
	v_xor_b32_e32 v4, vcc_lo, v4
	v_and_b32_e32 v2, v2, v24
	v_lshlrev_b32_e32 v24, 28, v1
	v_and_b32_e32 v3, v3, v4
	v_cmp_gt_i64_e32 vcc, 0, v[23:24]
	v_not_b32_e32 v4, v24
	v_ashrrev_i32_e32 v4, 31, v4
	v_xor_b32_e32 v24, vcc_hi, v4
	;; [unrolled: 8-line block ×5, first 2 shown]
	v_and_b32_e32 v2, v2, v24
	v_lshlrev_b32_e32 v24, 24, v1
	v_xor_b32_e32 v4, vcc_lo, v4
	v_cmp_gt_i64_e32 vcc, 0, v[23:24]
	v_not_b32_e32 v1, v24
	v_ashrrev_i32_e32 v1, 31, v1
	v_and_b32_e32 v3, v3, v4
	v_xor_b32_e32 v4, vcc_hi, v1
	v_xor_b32_e32 v1, vcc_lo, v1
	; wave barrier
	ds_read_b32 v16, v50 offset:8
	v_and_b32_e32 v1, v3, v1
	v_and_b32_e32 v2, v2, v4
	v_mbcnt_lo_u32_b32 v3, v1, 0
	v_mbcnt_hi_u32_b32 v51, v2, v3
	v_cmp_ne_u64_e32 vcc, 0, v[1:2]
	v_cmp_eq_u32_e64 s[24:25], 0, v51
	s_and_b64 s[34:35], vcc, s[24:25]
	; wave barrier
	s_and_saveexec_b64 s[24:25], s[34:35]
	s_cbranch_execz .LBB302_14
; %bb.13:                               ;   in Loop: Header=BB302_4 Depth=2
	v_bcnt_u32_b32 v1, v1, 0
	v_bcnt_u32_b32 v1, v2, v1
	s_waitcnt lgkmcnt(0)
	v_add_u32_e32 v1, v16, v1
	ds_write_b32 v50, v1 offset:8
.LBB302_14:                             ;   in Loop: Header=BB302_4 Depth=2
	s_or_b64 exec, exec, s[24:25]
	v_lshrrev_b64 v[1:2], v29, v[27:28]
	v_lshlrev_b32_e32 v2, 3, v1
	v_and_b32_e32 v2, 0x7f8, v2
	v_add_u32_e32 v53, v48, v2
	v_and_b32_e32 v2, 1, v1
	v_add_co_u32_e32 v3, vcc, -1, v2
	v_addc_co_u32_e64 v4, s[24:25], 0, -1, vcc
	v_cmp_ne_u32_e32 vcc, 0, v2
	v_lshlrev_b32_e32 v24, 30, v1
	v_xor_b32_e32 v2, vcc_hi, v4
	v_xor_b32_e32 v3, vcc_lo, v3
	v_cmp_gt_i64_e32 vcc, 0, v[23:24]
	v_not_b32_e32 v4, v24
	v_ashrrev_i32_e32 v4, 31, v4
	v_and_b32_e32 v2, exec_hi, v2
	v_xor_b32_e32 v24, vcc_hi, v4
	v_and_b32_e32 v3, exec_lo, v3
	v_xor_b32_e32 v4, vcc_lo, v4
	v_and_b32_e32 v2, v2, v24
	v_lshlrev_b32_e32 v24, 29, v1
	v_and_b32_e32 v3, v3, v4
	v_cmp_gt_i64_e32 vcc, 0, v[23:24]
	v_not_b32_e32 v4, v24
	v_ashrrev_i32_e32 v4, 31, v4
	v_xor_b32_e32 v24, vcc_hi, v4
	v_xor_b32_e32 v4, vcc_lo, v4
	v_and_b32_e32 v2, v2, v24
	v_lshlrev_b32_e32 v24, 28, v1
	v_and_b32_e32 v3, v3, v4
	v_cmp_gt_i64_e32 vcc, 0, v[23:24]
	v_not_b32_e32 v4, v24
	v_ashrrev_i32_e32 v4, 31, v4
	v_xor_b32_e32 v24, vcc_hi, v4
	;; [unrolled: 8-line block ×5, first 2 shown]
	v_and_b32_e32 v2, v2, v24
	v_lshlrev_b32_e32 v24, 24, v1
	v_xor_b32_e32 v4, vcc_lo, v4
	v_cmp_gt_i64_e32 vcc, 0, v[23:24]
	v_not_b32_e32 v1, v24
	v_ashrrev_i32_e32 v1, 31, v1
	v_and_b32_e32 v3, v3, v4
	v_xor_b32_e32 v4, vcc_hi, v1
	v_xor_b32_e32 v1, vcc_lo, v1
	; wave barrier
	ds_read_b32 v52, v53 offset:8
	v_and_b32_e32 v1, v3, v1
	v_and_b32_e32 v2, v2, v4
	v_mbcnt_lo_u32_b32 v3, v1, 0
	v_mbcnt_hi_u32_b32 v54, v2, v3
	v_cmp_ne_u64_e32 vcc, 0, v[1:2]
	v_cmp_eq_u32_e64 s[24:25], 0, v54
	s_and_b64 s[34:35], vcc, s[24:25]
	; wave barrier
	s_and_saveexec_b64 s[24:25], s[34:35]
	s_cbranch_execz .LBB302_16
; %bb.15:                               ;   in Loop: Header=BB302_4 Depth=2
	v_bcnt_u32_b32 v1, v1, 0
	v_bcnt_u32_b32 v1, v2, v1
	s_waitcnt lgkmcnt(0)
	v_add_u32_e32 v1, v52, v1
	ds_write_b32 v53, v1 offset:8
.LBB302_16:                             ;   in Loop: Header=BB302_4 Depth=2
	s_or_b64 exec, exec, s[24:25]
	v_lshrrev_b64 v[1:2], v29, v[25:26]
	v_lshlrev_b32_e32 v2, 3, v1
	v_and_b32_e32 v2, 0x7f8, v2
	v_add_u32_e32 v56, v48, v2
	v_and_b32_e32 v2, 1, v1
	v_add_co_u32_e32 v3, vcc, -1, v2
	v_addc_co_u32_e64 v4, s[24:25], 0, -1, vcc
	v_cmp_ne_u32_e32 vcc, 0, v2
	v_lshlrev_b32_e32 v24, 30, v1
	v_xor_b32_e32 v2, vcc_hi, v4
	v_xor_b32_e32 v3, vcc_lo, v3
	v_cmp_gt_i64_e32 vcc, 0, v[23:24]
	v_not_b32_e32 v4, v24
	v_ashrrev_i32_e32 v4, 31, v4
	v_and_b32_e32 v2, exec_hi, v2
	v_xor_b32_e32 v24, vcc_hi, v4
	v_and_b32_e32 v3, exec_lo, v3
	v_xor_b32_e32 v4, vcc_lo, v4
	v_and_b32_e32 v2, v2, v24
	v_lshlrev_b32_e32 v24, 29, v1
	v_and_b32_e32 v3, v3, v4
	v_cmp_gt_i64_e32 vcc, 0, v[23:24]
	v_not_b32_e32 v4, v24
	v_ashrrev_i32_e32 v4, 31, v4
	v_xor_b32_e32 v24, vcc_hi, v4
	v_xor_b32_e32 v4, vcc_lo, v4
	v_and_b32_e32 v2, v2, v24
	v_lshlrev_b32_e32 v24, 28, v1
	v_and_b32_e32 v3, v3, v4
	v_cmp_gt_i64_e32 vcc, 0, v[23:24]
	v_not_b32_e32 v4, v24
	v_ashrrev_i32_e32 v4, 31, v4
	v_xor_b32_e32 v24, vcc_hi, v4
	;; [unrolled: 8-line block ×5, first 2 shown]
	v_and_b32_e32 v2, v2, v24
	v_lshlrev_b32_e32 v24, 24, v1
	v_xor_b32_e32 v4, vcc_lo, v4
	v_cmp_gt_i64_e32 vcc, 0, v[23:24]
	v_not_b32_e32 v1, v24
	v_ashrrev_i32_e32 v1, 31, v1
	v_and_b32_e32 v3, v3, v4
	v_xor_b32_e32 v4, vcc_hi, v1
	v_xor_b32_e32 v1, vcc_lo, v1
	; wave barrier
	ds_read_b32 v55, v56 offset:8
	v_and_b32_e32 v1, v3, v1
	v_and_b32_e32 v2, v2, v4
	v_mbcnt_lo_u32_b32 v3, v1, 0
	v_mbcnt_hi_u32_b32 v57, v2, v3
	v_cmp_ne_u64_e32 vcc, 0, v[1:2]
	v_cmp_eq_u32_e64 s[24:25], 0, v57
	s_and_b64 s[34:35], vcc, s[24:25]
	; wave barrier
	s_and_saveexec_b64 s[24:25], s[34:35]
	s_cbranch_execz .LBB302_18
; %bb.17:                               ;   in Loop: Header=BB302_4 Depth=2
	v_bcnt_u32_b32 v1, v1, 0
	v_bcnt_u32_b32 v1, v2, v1
	s_waitcnt lgkmcnt(0)
	v_add_u32_e32 v1, v55, v1
	ds_write_b32 v56, v1 offset:8
.LBB302_18:                             ;   in Loop: Header=BB302_4 Depth=2
	s_or_b64 exec, exec, s[24:25]
	v_lshrrev_b64 v[1:2], v29, v[17:18]
	v_lshlrev_b32_e32 v2, 3, v1
	v_and_b32_e32 v2, 0x7f8, v2
	v_add_u32_e32 v59, v48, v2
	v_and_b32_e32 v2, 1, v1
	v_add_co_u32_e32 v3, vcc, -1, v2
	v_addc_co_u32_e64 v4, s[24:25], 0, -1, vcc
	v_cmp_ne_u32_e32 vcc, 0, v2
	v_lshlrev_b32_e32 v24, 30, v1
	v_xor_b32_e32 v2, vcc_hi, v4
	v_xor_b32_e32 v3, vcc_lo, v3
	v_cmp_gt_i64_e32 vcc, 0, v[23:24]
	v_not_b32_e32 v4, v24
	v_ashrrev_i32_e32 v4, 31, v4
	v_and_b32_e32 v2, exec_hi, v2
	v_xor_b32_e32 v24, vcc_hi, v4
	v_and_b32_e32 v3, exec_lo, v3
	v_xor_b32_e32 v4, vcc_lo, v4
	v_and_b32_e32 v2, v2, v24
	v_lshlrev_b32_e32 v24, 29, v1
	v_and_b32_e32 v3, v3, v4
	v_cmp_gt_i64_e32 vcc, 0, v[23:24]
	v_not_b32_e32 v4, v24
	v_ashrrev_i32_e32 v4, 31, v4
	v_xor_b32_e32 v24, vcc_hi, v4
	v_xor_b32_e32 v4, vcc_lo, v4
	v_and_b32_e32 v2, v2, v24
	v_lshlrev_b32_e32 v24, 28, v1
	v_and_b32_e32 v3, v3, v4
	v_cmp_gt_i64_e32 vcc, 0, v[23:24]
	v_not_b32_e32 v4, v24
	v_ashrrev_i32_e32 v4, 31, v4
	v_xor_b32_e32 v24, vcc_hi, v4
	;; [unrolled: 8-line block ×5, first 2 shown]
	v_and_b32_e32 v2, v2, v24
	v_lshlrev_b32_e32 v24, 24, v1
	v_xor_b32_e32 v4, vcc_lo, v4
	v_cmp_gt_i64_e32 vcc, 0, v[23:24]
	v_not_b32_e32 v1, v24
	v_ashrrev_i32_e32 v1, 31, v1
	v_and_b32_e32 v3, v3, v4
	v_xor_b32_e32 v4, vcc_hi, v1
	v_xor_b32_e32 v1, vcc_lo, v1
	; wave barrier
	ds_read_b32 v58, v59 offset:8
	v_and_b32_e32 v1, v3, v1
	v_and_b32_e32 v2, v2, v4
	v_mbcnt_lo_u32_b32 v3, v1, 0
	v_mbcnt_hi_u32_b32 v24, v2, v3
	v_cmp_ne_u64_e32 vcc, 0, v[1:2]
	v_cmp_eq_u32_e64 s[24:25], 0, v24
	s_and_b64 s[34:35], vcc, s[24:25]
	; wave barrier
	s_and_saveexec_b64 s[24:25], s[34:35]
	s_cbranch_execz .LBB302_20
; %bb.19:                               ;   in Loop: Header=BB302_4 Depth=2
	v_bcnt_u32_b32 v1, v1, 0
	v_bcnt_u32_b32 v1, v2, v1
	s_waitcnt lgkmcnt(0)
	v_add_u32_e32 v1, v58, v1
	ds_write_b32 v59, v1 offset:8
.LBB302_20:                             ;   in Loop: Header=BB302_4 Depth=2
	s_or_b64 exec, exec, s[24:25]
	; wave barrier
	s_waitcnt lgkmcnt(0)
	s_barrier
	ds_read2_b64 v[1:4], v43 offset0:1 offset1:2
	s_waitcnt lgkmcnt(0)
	v_add_u32_e32 v60, v2, v1
	v_add3_u32 v4, v60, v3, v4
	s_nop 1
	v_mov_b32_dpp v60, v4 row_shr:1 row_mask:0xf bank_mask:0xf
	v_cndmask_b32_e64 v60, v60, 0, s[0:1]
	v_add_u32_e32 v4, v60, v4
	s_nop 1
	v_mov_b32_dpp v60, v4 row_shr:2 row_mask:0xf bank_mask:0xf
	v_cndmask_b32_e64 v60, 0, v60, s[2:3]
	v_add_u32_e32 v4, v4, v60
	;; [unrolled: 4-line block ×4, first 2 shown]
	s_nop 1
	v_mov_b32_dpp v60, v4 row_bcast:15 row_mask:0xf bank_mask:0xf
	v_cndmask_b32_e64 v60, v60, 0, s[8:9]
	v_add_u32_e32 v4, v4, v60
	s_nop 1
	v_mov_b32_dpp v60, v4 row_bcast:31 row_mask:0xf bank_mask:0xf
	v_cndmask_b32_e64 v60, 0, v60, s[10:11]
	v_add_u32_e32 v4, v4, v60
	s_and_saveexec_b64 s[24:25], s[12:13]
; %bb.21:                               ;   in Loop: Header=BB302_4 Depth=2
	ds_write_b32 v45, v4
; %bb.22:                               ;   in Loop: Header=BB302_4 Depth=2
	s_or_b64 exec, exec, s[24:25]
	s_waitcnt lgkmcnt(0)
	s_barrier
	s_and_saveexec_b64 s[24:25], s[14:15]
	s_cbranch_execz .LBB302_24
; %bb.23:                               ;   in Loop: Header=BB302_4 Depth=2
	ds_read_b32 v60, v46
	s_waitcnt lgkmcnt(0)
	s_nop 0
	v_mov_b32_dpp v61, v60 row_shr:1 row_mask:0xf bank_mask:0xf
	v_cndmask_b32_e64 v61, v61, 0, s[22:23]
	v_add_u32_e32 v60, v61, v60
	ds_write_b32 v46, v60
.LBB302_24:                             ;   in Loop: Header=BB302_4 Depth=2
	s_or_b64 exec, exec, s[24:25]
	v_mov_b32_e32 v60, 0
	s_waitcnt lgkmcnt(0)
	s_barrier
	s_and_saveexec_b64 s[24:25], s[16:17]
; %bb.25:                               ;   in Loop: Header=BB302_4 Depth=2
	ds_read_b32 v60, v47
; %bb.26:                               ;   in Loop: Header=BB302_4 Depth=2
	s_or_b64 exec, exec, s[24:25]
	s_waitcnt lgkmcnt(0)
	v_add_u32_e32 v4, v60, v4
	ds_bpermute_b32 v4, v44, v4
	v_cmp_lt_u32_e32 vcc, 55, v29
	s_and_b64 vcc, exec, vcc
	s_mov_b64 s[24:25], -1
	s_waitcnt lgkmcnt(0)
	v_cndmask_b32_e64 v4, v4, v60, s[18:19]
	v_cndmask_b32_e64 v60, v4, 0, s[20:21]
	v_add_u32_e32 v61, v60, v1
	v_add_u32_e32 v1, v61, v2
	;; [unrolled: 1-line block ×3, first 2 shown]
	ds_write2_b64 v43, v[60:61], v[1:2] offset0:1 offset1:2
	s_waitcnt lgkmcnt(0)
	s_barrier
	ds_read_b32 v1, v5 offset:8
	ds_read_b32 v2, v8 offset:8
	;; [unrolled: 1-line block ×8, first 2 shown]
	s_waitcnt lgkmcnt(7)
	v_add_u32_e32 v61, v1, v6
	s_waitcnt lgkmcnt(6)
	v_add3_u32 v60, v9, v7, v2
	s_waitcnt lgkmcnt(5)
	v_add3_u32 v59, v12, v10, v3
	;; [unrolled: 2-line block ×7, first 2 shown]
                                        ; implicit-def: $vgpr15_vgpr16
                                        ; implicit-def: $vgpr11_vgpr12
                                        ; implicit-def: $vgpr7_vgpr8
                                        ; implicit-def: $vgpr3_vgpr4
	s_cbranch_vccnz .LBB302_3
; %bb.27:                               ;   in Loop: Header=BB302_4 Depth=2
	v_lshlrev_b32_e32 v1, 3, v61
	s_barrier
	ds_write_b64 v1, v[39:40]
	v_lshlrev_b32_e32 v1, 3, v60
	ds_write_b64 v1, v[37:38]
	v_lshlrev_b32_e32 v1, 3, v59
	ds_write_b64 v1, v[35:36]
	v_lshlrev_b32_e32 v1, 3, v56
	ds_write_b64 v1, v[33:34]
	v_lshlrev_b32_e32 v1, 3, v53
	ds_write_b64 v1, v[31:32]
	v_lshlrev_b32_e32 v1, 3, v51
	ds_write_b64 v1, v[27:28]
	v_lshlrev_b32_e32 v1, 3, v50
	ds_write_b64 v1, v[25:26]
	v_lshlrev_b32_e32 v1, 3, v24
	ds_write_b64 v1, v[17:18]
	s_waitcnt lgkmcnt(0)
	s_barrier
	ds_read2st64_b64 v[1:4], v42 offset1:1
	ds_read2st64_b64 v[5:8], v42 offset0:2 offset1:3
	ds_read2st64_b64 v[9:12], v42 offset0:4 offset1:5
	;; [unrolled: 1-line block ×3, first 2 shown]
	v_add_co_u32_e32 v29, vcc, 8, v29
	v_addc_co_u32_e32 v30, vcc, 0, v30, vcc
	s_mov_b64 s[24:25], 0
	s_waitcnt lgkmcnt(0)
	s_barrier
	s_branch .LBB302_3
.LBB302_28:
	s_add_u32 s0, s26, s30
	s_addc_u32 s1, s27, s31
	v_lshlrev_b32_e32 v0, 3, v0
	v_mov_b32_e32 v1, s1
	v_add_co_u32_e32 v2, vcc, s0, v0
	v_addc_co_u32_e32 v1, vcc, 0, v1, vcc
	global_store_dwordx2 v0, v[15:16], s[0:1]
	global_store_dwordx2 v0, v[17:18], s[0:1] offset:1024
	global_store_dwordx2 v0, v[11:12], s[0:1] offset:2048
	;; [unrolled: 1-line block ×3, first 2 shown]
	v_add_co_u32_e32 v0, vcc, 0x1000, v2
	v_addc_co_u32_e32 v1, vcc, 0, v1, vcc
	global_store_dwordx2 v[0:1], v[7:8], off
	global_store_dwordx2 v[0:1], v[9:10], off offset:1024
	global_store_dwordx2 v[0:1], v[3:4], off offset:2048
	;; [unrolled: 1-line block ×3, first 2 shown]
	s_endpgm
	.section	.rodata,"a",@progbits
	.p2align	6, 0x0
	.amdhsa_kernel _Z16sort_keys_kernelI22helper_blocked_stripedxLj128ELj8ELj10EEvPKT0_PS1_
		.amdhsa_group_segment_fixed_size 8192
		.amdhsa_private_segment_fixed_size 0
		.amdhsa_kernarg_size 272
		.amdhsa_user_sgpr_count 6
		.amdhsa_user_sgpr_private_segment_buffer 1
		.amdhsa_user_sgpr_dispatch_ptr 0
		.amdhsa_user_sgpr_queue_ptr 0
		.amdhsa_user_sgpr_kernarg_segment_ptr 1
		.amdhsa_user_sgpr_dispatch_id 0
		.amdhsa_user_sgpr_flat_scratch_init 0
		.amdhsa_user_sgpr_private_segment_size 0
		.amdhsa_uses_dynamic_stack 0
		.amdhsa_system_sgpr_private_segment_wavefront_offset 0
		.amdhsa_system_sgpr_workgroup_id_x 1
		.amdhsa_system_sgpr_workgroup_id_y 0
		.amdhsa_system_sgpr_workgroup_id_z 0
		.amdhsa_system_sgpr_workgroup_info 0
		.amdhsa_system_vgpr_workitem_id 2
		.amdhsa_next_free_vgpr 62
		.amdhsa_next_free_sgpr 98
		.amdhsa_reserve_vcc 1
		.amdhsa_reserve_flat_scratch 0
		.amdhsa_float_round_mode_32 0
		.amdhsa_float_round_mode_16_64 0
		.amdhsa_float_denorm_mode_32 3
		.amdhsa_float_denorm_mode_16_64 3
		.amdhsa_dx10_clamp 1
		.amdhsa_ieee_mode 1
		.amdhsa_fp16_overflow 0
		.amdhsa_exception_fp_ieee_invalid_op 0
		.amdhsa_exception_fp_denorm_src 0
		.amdhsa_exception_fp_ieee_div_zero 0
		.amdhsa_exception_fp_ieee_overflow 0
		.amdhsa_exception_fp_ieee_underflow 0
		.amdhsa_exception_fp_ieee_inexact 0
		.amdhsa_exception_int_div_zero 0
	.end_amdhsa_kernel
	.section	.text._Z16sort_keys_kernelI22helper_blocked_stripedxLj128ELj8ELj10EEvPKT0_PS1_,"axG",@progbits,_Z16sort_keys_kernelI22helper_blocked_stripedxLj128ELj8ELj10EEvPKT0_PS1_,comdat
.Lfunc_end302:
	.size	_Z16sort_keys_kernelI22helper_blocked_stripedxLj128ELj8ELj10EEvPKT0_PS1_, .Lfunc_end302-_Z16sort_keys_kernelI22helper_blocked_stripedxLj128ELj8ELj10EEvPKT0_PS1_
                                        ; -- End function
	.set _Z16sort_keys_kernelI22helper_blocked_stripedxLj128ELj8ELj10EEvPKT0_PS1_.num_vgpr, 62
	.set _Z16sort_keys_kernelI22helper_blocked_stripedxLj128ELj8ELj10EEvPKT0_PS1_.num_agpr, 0
	.set _Z16sort_keys_kernelI22helper_blocked_stripedxLj128ELj8ELj10EEvPKT0_PS1_.numbered_sgpr, 36
	.set _Z16sort_keys_kernelI22helper_blocked_stripedxLj128ELj8ELj10EEvPKT0_PS1_.num_named_barrier, 0
	.set _Z16sort_keys_kernelI22helper_blocked_stripedxLj128ELj8ELj10EEvPKT0_PS1_.private_seg_size, 0
	.set _Z16sort_keys_kernelI22helper_blocked_stripedxLj128ELj8ELj10EEvPKT0_PS1_.uses_vcc, 1
	.set _Z16sort_keys_kernelI22helper_blocked_stripedxLj128ELj8ELj10EEvPKT0_PS1_.uses_flat_scratch, 0
	.set _Z16sort_keys_kernelI22helper_blocked_stripedxLj128ELj8ELj10EEvPKT0_PS1_.has_dyn_sized_stack, 0
	.set _Z16sort_keys_kernelI22helper_blocked_stripedxLj128ELj8ELj10EEvPKT0_PS1_.has_recursion, 0
	.set _Z16sort_keys_kernelI22helper_blocked_stripedxLj128ELj8ELj10EEvPKT0_PS1_.has_indirect_call, 0
	.section	.AMDGPU.csdata,"",@progbits
; Kernel info:
; codeLenInByte = 4544
; TotalNumSgprs: 40
; NumVgprs: 62
; ScratchSize: 0
; MemoryBound: 0
; FloatMode: 240
; IeeeMode: 1
; LDSByteSize: 8192 bytes/workgroup (compile time only)
; SGPRBlocks: 12
; VGPRBlocks: 15
; NumSGPRsForWavesPerEU: 102
; NumVGPRsForWavesPerEU: 62
; Occupancy: 4
; WaveLimiterHint : 1
; COMPUTE_PGM_RSRC2:SCRATCH_EN: 0
; COMPUTE_PGM_RSRC2:USER_SGPR: 6
; COMPUTE_PGM_RSRC2:TRAP_HANDLER: 0
; COMPUTE_PGM_RSRC2:TGID_X_EN: 1
; COMPUTE_PGM_RSRC2:TGID_Y_EN: 0
; COMPUTE_PGM_RSRC2:TGID_Z_EN: 0
; COMPUTE_PGM_RSRC2:TIDIG_COMP_CNT: 2
	.section	.text._Z17sort_pairs_kernelI22helper_blocked_stripedxLj128ELj8ELj10EEvPKT0_PS1_,"axG",@progbits,_Z17sort_pairs_kernelI22helper_blocked_stripedxLj128ELj8ELj10EEvPKT0_PS1_,comdat
	.protected	_Z17sort_pairs_kernelI22helper_blocked_stripedxLj128ELj8ELj10EEvPKT0_PS1_ ; -- Begin function _Z17sort_pairs_kernelI22helper_blocked_stripedxLj128ELj8ELj10EEvPKT0_PS1_
	.globl	_Z17sort_pairs_kernelI22helper_blocked_stripedxLj128ELj8ELj10EEvPKT0_PS1_
	.p2align	8
	.type	_Z17sort_pairs_kernelI22helper_blocked_stripedxLj128ELj8ELj10EEvPKT0_PS1_,@function
_Z17sort_pairs_kernelI22helper_blocked_stripedxLj128ELj8ELj10EEvPKT0_PS1_: ; @_Z17sort_pairs_kernelI22helper_blocked_stripedxLj128ELj8ELj10EEvPKT0_PS1_
; %bb.0:
	s_load_dwordx4 s[24:27], s[4:5], 0x0
	s_load_dword s33, s[4:5], 0x1c
	s_lshl_b32 s30, s6, 10
	s_mov_b32 s31, 0
	s_lshl_b64 s[28:29], s[30:31], 3
	s_waitcnt lgkmcnt(0)
	s_add_u32 s0, s24, s28
	s_addc_u32 s1, s25, s29
	v_lshlrev_b32_e32 v19, 6, v0
	global_load_dwordx4 v[15:18], v19, s[0:1]
	global_load_dwordx4 v[11:14], v19, s[0:1] offset:16
	global_load_dwordx4 v[7:10], v19, s[0:1] offset:32
	global_load_dwordx4 v[3:6], v19, s[0:1] offset:48
	v_mbcnt_lo_u32_b32 v20, -1, 0
	v_mbcnt_hi_u32_b32 v20, -1, v20
	v_subrev_co_u32_e64 v25, s[8:9], 1, v20
	v_and_b32_e32 v26, 64, v20
	v_and_b32_e32 v19, 0x1000, v19
	v_cmp_lt_i32_e32 vcc, v25, v26
	v_lshl_or_b32 v73, v20, 3, v19
	v_cndmask_b32_e32 v19, v25, v20, vcc
	v_and_b32_e32 v23, 15, v20
	v_and_b32_e32 v24, 16, v20
	v_cmp_eq_u32_e64 s[10:11], 0, v23
	v_cmp_lt_u32_e64 s[12:13], 1, v23
	v_cmp_lt_u32_e64 s[14:15], 3, v23
	;; [unrolled: 1-line block ×3, first 2 shown]
	v_cmp_eq_u32_e64 s[18:19], 0, v24
	s_lshr_b32 s24, s33, 16
	v_and_b32_e32 v21, 64, v0
	v_lshrrev_b32_e32 v22, 4, v0
	v_lshlrev_b32_e32 v75, 2, v19
	s_and_b32 s25, s33, 0xffff
	v_mad_u32_u24 v1, v2, s24, v1
	v_lshlrev_b32_e32 v69, 4, v0
	v_add_lshl_u32 v70, v20, v21, 6
	v_cmp_lt_u32_e64 s[6:7], 31, v20
	v_or_b32_e32 v21, 63, v21
	v_and_b32_e32 v71, 4, v22
	v_and_b32_e32 v22, 1, v20
	v_mad_u32_u24 v1, v1, s25, v0
	v_lshlrev_b32_e32 v36, 2, v0
	v_mad_i32_i24 v72, v0, -12, v69
	v_cmp_eq_u32_e64 s[20:21], v0, v21
	v_lshrrev_b32_e32 v1, 4, v1
	v_cmp_gt_u32_e64 s[0:1], 2, v0
	v_cmp_lt_u32_e64 s[2:3], 63, v0
	v_cmp_eq_u32_e64 s[4:5], 0, v0
	s_mov_b32 s30, s31
	v_cmp_eq_u32_e64 s[22:23], 0, v22
	v_add_u32_e32 v74, -4, v71
	v_and_b32_e32 v76, 0xffffffc, v1
	s_mov_b32 s34, s31
	s_mov_b32 s35, s31
	v_mov_b32_e32 v35, 0
	v_add_u32_e32 v77, v72, v36
	s_mov_b32 s33, s31
	s_waitcnt vmcnt(3)
	v_add_co_u32_e32 v31, vcc, 1, v15
	v_addc_co_u32_e32 v32, vcc, 0, v16, vcc
	v_add_co_u32_e32 v33, vcc, 1, v17
	v_addc_co_u32_e32 v34, vcc, 0, v18, vcc
	s_waitcnt vmcnt(2)
	v_add_co_u32_e32 v27, vcc, 1, v11
	v_addc_co_u32_e32 v28, vcc, 0, v12, vcc
	v_add_co_u32_e32 v29, vcc, 1, v13
	v_addc_co_u32_e32 v30, vcc, 0, v14, vcc
	s_waitcnt vmcnt(1)
	v_add_co_u32_e32 v23, vcc, 1, v7
	v_addc_co_u32_e32 v24, vcc, 0, v8, vcc
	v_add_co_u32_e32 v25, vcc, 1, v9
	v_addc_co_u32_e32 v26, vcc, 0, v10, vcc
	s_waitcnt vmcnt(0)
	v_add_co_u32_e32 v19, vcc, 1, v3
	v_addc_co_u32_e32 v20, vcc, 0, v4, vcc
	v_add_co_u32_e32 v21, vcc, 1, v5
	v_addc_co_u32_e32 v22, vcc, 0, v6, vcc
	s_branch .LBB303_2
.LBB303_1:                              ;   in Loop: Header=BB303_2 Depth=1
	v_lshlrev_b32_e32 v1, 3, v84
	v_lshlrev_b32_e32 v2, 3, v83
	v_lshlrev_b32_e32 v19, 3, v82
	v_lshlrev_b32_e32 v20, 3, v81
	v_lshlrev_b32_e32 v21, 3, v80
	v_lshlrev_b32_e32 v22, 3, v79
	v_lshlrev_b32_e32 v23, 3, v78
	v_lshlrev_b32_e32 v24, 3, v36
	s_barrier
	ds_write_b64 v1, v[67:68]
	ds_write_b64 v2, v[65:66]
	;; [unrolled: 1-line block ×8, first 2 shown]
	s_waitcnt lgkmcnt(0)
	s_barrier
	ds_read2st64_b64 v[15:18], v77 offset1:2
	ds_read2st64_b64 v[11:14], v77 offset0:4 offset1:6
	ds_read2st64_b64 v[7:10], v77 offset0:8 offset1:10
	;; [unrolled: 1-line block ×3, first 2 shown]
	s_waitcnt lgkmcnt(0)
	s_barrier
	ds_write_b64 v1, v[49:50]
	ds_write_b64 v2, v[47:48]
	;; [unrolled: 1-line block ×8, first 2 shown]
	s_waitcnt lgkmcnt(0)
	s_barrier
	ds_read2st64_b64 v[31:34], v77 offset1:2
	ds_read2st64_b64 v[27:30], v77 offset0:4 offset1:6
	ds_read2st64_b64 v[23:26], v77 offset0:8 offset1:10
	;; [unrolled: 1-line block ×3, first 2 shown]
	s_add_i32 s33, s33, 1
	v_xor_b32_e32 v16, 0x80000000, v16
	v_xor_b32_e32 v18, 0x80000000, v18
	v_xor_b32_e32 v12, 0x80000000, v12
	v_xor_b32_e32 v14, 0x80000000, v14
	v_xor_b32_e32 v8, 0x80000000, v8
	v_xor_b32_e32 v10, 0x80000000, v10
	v_xor_b32_e32 v4, 0x80000000, v4
	s_cmp_eq_u32 s33, 10
	v_xor_b32_e32 v6, 0x80000000, v6
	s_cbranch_scc1 .LBB303_28
.LBB303_2:                              ; =>This Loop Header: Depth=1
                                        ;     Child Loop BB303_4 Depth 2
	v_xor_b32_e32 v16, 0x80000000, v16
	v_xor_b32_e32 v18, 0x80000000, v18
	;; [unrolled: 1-line block ×8, first 2 shown]
	ds_write2_b64 v70, v[15:16], v[17:18] offset1:1
	ds_write2_b64 v70, v[11:12], v[13:14] offset0:2 offset1:3
	ds_write2_b64 v70, v[7:8], v[9:10] offset0:4 offset1:5
	ds_write2_b64 v70, v[3:4], v[5:6] offset0:6 offset1:7
	; wave barrier
	ds_read2st64_b64 v[1:4], v73 offset1:1
	ds_read2st64_b64 v[5:8], v73 offset0:2 offset1:3
	ds_read2st64_b64 v[9:12], v73 offset0:4 offset1:5
	;; [unrolled: 1-line block ×3, first 2 shown]
	; wave barrier
	s_waitcnt lgkmcnt(11)
	ds_write2_b64 v70, v[31:32], v[33:34] offset1:1
	s_waitcnt lgkmcnt(11)
	ds_write2_b64 v70, v[27:28], v[29:30] offset0:2 offset1:3
	s_waitcnt lgkmcnt(11)
	ds_write2_b64 v70, v[23:24], v[25:26] offset0:4 offset1:5
	;; [unrolled: 2-line block ×3, first 2 shown]
	; wave barrier
	ds_read2st64_b64 v[17:20], v73 offset1:1
	ds_read2st64_b64 v[21:24], v73 offset0:2 offset1:3
	ds_read2st64_b64 v[25:28], v73 offset0:4 offset1:5
	;; [unrolled: 1-line block ×3, first 2 shown]
	v_mov_b32_e32 v51, 0
	v_mov_b32_e32 v52, 0
	s_waitcnt lgkmcnt(0)
	s_barrier
	s_branch .LBB303_4
.LBB303_3:                              ;   in Loop: Header=BB303_4 Depth=2
	s_andn2_b64 vcc, exec, s[24:25]
	s_cbranch_vccz .LBB303_1
.LBB303_4:                              ;   Parent Loop BB303_2 Depth=1
                                        ; =>  This Inner Loop Header: Depth=2
	v_mov_b32_e32 v66, v4
	v_mov_b32_e32 v68, v2
	;; [unrolled: 1-line block ×8, first 2 shown]
	ds_write2_b64 v69, v[1:2], v[3:4] offset0:1 offset1:2
	v_lshrrev_b64 v[1:2], v51, v[67:68]
	v_mov_b32_e32 v64, v6
	v_lshlrev_b32_e32 v2, 3, v1
	v_and_b32_e32 v2, 0x7f8, v2
	v_mov_b32_e32 v63, v5
	v_add_u32_e32 v5, v76, v2
	v_and_b32_e32 v2, 1, v1
	v_add_co_u32_e32 v3, vcc, -1, v2
	v_addc_co_u32_e64 v4, s[24:25], 0, -1, vcc
	v_cmp_ne_u32_e32 vcc, 0, v2
	v_lshlrev_b32_e32 v36, 30, v1
	v_xor_b32_e32 v2, vcc_hi, v4
	v_xor_b32_e32 v3, vcc_lo, v3
	v_cmp_gt_i64_e32 vcc, 0, v[35:36]
	v_not_b32_e32 v4, v36
	v_ashrrev_i32_e32 v4, 31, v4
	v_and_b32_e32 v3, exec_lo, v3
	v_xor_b32_e32 v6, vcc_hi, v4
	v_xor_b32_e32 v4, vcc_lo, v4
	v_lshlrev_b32_e32 v36, 29, v1
	v_and_b32_e32 v3, v3, v4
	v_cmp_gt_i64_e32 vcc, 0, v[35:36]
	v_not_b32_e32 v4, v36
	v_and_b32_e32 v2, exec_hi, v2
	v_ashrrev_i32_e32 v4, 31, v4
	v_and_b32_e32 v2, v2, v6
	v_xor_b32_e32 v6, vcc_hi, v4
	v_xor_b32_e32 v4, vcc_lo, v4
	v_lshlrev_b32_e32 v36, 28, v1
	v_and_b32_e32 v3, v3, v4
	v_cmp_gt_i64_e32 vcc, 0, v[35:36]
	v_not_b32_e32 v4, v36
	v_ashrrev_i32_e32 v4, 31, v4
	v_and_b32_e32 v2, v2, v6
	v_xor_b32_e32 v6, vcc_hi, v4
	v_xor_b32_e32 v4, vcc_lo, v4
	v_lshlrev_b32_e32 v36, 27, v1
	v_and_b32_e32 v3, v3, v4
	v_cmp_gt_i64_e32 vcc, 0, v[35:36]
	v_not_b32_e32 v4, v36
	;; [unrolled: 8-line block ×4, first 2 shown]
	v_ashrrev_i32_e32 v4, 31, v4
	v_lshlrev_b32_e32 v36, 24, v1
	v_and_b32_e32 v2, v2, v6
	v_xor_b32_e32 v6, vcc_hi, v4
	v_xor_b32_e32 v4, vcc_lo, v4
	v_cmp_gt_i64_e32 vcc, 0, v[35:36]
	v_not_b32_e32 v1, v36
	v_ashrrev_i32_e32 v1, 31, v1
	v_and_b32_e32 v3, v3, v4
	v_xor_b32_e32 v4, vcc_hi, v1
	v_xor_b32_e32 v1, vcc_lo, v1
	v_and_b32_e32 v2, v2, v6
	v_and_b32_e32 v1, v3, v1
	;; [unrolled: 1-line block ×3, first 2 shown]
	v_mbcnt_lo_u32_b32 v3, v1, 0
	v_mbcnt_hi_u32_b32 v6, v2, v3
	v_cmp_ne_u64_e32 vcc, 0, v[1:2]
	v_mov_b32_e32 v54, v16
	v_mov_b32_e32 v56, v14
	;; [unrolled: 1-line block ×13, first 2 shown]
	v_cmp_eq_u32_e64 s[24:25], 0, v6
	v_mov_b32_e32 v53, v15
	v_mov_b32_e32 v55, v13
	;; [unrolled: 1-line block ×13, first 2 shown]
	s_and_b64 s[36:37], vcc, s[24:25]
	s_waitcnt lgkmcnt(0)
	s_barrier
	; wave barrier
	s_and_saveexec_b64 s[24:25], s[36:37]
; %bb.5:                                ;   in Loop: Header=BB303_4 Depth=2
	v_bcnt_u32_b32 v1, v1, 0
	v_bcnt_u32_b32 v1, v2, v1
	ds_write_b32 v5, v1 offset:8
; %bb.6:                                ;   in Loop: Header=BB303_4 Depth=2
	s_or_b64 exec, exec, s[24:25]
	v_lshrrev_b64 v[1:2], v51, v[65:66]
	v_lshlrev_b32_e32 v2, 3, v1
	v_and_b32_e32 v2, 0x7f8, v2
	v_add_u32_e32 v8, v76, v2
	v_and_b32_e32 v2, 1, v1
	v_add_co_u32_e32 v3, vcc, -1, v2
	v_addc_co_u32_e64 v4, s[24:25], 0, -1, vcc
	v_cmp_ne_u32_e32 vcc, 0, v2
	v_lshlrev_b32_e32 v36, 30, v1
	v_xor_b32_e32 v2, vcc_hi, v4
	v_xor_b32_e32 v3, vcc_lo, v3
	v_cmp_gt_i64_e32 vcc, 0, v[35:36]
	v_not_b32_e32 v4, v36
	v_ashrrev_i32_e32 v4, 31, v4
	v_and_b32_e32 v3, exec_lo, v3
	v_xor_b32_e32 v9, vcc_hi, v4
	v_xor_b32_e32 v4, vcc_lo, v4
	v_lshlrev_b32_e32 v36, 29, v1
	v_and_b32_e32 v3, v3, v4
	v_cmp_gt_i64_e32 vcc, 0, v[35:36]
	v_not_b32_e32 v4, v36
	v_and_b32_e32 v2, exec_hi, v2
	v_ashrrev_i32_e32 v4, 31, v4
	v_and_b32_e32 v2, v2, v9
	v_xor_b32_e32 v9, vcc_hi, v4
	v_xor_b32_e32 v4, vcc_lo, v4
	v_lshlrev_b32_e32 v36, 28, v1
	v_and_b32_e32 v3, v3, v4
	v_cmp_gt_i64_e32 vcc, 0, v[35:36]
	v_not_b32_e32 v4, v36
	v_ashrrev_i32_e32 v4, 31, v4
	v_and_b32_e32 v2, v2, v9
	v_xor_b32_e32 v9, vcc_hi, v4
	v_xor_b32_e32 v4, vcc_lo, v4
	v_lshlrev_b32_e32 v36, 27, v1
	v_and_b32_e32 v3, v3, v4
	v_cmp_gt_i64_e32 vcc, 0, v[35:36]
	v_not_b32_e32 v4, v36
	;; [unrolled: 8-line block ×4, first 2 shown]
	v_ashrrev_i32_e32 v4, 31, v4
	v_lshlrev_b32_e32 v36, 24, v1
	v_and_b32_e32 v2, v2, v9
	v_xor_b32_e32 v9, vcc_hi, v4
	v_xor_b32_e32 v4, vcc_lo, v4
	v_cmp_gt_i64_e32 vcc, 0, v[35:36]
	v_not_b32_e32 v1, v36
	v_ashrrev_i32_e32 v1, 31, v1
	v_and_b32_e32 v3, v3, v4
	v_xor_b32_e32 v4, vcc_hi, v1
	v_xor_b32_e32 v1, vcc_lo, v1
	; wave barrier
	ds_read_b32 v7, v8 offset:8
	v_and_b32_e32 v2, v2, v9
	v_and_b32_e32 v1, v3, v1
	;; [unrolled: 1-line block ×3, first 2 shown]
	v_mbcnt_lo_u32_b32 v3, v1, 0
	v_mbcnt_hi_u32_b32 v9, v2, v3
	v_cmp_ne_u64_e32 vcc, 0, v[1:2]
	v_cmp_eq_u32_e64 s[24:25], 0, v9
	s_and_b64 s[36:37], vcc, s[24:25]
	; wave barrier
	s_and_saveexec_b64 s[24:25], s[36:37]
	s_cbranch_execz .LBB303_8
; %bb.7:                                ;   in Loop: Header=BB303_4 Depth=2
	v_bcnt_u32_b32 v1, v1, 0
	v_bcnt_u32_b32 v1, v2, v1
	s_waitcnt lgkmcnt(0)
	v_add_u32_e32 v1, v7, v1
	ds_write_b32 v8, v1 offset:8
.LBB303_8:                              ;   in Loop: Header=BB303_4 Depth=2
	s_or_b64 exec, exec, s[24:25]
	v_lshrrev_b64 v[1:2], v51, v[63:64]
	v_lshlrev_b32_e32 v2, 3, v1
	v_and_b32_e32 v2, 0x7f8, v2
	v_add_u32_e32 v11, v76, v2
	v_and_b32_e32 v2, 1, v1
	v_add_co_u32_e32 v3, vcc, -1, v2
	v_addc_co_u32_e64 v4, s[24:25], 0, -1, vcc
	v_cmp_ne_u32_e32 vcc, 0, v2
	v_lshlrev_b32_e32 v36, 30, v1
	v_xor_b32_e32 v2, vcc_hi, v4
	v_xor_b32_e32 v3, vcc_lo, v3
	v_cmp_gt_i64_e32 vcc, 0, v[35:36]
	v_not_b32_e32 v4, v36
	v_ashrrev_i32_e32 v4, 31, v4
	v_and_b32_e32 v3, exec_lo, v3
	v_xor_b32_e32 v12, vcc_hi, v4
	v_xor_b32_e32 v4, vcc_lo, v4
	v_lshlrev_b32_e32 v36, 29, v1
	v_and_b32_e32 v3, v3, v4
	v_cmp_gt_i64_e32 vcc, 0, v[35:36]
	v_not_b32_e32 v4, v36
	v_and_b32_e32 v2, exec_hi, v2
	v_ashrrev_i32_e32 v4, 31, v4
	v_and_b32_e32 v2, v2, v12
	v_xor_b32_e32 v12, vcc_hi, v4
	v_xor_b32_e32 v4, vcc_lo, v4
	v_lshlrev_b32_e32 v36, 28, v1
	v_and_b32_e32 v3, v3, v4
	v_cmp_gt_i64_e32 vcc, 0, v[35:36]
	v_not_b32_e32 v4, v36
	v_ashrrev_i32_e32 v4, 31, v4
	v_and_b32_e32 v2, v2, v12
	v_xor_b32_e32 v12, vcc_hi, v4
	v_xor_b32_e32 v4, vcc_lo, v4
	v_lshlrev_b32_e32 v36, 27, v1
	v_and_b32_e32 v3, v3, v4
	v_cmp_gt_i64_e32 vcc, 0, v[35:36]
	v_not_b32_e32 v4, v36
	v_ashrrev_i32_e32 v4, 31, v4
	v_and_b32_e32 v2, v2, v12
	v_xor_b32_e32 v12, vcc_hi, v4
	v_xor_b32_e32 v4, vcc_lo, v4
	v_lshlrev_b32_e32 v36, 26, v1
	v_and_b32_e32 v3, v3, v4
	v_cmp_gt_i64_e32 vcc, 0, v[35:36]
	v_not_b32_e32 v4, v36
	v_ashrrev_i32_e32 v4, 31, v4
	v_and_b32_e32 v2, v2, v12
	v_xor_b32_e32 v12, vcc_hi, v4
	v_xor_b32_e32 v4, vcc_lo, v4
	v_lshlrev_b32_e32 v36, 25, v1
	v_and_b32_e32 v3, v3, v4
	v_cmp_gt_i64_e32 vcc, 0, v[35:36]
	v_not_b32_e32 v4, v36
	v_ashrrev_i32_e32 v4, 31, v4
	v_lshlrev_b32_e32 v36, 24, v1
	v_and_b32_e32 v2, v2, v12
	v_xor_b32_e32 v12, vcc_hi, v4
	v_xor_b32_e32 v4, vcc_lo, v4
	v_cmp_gt_i64_e32 vcc, 0, v[35:36]
	v_not_b32_e32 v1, v36
	v_ashrrev_i32_e32 v1, 31, v1
	v_and_b32_e32 v3, v3, v4
	v_xor_b32_e32 v4, vcc_hi, v1
	v_xor_b32_e32 v1, vcc_lo, v1
	; wave barrier
	ds_read_b32 v10, v11 offset:8
	v_and_b32_e32 v2, v2, v12
	v_and_b32_e32 v1, v3, v1
	;; [unrolled: 1-line block ×3, first 2 shown]
	v_mbcnt_lo_u32_b32 v3, v1, 0
	v_mbcnt_hi_u32_b32 v12, v2, v3
	v_cmp_ne_u64_e32 vcc, 0, v[1:2]
	v_cmp_eq_u32_e64 s[24:25], 0, v12
	s_and_b64 s[36:37], vcc, s[24:25]
	; wave barrier
	s_and_saveexec_b64 s[24:25], s[36:37]
	s_cbranch_execz .LBB303_10
; %bb.9:                                ;   in Loop: Header=BB303_4 Depth=2
	v_bcnt_u32_b32 v1, v1, 0
	v_bcnt_u32_b32 v1, v2, v1
	s_waitcnt lgkmcnt(0)
	v_add_u32_e32 v1, v10, v1
	ds_write_b32 v11, v1 offset:8
.LBB303_10:                             ;   in Loop: Header=BB303_4 Depth=2
	s_or_b64 exec, exec, s[24:25]
	v_lshrrev_b64 v[1:2], v51, v[61:62]
	v_lshlrev_b32_e32 v2, 3, v1
	v_and_b32_e32 v2, 0x7f8, v2
	v_add_u32_e32 v14, v76, v2
	v_and_b32_e32 v2, 1, v1
	v_add_co_u32_e32 v3, vcc, -1, v2
	v_addc_co_u32_e64 v4, s[24:25], 0, -1, vcc
	v_cmp_ne_u32_e32 vcc, 0, v2
	v_lshlrev_b32_e32 v36, 30, v1
	v_xor_b32_e32 v2, vcc_hi, v4
	v_xor_b32_e32 v3, vcc_lo, v3
	v_cmp_gt_i64_e32 vcc, 0, v[35:36]
	v_not_b32_e32 v4, v36
	v_ashrrev_i32_e32 v4, 31, v4
	v_and_b32_e32 v3, exec_lo, v3
	v_xor_b32_e32 v15, vcc_hi, v4
	v_xor_b32_e32 v4, vcc_lo, v4
	v_lshlrev_b32_e32 v36, 29, v1
	v_and_b32_e32 v3, v3, v4
	v_cmp_gt_i64_e32 vcc, 0, v[35:36]
	v_not_b32_e32 v4, v36
	v_and_b32_e32 v2, exec_hi, v2
	v_ashrrev_i32_e32 v4, 31, v4
	v_and_b32_e32 v2, v2, v15
	v_xor_b32_e32 v15, vcc_hi, v4
	v_xor_b32_e32 v4, vcc_lo, v4
	v_lshlrev_b32_e32 v36, 28, v1
	v_and_b32_e32 v3, v3, v4
	v_cmp_gt_i64_e32 vcc, 0, v[35:36]
	v_not_b32_e32 v4, v36
	v_ashrrev_i32_e32 v4, 31, v4
	v_and_b32_e32 v2, v2, v15
	v_xor_b32_e32 v15, vcc_hi, v4
	v_xor_b32_e32 v4, vcc_lo, v4
	v_lshlrev_b32_e32 v36, 27, v1
	v_and_b32_e32 v3, v3, v4
	v_cmp_gt_i64_e32 vcc, 0, v[35:36]
	v_not_b32_e32 v4, v36
	;; [unrolled: 8-line block ×4, first 2 shown]
	v_ashrrev_i32_e32 v4, 31, v4
	v_lshlrev_b32_e32 v36, 24, v1
	v_and_b32_e32 v2, v2, v15
	v_xor_b32_e32 v15, vcc_hi, v4
	v_xor_b32_e32 v4, vcc_lo, v4
	v_cmp_gt_i64_e32 vcc, 0, v[35:36]
	v_not_b32_e32 v1, v36
	v_ashrrev_i32_e32 v1, 31, v1
	v_and_b32_e32 v3, v3, v4
	v_xor_b32_e32 v4, vcc_hi, v1
	v_xor_b32_e32 v1, vcc_lo, v1
	; wave barrier
	ds_read_b32 v13, v14 offset:8
	v_and_b32_e32 v2, v2, v15
	v_and_b32_e32 v1, v3, v1
	;; [unrolled: 1-line block ×3, first 2 shown]
	v_mbcnt_lo_u32_b32 v3, v1, 0
	v_mbcnt_hi_u32_b32 v15, v2, v3
	v_cmp_ne_u64_e32 vcc, 0, v[1:2]
	v_cmp_eq_u32_e64 s[24:25], 0, v15
	s_and_b64 s[36:37], vcc, s[24:25]
	; wave barrier
	s_and_saveexec_b64 s[24:25], s[36:37]
	s_cbranch_execz .LBB303_12
; %bb.11:                               ;   in Loop: Header=BB303_4 Depth=2
	v_bcnt_u32_b32 v1, v1, 0
	v_bcnt_u32_b32 v1, v2, v1
	s_waitcnt lgkmcnt(0)
	v_add_u32_e32 v1, v13, v1
	ds_write_b32 v14, v1 offset:8
.LBB303_12:                             ;   in Loop: Header=BB303_4 Depth=2
	s_or_b64 exec, exec, s[24:25]
	v_lshrrev_b64 v[1:2], v51, v[59:60]
	v_lshlrev_b32_e32 v2, 3, v1
	v_and_b32_e32 v2, 0x7f8, v2
	v_add_u32_e32 v17, v76, v2
	v_and_b32_e32 v2, 1, v1
	v_add_co_u32_e32 v3, vcc, -1, v2
	v_addc_co_u32_e64 v4, s[24:25], 0, -1, vcc
	v_cmp_ne_u32_e32 vcc, 0, v2
	v_lshlrev_b32_e32 v36, 30, v1
	v_xor_b32_e32 v2, vcc_hi, v4
	v_xor_b32_e32 v3, vcc_lo, v3
	v_cmp_gt_i64_e32 vcc, 0, v[35:36]
	v_not_b32_e32 v4, v36
	v_ashrrev_i32_e32 v4, 31, v4
	v_and_b32_e32 v3, exec_lo, v3
	v_xor_b32_e32 v18, vcc_hi, v4
	v_xor_b32_e32 v4, vcc_lo, v4
	v_lshlrev_b32_e32 v36, 29, v1
	v_and_b32_e32 v3, v3, v4
	v_cmp_gt_i64_e32 vcc, 0, v[35:36]
	v_not_b32_e32 v4, v36
	v_and_b32_e32 v2, exec_hi, v2
	v_ashrrev_i32_e32 v4, 31, v4
	v_and_b32_e32 v2, v2, v18
	v_xor_b32_e32 v18, vcc_hi, v4
	v_xor_b32_e32 v4, vcc_lo, v4
	v_lshlrev_b32_e32 v36, 28, v1
	v_and_b32_e32 v3, v3, v4
	v_cmp_gt_i64_e32 vcc, 0, v[35:36]
	v_not_b32_e32 v4, v36
	v_ashrrev_i32_e32 v4, 31, v4
	v_and_b32_e32 v2, v2, v18
	v_xor_b32_e32 v18, vcc_hi, v4
	v_xor_b32_e32 v4, vcc_lo, v4
	v_lshlrev_b32_e32 v36, 27, v1
	v_and_b32_e32 v3, v3, v4
	v_cmp_gt_i64_e32 vcc, 0, v[35:36]
	v_not_b32_e32 v4, v36
	;; [unrolled: 8-line block ×4, first 2 shown]
	v_ashrrev_i32_e32 v4, 31, v4
	v_lshlrev_b32_e32 v36, 24, v1
	v_and_b32_e32 v2, v2, v18
	v_xor_b32_e32 v18, vcc_hi, v4
	v_xor_b32_e32 v4, vcc_lo, v4
	v_cmp_gt_i64_e32 vcc, 0, v[35:36]
	v_not_b32_e32 v1, v36
	v_ashrrev_i32_e32 v1, 31, v1
	v_and_b32_e32 v3, v3, v4
	v_xor_b32_e32 v4, vcc_hi, v1
	v_xor_b32_e32 v1, vcc_lo, v1
	; wave barrier
	ds_read_b32 v16, v17 offset:8
	v_and_b32_e32 v2, v2, v18
	v_and_b32_e32 v1, v3, v1
	;; [unrolled: 1-line block ×3, first 2 shown]
	v_mbcnt_lo_u32_b32 v3, v1, 0
	v_mbcnt_hi_u32_b32 v18, v2, v3
	v_cmp_ne_u64_e32 vcc, 0, v[1:2]
	v_cmp_eq_u32_e64 s[24:25], 0, v18
	s_and_b64 s[36:37], vcc, s[24:25]
	; wave barrier
	s_and_saveexec_b64 s[24:25], s[36:37]
	s_cbranch_execz .LBB303_14
; %bb.13:                               ;   in Loop: Header=BB303_4 Depth=2
	v_bcnt_u32_b32 v1, v1, 0
	v_bcnt_u32_b32 v1, v2, v1
	s_waitcnt lgkmcnt(0)
	v_add_u32_e32 v1, v16, v1
	ds_write_b32 v17, v1 offset:8
.LBB303_14:                             ;   in Loop: Header=BB303_4 Depth=2
	s_or_b64 exec, exec, s[24:25]
	v_lshrrev_b64 v[1:2], v51, v[57:58]
	v_lshlrev_b32_e32 v2, 3, v1
	v_and_b32_e32 v2, 0x7f8, v2
	v_add_u32_e32 v20, v76, v2
	v_and_b32_e32 v2, 1, v1
	v_add_co_u32_e32 v3, vcc, -1, v2
	v_addc_co_u32_e64 v4, s[24:25], 0, -1, vcc
	v_cmp_ne_u32_e32 vcc, 0, v2
	v_lshlrev_b32_e32 v36, 30, v1
	v_xor_b32_e32 v2, vcc_hi, v4
	v_xor_b32_e32 v3, vcc_lo, v3
	v_cmp_gt_i64_e32 vcc, 0, v[35:36]
	v_not_b32_e32 v4, v36
	v_ashrrev_i32_e32 v4, 31, v4
	v_and_b32_e32 v3, exec_lo, v3
	v_xor_b32_e32 v21, vcc_hi, v4
	v_xor_b32_e32 v4, vcc_lo, v4
	v_lshlrev_b32_e32 v36, 29, v1
	v_and_b32_e32 v3, v3, v4
	v_cmp_gt_i64_e32 vcc, 0, v[35:36]
	v_not_b32_e32 v4, v36
	v_and_b32_e32 v2, exec_hi, v2
	v_ashrrev_i32_e32 v4, 31, v4
	v_and_b32_e32 v2, v2, v21
	v_xor_b32_e32 v21, vcc_hi, v4
	v_xor_b32_e32 v4, vcc_lo, v4
	v_lshlrev_b32_e32 v36, 28, v1
	v_and_b32_e32 v3, v3, v4
	v_cmp_gt_i64_e32 vcc, 0, v[35:36]
	v_not_b32_e32 v4, v36
	v_ashrrev_i32_e32 v4, 31, v4
	v_and_b32_e32 v2, v2, v21
	v_xor_b32_e32 v21, vcc_hi, v4
	v_xor_b32_e32 v4, vcc_lo, v4
	v_lshlrev_b32_e32 v36, 27, v1
	v_and_b32_e32 v3, v3, v4
	v_cmp_gt_i64_e32 vcc, 0, v[35:36]
	v_not_b32_e32 v4, v36
	;; [unrolled: 8-line block ×4, first 2 shown]
	v_ashrrev_i32_e32 v4, 31, v4
	v_lshlrev_b32_e32 v36, 24, v1
	v_and_b32_e32 v2, v2, v21
	v_xor_b32_e32 v21, vcc_hi, v4
	v_xor_b32_e32 v4, vcc_lo, v4
	v_cmp_gt_i64_e32 vcc, 0, v[35:36]
	v_not_b32_e32 v1, v36
	v_ashrrev_i32_e32 v1, 31, v1
	v_and_b32_e32 v3, v3, v4
	v_xor_b32_e32 v4, vcc_hi, v1
	v_xor_b32_e32 v1, vcc_lo, v1
	; wave barrier
	ds_read_b32 v19, v20 offset:8
	v_and_b32_e32 v2, v2, v21
	v_and_b32_e32 v1, v3, v1
	;; [unrolled: 1-line block ×3, first 2 shown]
	v_mbcnt_lo_u32_b32 v3, v1, 0
	v_mbcnt_hi_u32_b32 v21, v2, v3
	v_cmp_ne_u64_e32 vcc, 0, v[1:2]
	v_cmp_eq_u32_e64 s[24:25], 0, v21
	s_and_b64 s[36:37], vcc, s[24:25]
	; wave barrier
	s_and_saveexec_b64 s[24:25], s[36:37]
	s_cbranch_execz .LBB303_16
; %bb.15:                               ;   in Loop: Header=BB303_4 Depth=2
	v_bcnt_u32_b32 v1, v1, 0
	v_bcnt_u32_b32 v1, v2, v1
	s_waitcnt lgkmcnt(0)
	v_add_u32_e32 v1, v19, v1
	ds_write_b32 v20, v1 offset:8
.LBB303_16:                             ;   in Loop: Header=BB303_4 Depth=2
	s_or_b64 exec, exec, s[24:25]
	v_lshrrev_b64 v[1:2], v51, v[55:56]
	v_lshlrev_b32_e32 v2, 3, v1
	v_and_b32_e32 v2, 0x7f8, v2
	v_add_u32_e32 v23, v76, v2
	v_and_b32_e32 v2, 1, v1
	v_add_co_u32_e32 v3, vcc, -1, v2
	v_addc_co_u32_e64 v4, s[24:25], 0, -1, vcc
	v_cmp_ne_u32_e32 vcc, 0, v2
	v_lshlrev_b32_e32 v36, 30, v1
	v_xor_b32_e32 v2, vcc_hi, v4
	v_xor_b32_e32 v3, vcc_lo, v3
	v_cmp_gt_i64_e32 vcc, 0, v[35:36]
	v_not_b32_e32 v4, v36
	v_ashrrev_i32_e32 v4, 31, v4
	v_and_b32_e32 v3, exec_lo, v3
	v_xor_b32_e32 v24, vcc_hi, v4
	v_xor_b32_e32 v4, vcc_lo, v4
	v_lshlrev_b32_e32 v36, 29, v1
	v_and_b32_e32 v3, v3, v4
	v_cmp_gt_i64_e32 vcc, 0, v[35:36]
	v_not_b32_e32 v4, v36
	v_and_b32_e32 v2, exec_hi, v2
	v_ashrrev_i32_e32 v4, 31, v4
	v_and_b32_e32 v2, v2, v24
	v_xor_b32_e32 v24, vcc_hi, v4
	v_xor_b32_e32 v4, vcc_lo, v4
	v_lshlrev_b32_e32 v36, 28, v1
	v_and_b32_e32 v3, v3, v4
	v_cmp_gt_i64_e32 vcc, 0, v[35:36]
	v_not_b32_e32 v4, v36
	v_ashrrev_i32_e32 v4, 31, v4
	v_and_b32_e32 v2, v2, v24
	v_xor_b32_e32 v24, vcc_hi, v4
	v_xor_b32_e32 v4, vcc_lo, v4
	v_lshlrev_b32_e32 v36, 27, v1
	v_and_b32_e32 v3, v3, v4
	v_cmp_gt_i64_e32 vcc, 0, v[35:36]
	v_not_b32_e32 v4, v36
	;; [unrolled: 8-line block ×4, first 2 shown]
	v_ashrrev_i32_e32 v4, 31, v4
	v_lshlrev_b32_e32 v36, 24, v1
	v_and_b32_e32 v2, v2, v24
	v_xor_b32_e32 v24, vcc_hi, v4
	v_xor_b32_e32 v4, vcc_lo, v4
	v_cmp_gt_i64_e32 vcc, 0, v[35:36]
	v_not_b32_e32 v1, v36
	v_ashrrev_i32_e32 v1, 31, v1
	v_and_b32_e32 v3, v3, v4
	v_xor_b32_e32 v4, vcc_hi, v1
	v_xor_b32_e32 v1, vcc_lo, v1
	; wave barrier
	ds_read_b32 v22, v23 offset:8
	v_and_b32_e32 v2, v2, v24
	v_and_b32_e32 v1, v3, v1
	;; [unrolled: 1-line block ×3, first 2 shown]
	v_mbcnt_lo_u32_b32 v3, v1, 0
	v_mbcnt_hi_u32_b32 v24, v2, v3
	v_cmp_ne_u64_e32 vcc, 0, v[1:2]
	v_cmp_eq_u32_e64 s[24:25], 0, v24
	s_and_b64 s[36:37], vcc, s[24:25]
	; wave barrier
	s_and_saveexec_b64 s[24:25], s[36:37]
	s_cbranch_execz .LBB303_18
; %bb.17:                               ;   in Loop: Header=BB303_4 Depth=2
	v_bcnt_u32_b32 v1, v1, 0
	v_bcnt_u32_b32 v1, v2, v1
	s_waitcnt lgkmcnt(0)
	v_add_u32_e32 v1, v22, v1
	ds_write_b32 v23, v1 offset:8
.LBB303_18:                             ;   in Loop: Header=BB303_4 Depth=2
	s_or_b64 exec, exec, s[24:25]
	v_lshrrev_b64 v[1:2], v51, v[53:54]
	v_lshlrev_b32_e32 v2, 3, v1
	v_and_b32_e32 v2, 0x7f8, v2
	v_add_u32_e32 v26, v76, v2
	v_and_b32_e32 v2, 1, v1
	v_add_co_u32_e32 v3, vcc, -1, v2
	v_addc_co_u32_e64 v4, s[24:25], 0, -1, vcc
	v_cmp_ne_u32_e32 vcc, 0, v2
	v_lshlrev_b32_e32 v36, 30, v1
	v_xor_b32_e32 v2, vcc_hi, v4
	v_xor_b32_e32 v3, vcc_lo, v3
	v_cmp_gt_i64_e32 vcc, 0, v[35:36]
	v_not_b32_e32 v4, v36
	v_ashrrev_i32_e32 v4, 31, v4
	v_and_b32_e32 v3, exec_lo, v3
	v_xor_b32_e32 v27, vcc_hi, v4
	v_xor_b32_e32 v4, vcc_lo, v4
	v_lshlrev_b32_e32 v36, 29, v1
	v_and_b32_e32 v3, v3, v4
	v_cmp_gt_i64_e32 vcc, 0, v[35:36]
	v_not_b32_e32 v4, v36
	v_and_b32_e32 v2, exec_hi, v2
	v_ashrrev_i32_e32 v4, 31, v4
	v_and_b32_e32 v2, v2, v27
	v_xor_b32_e32 v27, vcc_hi, v4
	v_xor_b32_e32 v4, vcc_lo, v4
	v_lshlrev_b32_e32 v36, 28, v1
	v_and_b32_e32 v3, v3, v4
	v_cmp_gt_i64_e32 vcc, 0, v[35:36]
	v_not_b32_e32 v4, v36
	v_ashrrev_i32_e32 v4, 31, v4
	v_and_b32_e32 v2, v2, v27
	v_xor_b32_e32 v27, vcc_hi, v4
	v_xor_b32_e32 v4, vcc_lo, v4
	v_lshlrev_b32_e32 v36, 27, v1
	v_and_b32_e32 v3, v3, v4
	v_cmp_gt_i64_e32 vcc, 0, v[35:36]
	v_not_b32_e32 v4, v36
	;; [unrolled: 8-line block ×4, first 2 shown]
	v_ashrrev_i32_e32 v4, 31, v4
	v_lshlrev_b32_e32 v36, 24, v1
	v_and_b32_e32 v2, v2, v27
	v_xor_b32_e32 v27, vcc_hi, v4
	v_xor_b32_e32 v4, vcc_lo, v4
	v_cmp_gt_i64_e32 vcc, 0, v[35:36]
	v_not_b32_e32 v1, v36
	v_ashrrev_i32_e32 v1, 31, v1
	v_and_b32_e32 v3, v3, v4
	v_xor_b32_e32 v4, vcc_hi, v1
	v_xor_b32_e32 v1, vcc_lo, v1
	; wave barrier
	ds_read_b32 v25, v26 offset:8
	v_and_b32_e32 v2, v2, v27
	v_and_b32_e32 v1, v3, v1
	v_and_b32_e32 v2, v2, v4
	v_mbcnt_lo_u32_b32 v3, v1, 0
	v_mbcnt_hi_u32_b32 v27, v2, v3
	v_cmp_ne_u64_e32 vcc, 0, v[1:2]
	v_cmp_eq_u32_e64 s[24:25], 0, v27
	s_and_b64 s[36:37], vcc, s[24:25]
	; wave barrier
	s_and_saveexec_b64 s[24:25], s[36:37]
	s_cbranch_execz .LBB303_20
; %bb.19:                               ;   in Loop: Header=BB303_4 Depth=2
	v_bcnt_u32_b32 v1, v1, 0
	v_bcnt_u32_b32 v1, v2, v1
	s_waitcnt lgkmcnt(0)
	v_add_u32_e32 v1, v25, v1
	ds_write_b32 v26, v1 offset:8
.LBB303_20:                             ;   in Loop: Header=BB303_4 Depth=2
	s_or_b64 exec, exec, s[24:25]
	; wave barrier
	s_waitcnt lgkmcnt(0)
	s_barrier
	ds_read2_b64 v[1:4], v69 offset0:1 offset1:2
	s_waitcnt lgkmcnt(0)
	v_add_u32_e32 v28, v2, v1
	v_add3_u32 v4, v28, v3, v4
	s_nop 1
	v_mov_b32_dpp v28, v4 row_shr:1 row_mask:0xf bank_mask:0xf
	v_cndmask_b32_e64 v28, v28, 0, s[10:11]
	v_add_u32_e32 v4, v28, v4
	s_nop 1
	v_mov_b32_dpp v28, v4 row_shr:2 row_mask:0xf bank_mask:0xf
	v_cndmask_b32_e64 v28, 0, v28, s[12:13]
	v_add_u32_e32 v4, v4, v28
	;; [unrolled: 4-line block ×4, first 2 shown]
	s_nop 1
	v_mov_b32_dpp v28, v4 row_bcast:15 row_mask:0xf bank_mask:0xf
	v_cndmask_b32_e64 v28, v28, 0, s[18:19]
	v_add_u32_e32 v4, v4, v28
	s_nop 1
	v_mov_b32_dpp v28, v4 row_bcast:31 row_mask:0xf bank_mask:0xf
	v_cndmask_b32_e64 v28, 0, v28, s[6:7]
	v_add_u32_e32 v4, v4, v28
	s_and_saveexec_b64 s[24:25], s[20:21]
; %bb.21:                               ;   in Loop: Header=BB303_4 Depth=2
	ds_write_b32 v71, v4
; %bb.22:                               ;   in Loop: Header=BB303_4 Depth=2
	s_or_b64 exec, exec, s[24:25]
	s_waitcnt lgkmcnt(0)
	s_barrier
	s_and_saveexec_b64 s[24:25], s[0:1]
	s_cbranch_execz .LBB303_24
; %bb.23:                               ;   in Loop: Header=BB303_4 Depth=2
	ds_read_b32 v28, v72
	s_waitcnt lgkmcnt(0)
	s_nop 0
	v_mov_b32_dpp v29, v28 row_shr:1 row_mask:0xf bank_mask:0xf
	v_cndmask_b32_e64 v29, v29, 0, s[22:23]
	v_add_u32_e32 v28, v29, v28
	ds_write_b32 v72, v28
.LBB303_24:                             ;   in Loop: Header=BB303_4 Depth=2
	s_or_b64 exec, exec, s[24:25]
	v_mov_b32_e32 v28, 0
	s_waitcnt lgkmcnt(0)
	s_barrier
	s_and_saveexec_b64 s[24:25], s[2:3]
; %bb.25:                               ;   in Loop: Header=BB303_4 Depth=2
	ds_read_b32 v28, v74
; %bb.26:                               ;   in Loop: Header=BB303_4 Depth=2
	s_or_b64 exec, exec, s[24:25]
	s_waitcnt lgkmcnt(0)
	v_add_u32_e32 v4, v28, v4
	ds_bpermute_b32 v4, v75, v4
	v_cmp_lt_u32_e32 vcc, 55, v51
	s_and_b64 vcc, exec, vcc
	s_mov_b64 s[24:25], -1
	s_waitcnt lgkmcnt(0)
	v_cndmask_b32_e64 v4, v4, v28, s[8:9]
	v_cndmask_b32_e64 v28, v4, 0, s[4:5]
	v_add_u32_e32 v29, v28, v1
	v_add_u32_e32 v1, v29, v2
	;; [unrolled: 1-line block ×3, first 2 shown]
	ds_write2_b64 v69, v[28:29], v[1:2] offset0:1 offset1:2
	s_waitcnt lgkmcnt(0)
	s_barrier
	ds_read_b32 v1, v5 offset:8
	ds_read_b32 v2, v8 offset:8
	;; [unrolled: 1-line block ×8, first 2 shown]
	s_waitcnt lgkmcnt(7)
	v_add_u32_e32 v84, v1, v6
	s_waitcnt lgkmcnt(6)
	v_add3_u32 v83, v9, v7, v2
	s_waitcnt lgkmcnt(5)
	v_add3_u32 v82, v12, v10, v3
	;; [unrolled: 2-line block ×7, first 2 shown]
                                        ; implicit-def: $vgpr15_vgpr16
                                        ; implicit-def: $vgpr11_vgpr12
                                        ; implicit-def: $vgpr7_vgpr8
                                        ; implicit-def: $vgpr3_vgpr4
                                        ; implicit-def: $vgpr31_vgpr32
                                        ; implicit-def: $vgpr27_vgpr28
                                        ; implicit-def: $vgpr23_vgpr24
                                        ; implicit-def: $vgpr19_vgpr20
	s_cbranch_vccnz .LBB303_3
; %bb.27:                               ;   in Loop: Header=BB303_4 Depth=2
	v_lshlrev_b32_e32 v17, 3, v84
	v_lshlrev_b32_e32 v18, 3, v83
	;; [unrolled: 1-line block ×8, first 2 shown]
	s_barrier
	ds_write_b64 v17, v[67:68]
	ds_write_b64 v18, v[65:66]
	;; [unrolled: 1-line block ×8, first 2 shown]
	s_waitcnt lgkmcnt(0)
	s_barrier
	ds_read2st64_b64 v[1:4], v73 offset1:1
	ds_read2st64_b64 v[5:8], v73 offset0:2 offset1:3
	ds_read2st64_b64 v[9:12], v73 offset0:4 offset1:5
	;; [unrolled: 1-line block ×3, first 2 shown]
	s_waitcnt lgkmcnt(0)
	s_barrier
	ds_write_b64 v17, v[49:50]
	ds_write_b64 v18, v[47:48]
	;; [unrolled: 1-line block ×8, first 2 shown]
	s_waitcnt lgkmcnt(0)
	s_barrier
	ds_read2st64_b64 v[17:20], v73 offset1:1
	ds_read2st64_b64 v[21:24], v73 offset0:2 offset1:3
	ds_read2st64_b64 v[25:28], v73 offset0:4 offset1:5
	;; [unrolled: 1-line block ×3, first 2 shown]
	v_add_co_u32_e32 v51, vcc, 8, v51
	v_addc_co_u32_e32 v52, vcc, 0, v52, vcc
	s_mov_b64 s[24:25], 0
	s_waitcnt lgkmcnt(0)
	s_barrier
	s_branch .LBB303_3
.LBB303_28:
	s_waitcnt lgkmcnt(3)
	v_add_co_u32_e32 v1, vcc, v15, v31
	v_addc_co_u32_e32 v2, vcc, v16, v32, vcc
	v_add_co_u32_e32 v15, vcc, v17, v33
	v_addc_co_u32_e32 v16, vcc, v18, v34, vcc
	s_waitcnt lgkmcnt(2)
	v_add_co_u32_e32 v11, vcc, v11, v27
	v_addc_co_u32_e32 v12, vcc, v12, v28, vcc
	v_add_co_u32_e32 v13, vcc, v13, v29
	v_addc_co_u32_e32 v14, vcc, v14, v30, vcc
	;; [unrolled: 5-line block ×3, first 2 shown]
	s_waitcnt lgkmcnt(0)
	v_add_co_u32_e32 v3, vcc, v3, v19
	v_addc_co_u32_e32 v4, vcc, v4, v20, vcc
	v_add_co_u32_e32 v5, vcc, v5, v21
	s_add_u32 s0, s26, s28
	v_addc_co_u32_e32 v6, vcc, v6, v22, vcc
	s_addc_u32 s1, s27, s29
	v_lshlrev_b32_e32 v0, 3, v0
	v_mov_b32_e32 v17, s1
	v_add_co_u32_e32 v18, vcc, s0, v0
	v_addc_co_u32_e32 v17, vcc, 0, v17, vcc
	global_store_dwordx2 v0, v[1:2], s[0:1]
	global_store_dwordx2 v0, v[15:16], s[0:1] offset:1024
	global_store_dwordx2 v0, v[11:12], s[0:1] offset:2048
	;; [unrolled: 1-line block ×3, first 2 shown]
	v_add_co_u32_e32 v0, vcc, 0x1000, v18
	v_addc_co_u32_e32 v1, vcc, 0, v17, vcc
	global_store_dwordx2 v[0:1], v[7:8], off
	global_store_dwordx2 v[0:1], v[9:10], off offset:1024
	global_store_dwordx2 v[0:1], v[3:4], off offset:2048
	;; [unrolled: 1-line block ×3, first 2 shown]
	s_endpgm
	.section	.rodata,"a",@progbits
	.p2align	6, 0x0
	.amdhsa_kernel _Z17sort_pairs_kernelI22helper_blocked_stripedxLj128ELj8ELj10EEvPKT0_PS1_
		.amdhsa_group_segment_fixed_size 8192
		.amdhsa_private_segment_fixed_size 0
		.amdhsa_kernarg_size 272
		.amdhsa_user_sgpr_count 6
		.amdhsa_user_sgpr_private_segment_buffer 1
		.amdhsa_user_sgpr_dispatch_ptr 0
		.amdhsa_user_sgpr_queue_ptr 0
		.amdhsa_user_sgpr_kernarg_segment_ptr 1
		.amdhsa_user_sgpr_dispatch_id 0
		.amdhsa_user_sgpr_flat_scratch_init 0
		.amdhsa_user_sgpr_private_segment_size 0
		.amdhsa_uses_dynamic_stack 0
		.amdhsa_system_sgpr_private_segment_wavefront_offset 0
		.amdhsa_system_sgpr_workgroup_id_x 1
		.amdhsa_system_sgpr_workgroup_id_y 0
		.amdhsa_system_sgpr_workgroup_id_z 0
		.amdhsa_system_sgpr_workgroup_info 0
		.amdhsa_system_vgpr_workitem_id 2
		.amdhsa_next_free_vgpr 85
		.amdhsa_next_free_sgpr 98
		.amdhsa_reserve_vcc 1
		.amdhsa_reserve_flat_scratch 0
		.amdhsa_float_round_mode_32 0
		.amdhsa_float_round_mode_16_64 0
		.amdhsa_float_denorm_mode_32 3
		.amdhsa_float_denorm_mode_16_64 3
		.amdhsa_dx10_clamp 1
		.amdhsa_ieee_mode 1
		.amdhsa_fp16_overflow 0
		.amdhsa_exception_fp_ieee_invalid_op 0
		.amdhsa_exception_fp_denorm_src 0
		.amdhsa_exception_fp_ieee_div_zero 0
		.amdhsa_exception_fp_ieee_overflow 0
		.amdhsa_exception_fp_ieee_underflow 0
		.amdhsa_exception_fp_ieee_inexact 0
		.amdhsa_exception_int_div_zero 0
	.end_amdhsa_kernel
	.section	.text._Z17sort_pairs_kernelI22helper_blocked_stripedxLj128ELj8ELj10EEvPKT0_PS1_,"axG",@progbits,_Z17sort_pairs_kernelI22helper_blocked_stripedxLj128ELj8ELj10EEvPKT0_PS1_,comdat
.Lfunc_end303:
	.size	_Z17sort_pairs_kernelI22helper_blocked_stripedxLj128ELj8ELj10EEvPKT0_PS1_, .Lfunc_end303-_Z17sort_pairs_kernelI22helper_blocked_stripedxLj128ELj8ELj10EEvPKT0_PS1_
                                        ; -- End function
	.set _Z17sort_pairs_kernelI22helper_blocked_stripedxLj128ELj8ELj10EEvPKT0_PS1_.num_vgpr, 85
	.set _Z17sort_pairs_kernelI22helper_blocked_stripedxLj128ELj8ELj10EEvPKT0_PS1_.num_agpr, 0
	.set _Z17sort_pairs_kernelI22helper_blocked_stripedxLj128ELj8ELj10EEvPKT0_PS1_.numbered_sgpr, 38
	.set _Z17sort_pairs_kernelI22helper_blocked_stripedxLj128ELj8ELj10EEvPKT0_PS1_.num_named_barrier, 0
	.set _Z17sort_pairs_kernelI22helper_blocked_stripedxLj128ELj8ELj10EEvPKT0_PS1_.private_seg_size, 0
	.set _Z17sort_pairs_kernelI22helper_blocked_stripedxLj128ELj8ELj10EEvPKT0_PS1_.uses_vcc, 1
	.set _Z17sort_pairs_kernelI22helper_blocked_stripedxLj128ELj8ELj10EEvPKT0_PS1_.uses_flat_scratch, 0
	.set _Z17sort_pairs_kernelI22helper_blocked_stripedxLj128ELj8ELj10EEvPKT0_PS1_.has_dyn_sized_stack, 0
	.set _Z17sort_pairs_kernelI22helper_blocked_stripedxLj128ELj8ELj10EEvPKT0_PS1_.has_recursion, 0
	.set _Z17sort_pairs_kernelI22helper_blocked_stripedxLj128ELj8ELj10EEvPKT0_PS1_.has_indirect_call, 0
	.section	.AMDGPU.csdata,"",@progbits
; Kernel info:
; codeLenInByte = 5052
; TotalNumSgprs: 42
; NumVgprs: 85
; ScratchSize: 0
; MemoryBound: 0
; FloatMode: 240
; IeeeMode: 1
; LDSByteSize: 8192 bytes/workgroup (compile time only)
; SGPRBlocks: 12
; VGPRBlocks: 21
; NumSGPRsForWavesPerEU: 102
; NumVGPRsForWavesPerEU: 85
; Occupancy: 2
; WaveLimiterHint : 1
; COMPUTE_PGM_RSRC2:SCRATCH_EN: 0
; COMPUTE_PGM_RSRC2:USER_SGPR: 6
; COMPUTE_PGM_RSRC2:TRAP_HANDLER: 0
; COMPUTE_PGM_RSRC2:TGID_X_EN: 1
; COMPUTE_PGM_RSRC2:TGID_Y_EN: 0
; COMPUTE_PGM_RSRC2:TGID_Z_EN: 0
; COMPUTE_PGM_RSRC2:TIDIG_COMP_CNT: 2
	.section	.text._Z16sort_keys_kernelI22helper_blocked_stripedxLj192ELj1ELj10EEvPKT0_PS1_,"axG",@progbits,_Z16sort_keys_kernelI22helper_blocked_stripedxLj192ELj1ELj10EEvPKT0_PS1_,comdat
	.protected	_Z16sort_keys_kernelI22helper_blocked_stripedxLj192ELj1ELj10EEvPKT0_PS1_ ; -- Begin function _Z16sort_keys_kernelI22helper_blocked_stripedxLj192ELj1ELj10EEvPKT0_PS1_
	.globl	_Z16sort_keys_kernelI22helper_blocked_stripedxLj192ELj1ELj10EEvPKT0_PS1_
	.p2align	8
	.type	_Z16sort_keys_kernelI22helper_blocked_stripedxLj192ELj1ELj10EEvPKT0_PS1_,@function
_Z16sort_keys_kernelI22helper_blocked_stripedxLj192ELj1ELj10EEvPKT0_PS1_: ; @_Z16sort_keys_kernelI22helper_blocked_stripedxLj192ELj1ELj10EEvPKT0_PS1_
; %bb.0:
	s_load_dwordx4 s[28:31], s[4:5], 0x0
	s_load_dword s24, s[4:5], 0x1c
	s_mul_i32 s36, s6, 0xc0
	s_mov_b32 s37, 0
	s_lshl_b64 s[34:35], s[36:37], 3
	s_waitcnt lgkmcnt(0)
	s_add_u32 s0, s28, s34
	s_addc_u32 s1, s29, s35
	v_lshlrev_b32_e32 v3, 3, v0
	global_load_dwordx2 v[7:8], v3, s[0:1]
	s_lshr_b32 s25, s24, 16
	s_and_b32 s24, s24, 0xffff
	v_mad_u32_u24 v1, v2, s25, v1
	v_mbcnt_lo_u32_b32 v4, -1, 0
	v_mad_u64_u32 v[1:2], s[24:25], v1, s24, v[0:1]
	v_mbcnt_hi_u32_b32 v4, -1, v4
	v_and_b32_e32 v5, 0xc0, v0
	v_subrev_co_u32_e64 v16, s[8:9], 1, v4
	v_and_b32_e32 v17, 64, v4
	v_lshlrev_b32_e32 v11, 4, v0
	v_lshrrev_b32_e32 v6, 4, v0
	v_and_b32_e32 v10, 15, v4
	v_min_u32_e32 v15, 0x80, v5
	v_cmp_lt_i32_e32 vcc, v16, v17
	v_lshlrev_b32_e32 v9, 2, v0
	v_and_b32_e32 v14, 16, v4
	v_and_b32_e32 v12, 12, v6
	v_mad_i32_i24 v13, v0, -12, v11
	v_and_b32_e32 v6, 3, v4
	v_lshlrev_b32_e32 v5, 3, v5
	v_cmp_eq_u32_e64 s[10:11], 0, v10
	v_cmp_lt_u32_e64 s[12:13], 1, v10
	v_cmp_lt_u32_e64 s[14:15], 3, v10
	;; [unrolled: 1-line block ×3, first 2 shown]
	v_or_b32_e32 v10, 63, v15
	v_cndmask_b32_e32 v17, v16, v4, vcc
	v_lshrrev_b32_e32 v1, 4, v1
	v_mov_b32_e32 v3, 0
	v_cmp_gt_u32_e64 s[0:1], 3, v0
	v_cmp_lt_u32_e64 s[2:3], 63, v0
	v_cmp_eq_u32_e64 s[4:5], 0, v0
	v_cmp_lt_u32_e64 s[6:7], 31, v4
	v_cmp_eq_u32_e64 s[18:19], 0, v14
	v_cmp_eq_u32_e64 s[20:21], 0, v6
	v_cmp_lt_u32_e64 s[22:23], 1, v6
	v_add_u32_e32 v14, -4, v12
	v_lshl_add_u32 v15, v4, 3, v5
	v_add_u32_e32 v16, v13, v9
	v_cmp_eq_u32_e64 s[24:25], v0, v10
	v_lshlrev_b32_e32 v17, 2, v17
	v_and_b32_e32 v18, 0xffffffc, v1
	v_mov_b32_e32 v19, 12
	s_waitcnt vmcnt(0)
	v_xor_b32_e32 v8, 0x80000000, v8
	s_branch .LBB304_2
.LBB304_1:                              ;   in Loop: Header=BB304_2 Depth=1
	v_lshlrev_b32_e32 v1, 3, v4
	s_barrier
	ds_write_b64 v1, v[5:6]
	s_waitcnt lgkmcnt(0)
	s_barrier
	ds_read_b64 v[7:8], v16
	s_add_i32 s37, s37, 1
	s_cmp_eq_u32 s37, 10
	s_cbranch_scc1 .LBB304_14
.LBB304_2:                              ; =>This Loop Header: Depth=1
                                        ;     Child Loop BB304_4 Depth 2
	v_mov_b32_e32 v1, 0
	v_mov_b32_e32 v2, 0
	s_branch .LBB304_4
.LBB304_3:                              ;   in Loop: Header=BB304_4 Depth=2
	s_andn2_b64 vcc, exec, s[26:27]
	s_cbranch_vccz .LBB304_1
.LBB304_4:                              ;   Parent Loop BB304_2 Depth=1
                                        ; =>  This Inner Loop Header: Depth=2
	s_waitcnt lgkmcnt(0)
	v_mov_b32_e32 v5, v7
	v_mov_b32_e32 v6, v8
	v_lshrrev_b64 v[7:8], v1, v[5:6]
	ds_write2_b32 v11, v3, v3 offset0:3 offset1:4
	ds_write2_b32 v11, v3, v3 offset0:5 offset1:6
	v_and_b32_e32 v4, 1, v7
	v_add_co_u32_e32 v8, vcc, -1, v4
	v_addc_co_u32_e64 v10, s[26:27], 0, -1, vcc
	v_cmp_ne_u32_e32 vcc, 0, v4
	v_xor_b32_e32 v4, vcc_hi, v10
	v_and_b32_e32 v10, exec_hi, v4
	v_lshlrev_b32_e32 v4, 30, v7
	v_xor_b32_e32 v8, vcc_lo, v8
	v_cmp_gt_i64_e32 vcc, 0, v[3:4]
	v_not_b32_e32 v4, v4
	v_ashrrev_i32_e32 v4, 31, v4
	v_and_b32_e32 v8, exec_lo, v8
	v_xor_b32_e32 v20, vcc_hi, v4
	v_xor_b32_e32 v4, vcc_lo, v4
	v_and_b32_e32 v8, v8, v4
	v_lshlrev_b32_e32 v4, 29, v7
	v_cmp_gt_i64_e32 vcc, 0, v[3:4]
	v_not_b32_e32 v4, v4
	v_ashrrev_i32_e32 v4, 31, v4
	v_and_b32_e32 v10, v10, v20
	v_xor_b32_e32 v20, vcc_hi, v4
	v_xor_b32_e32 v4, vcc_lo, v4
	v_and_b32_e32 v8, v8, v4
	v_lshlrev_b32_e32 v4, 28, v7
	v_cmp_gt_i64_e32 vcc, 0, v[3:4]
	v_not_b32_e32 v4, v4
	v_ashrrev_i32_e32 v4, 31, v4
	v_and_b32_e32 v10, v10, v20
	;; [unrolled: 8-line block ×5, first 2 shown]
	v_xor_b32_e32 v20, vcc_hi, v4
	v_xor_b32_e32 v4, vcc_lo, v4
	v_and_b32_e32 v10, v10, v20
	v_and_b32_e32 v20, v8, v4
	v_lshlrev_b32_e32 v4, 24, v7
	v_cmp_gt_i64_e32 vcc, 0, v[3:4]
	v_not_b32_e32 v4, v4
	v_ashrrev_i32_e32 v4, 31, v4
	v_mul_u32_u24_sdwa v9, v7, v19 dst_sel:DWORD dst_unused:UNUSED_PAD src0_sel:BYTE_0 src1_sel:DWORD
	v_xor_b32_e32 v7, vcc_hi, v4
	v_xor_b32_e32 v4, vcc_lo, v4
	v_and_b32_e32 v8, v10, v7
	v_and_b32_e32 v7, v20, v4
	v_mbcnt_lo_u32_b32 v4, v7, 0
	v_mbcnt_hi_u32_b32 v4, v8, v4
	v_cmp_ne_u64_e32 vcc, 0, v[7:8]
	v_cmp_eq_u32_e64 s[26:27], 0, v4
	s_and_b64 s[28:29], vcc, s[26:27]
	v_add_u32_e32 v20, v18, v9
	s_waitcnt lgkmcnt(0)
	s_barrier
	; wave barrier
	s_and_saveexec_b64 s[26:27], s[28:29]
; %bb.5:                                ;   in Loop: Header=BB304_4 Depth=2
	v_bcnt_u32_b32 v7, v7, 0
	v_bcnt_u32_b32 v7, v8, v7
	ds_write_b32 v20, v7 offset:12
; %bb.6:                                ;   in Loop: Header=BB304_4 Depth=2
	s_or_b64 exec, exec, s[26:27]
	; wave barrier
	s_waitcnt lgkmcnt(0)
	s_barrier
	ds_read2_b32 v[9:10], v11 offset0:3 offset1:4
	ds_read2_b32 v[7:8], v11 offset0:5 offset1:6
	s_waitcnt lgkmcnt(1)
	v_add_u32_e32 v21, v10, v9
	s_waitcnt lgkmcnt(0)
	v_add3_u32 v8, v21, v7, v8
	s_nop 1
	v_mov_b32_dpp v21, v8 row_shr:1 row_mask:0xf bank_mask:0xf
	v_cndmask_b32_e64 v21, v21, 0, s[10:11]
	v_add_u32_e32 v8, v21, v8
	s_nop 1
	v_mov_b32_dpp v21, v8 row_shr:2 row_mask:0xf bank_mask:0xf
	v_cndmask_b32_e64 v21, 0, v21, s[12:13]
	v_add_u32_e32 v8, v8, v21
	;; [unrolled: 4-line block ×4, first 2 shown]
	s_nop 1
	v_mov_b32_dpp v21, v8 row_bcast:15 row_mask:0xf bank_mask:0xf
	v_cndmask_b32_e64 v21, v21, 0, s[18:19]
	v_add_u32_e32 v8, v8, v21
	s_nop 1
	v_mov_b32_dpp v21, v8 row_bcast:31 row_mask:0xf bank_mask:0xf
	v_cndmask_b32_e64 v21, 0, v21, s[6:7]
	v_add_u32_e32 v8, v8, v21
	s_and_saveexec_b64 s[26:27], s[24:25]
; %bb.7:                                ;   in Loop: Header=BB304_4 Depth=2
	ds_write_b32 v12, v8
; %bb.8:                                ;   in Loop: Header=BB304_4 Depth=2
	s_or_b64 exec, exec, s[26:27]
	s_waitcnt lgkmcnt(0)
	s_barrier
	s_and_saveexec_b64 s[26:27], s[0:1]
	s_cbranch_execz .LBB304_10
; %bb.9:                                ;   in Loop: Header=BB304_4 Depth=2
	ds_read_b32 v21, v13
	s_waitcnt lgkmcnt(0)
	s_nop 0
	v_mov_b32_dpp v22, v21 row_shr:1 row_mask:0xf bank_mask:0xf
	v_cndmask_b32_e64 v22, v22, 0, s[20:21]
	v_add_u32_e32 v21, v22, v21
	s_nop 1
	v_mov_b32_dpp v22, v21 row_shr:2 row_mask:0xf bank_mask:0xf
	v_cndmask_b32_e64 v22, 0, v22, s[22:23]
	v_add_u32_e32 v21, v21, v22
	ds_write_b32 v13, v21
.LBB304_10:                             ;   in Loop: Header=BB304_4 Depth=2
	s_or_b64 exec, exec, s[26:27]
	v_mov_b32_e32 v21, 0
	s_waitcnt lgkmcnt(0)
	s_barrier
	s_and_saveexec_b64 s[26:27], s[2:3]
; %bb.11:                               ;   in Loop: Header=BB304_4 Depth=2
	ds_read_b32 v21, v14
; %bb.12:                               ;   in Loop: Header=BB304_4 Depth=2
	s_or_b64 exec, exec, s[26:27]
	s_waitcnt lgkmcnt(0)
	v_add_u32_e32 v8, v21, v8
	ds_bpermute_b32 v8, v17, v8
	v_cmp_lt_u32_e32 vcc, 55, v1
	s_and_b64 vcc, exec, vcc
	s_mov_b64 s[26:27], -1
	s_waitcnt lgkmcnt(0)
	v_cndmask_b32_e64 v8, v8, v21, s[8:9]
	v_cndmask_b32_e64 v8, v8, 0, s[4:5]
	v_add_u32_e32 v9, v8, v9
	v_add_u32_e32 v10, v9, v10
	;; [unrolled: 1-line block ×3, first 2 shown]
	ds_write2_b32 v11, v8, v9 offset0:3 offset1:4
	ds_write2_b32 v11, v10, v7 offset0:5 offset1:6
	s_waitcnt lgkmcnt(0)
	s_barrier
	ds_read_b32 v7, v20 offset:12
	s_waitcnt lgkmcnt(0)
	v_add_u32_e32 v4, v7, v4
                                        ; implicit-def: $vgpr7_vgpr8
	s_cbranch_vccnz .LBB304_3
; %bb.13:                               ;   in Loop: Header=BB304_4 Depth=2
	v_lshlrev_b32_e32 v7, 3, v4
	s_barrier
	ds_write_b64 v7, v[5:6]
	s_waitcnt lgkmcnt(0)
	s_barrier
	ds_read_b64 v[7:8], v15
	v_add_co_u32_e32 v1, vcc, 8, v1
	v_addc_co_u32_e32 v2, vcc, 0, v2, vcc
	s_mov_b64 s[26:27], 0
	s_waitcnt lgkmcnt(0)
	s_barrier
	s_branch .LBB304_3
.LBB304_14:
	s_add_u32 s0, s30, s34
	s_waitcnt lgkmcnt(0)
	v_xor_b32_e32 v8, 0x80000000, v8
	s_addc_u32 s1, s31, s35
	v_lshlrev_b32_e32 v0, 3, v0
	global_store_dwordx2 v0, v[7:8], s[0:1]
	s_endpgm
	.section	.rodata,"a",@progbits
	.p2align	6, 0x0
	.amdhsa_kernel _Z16sort_keys_kernelI22helper_blocked_stripedxLj192ELj1ELj10EEvPKT0_PS1_
		.amdhsa_group_segment_fixed_size 3088
		.amdhsa_private_segment_fixed_size 0
		.amdhsa_kernarg_size 272
		.amdhsa_user_sgpr_count 6
		.amdhsa_user_sgpr_private_segment_buffer 1
		.amdhsa_user_sgpr_dispatch_ptr 0
		.amdhsa_user_sgpr_queue_ptr 0
		.amdhsa_user_sgpr_kernarg_segment_ptr 1
		.amdhsa_user_sgpr_dispatch_id 0
		.amdhsa_user_sgpr_flat_scratch_init 0
		.amdhsa_user_sgpr_private_segment_size 0
		.amdhsa_uses_dynamic_stack 0
		.amdhsa_system_sgpr_private_segment_wavefront_offset 0
		.amdhsa_system_sgpr_workgroup_id_x 1
		.amdhsa_system_sgpr_workgroup_id_y 0
		.amdhsa_system_sgpr_workgroup_id_z 0
		.amdhsa_system_sgpr_workgroup_info 0
		.amdhsa_system_vgpr_workitem_id 2
		.amdhsa_next_free_vgpr 23
		.amdhsa_next_free_sgpr 38
		.amdhsa_reserve_vcc 1
		.amdhsa_reserve_flat_scratch 0
		.amdhsa_float_round_mode_32 0
		.amdhsa_float_round_mode_16_64 0
		.amdhsa_float_denorm_mode_32 3
		.amdhsa_float_denorm_mode_16_64 3
		.amdhsa_dx10_clamp 1
		.amdhsa_ieee_mode 1
		.amdhsa_fp16_overflow 0
		.amdhsa_exception_fp_ieee_invalid_op 0
		.amdhsa_exception_fp_denorm_src 0
		.amdhsa_exception_fp_ieee_div_zero 0
		.amdhsa_exception_fp_ieee_overflow 0
		.amdhsa_exception_fp_ieee_underflow 0
		.amdhsa_exception_fp_ieee_inexact 0
		.amdhsa_exception_int_div_zero 0
	.end_amdhsa_kernel
	.section	.text._Z16sort_keys_kernelI22helper_blocked_stripedxLj192ELj1ELj10EEvPKT0_PS1_,"axG",@progbits,_Z16sort_keys_kernelI22helper_blocked_stripedxLj192ELj1ELj10EEvPKT0_PS1_,comdat
.Lfunc_end304:
	.size	_Z16sort_keys_kernelI22helper_blocked_stripedxLj192ELj1ELj10EEvPKT0_PS1_, .Lfunc_end304-_Z16sort_keys_kernelI22helper_blocked_stripedxLj192ELj1ELj10EEvPKT0_PS1_
                                        ; -- End function
	.set _Z16sort_keys_kernelI22helper_blocked_stripedxLj192ELj1ELj10EEvPKT0_PS1_.num_vgpr, 23
	.set _Z16sort_keys_kernelI22helper_blocked_stripedxLj192ELj1ELj10EEvPKT0_PS1_.num_agpr, 0
	.set _Z16sort_keys_kernelI22helper_blocked_stripedxLj192ELj1ELj10EEvPKT0_PS1_.numbered_sgpr, 38
	.set _Z16sort_keys_kernelI22helper_blocked_stripedxLj192ELj1ELj10EEvPKT0_PS1_.num_named_barrier, 0
	.set _Z16sort_keys_kernelI22helper_blocked_stripedxLj192ELj1ELj10EEvPKT0_PS1_.private_seg_size, 0
	.set _Z16sort_keys_kernelI22helper_blocked_stripedxLj192ELj1ELj10EEvPKT0_PS1_.uses_vcc, 1
	.set _Z16sort_keys_kernelI22helper_blocked_stripedxLj192ELj1ELj10EEvPKT0_PS1_.uses_flat_scratch, 0
	.set _Z16sort_keys_kernelI22helper_blocked_stripedxLj192ELj1ELj10EEvPKT0_PS1_.has_dyn_sized_stack, 0
	.set _Z16sort_keys_kernelI22helper_blocked_stripedxLj192ELj1ELj10EEvPKT0_PS1_.has_recursion, 0
	.set _Z16sort_keys_kernelI22helper_blocked_stripedxLj192ELj1ELj10EEvPKT0_PS1_.has_indirect_call, 0
	.section	.AMDGPU.csdata,"",@progbits
; Kernel info:
; codeLenInByte = 1292
; TotalNumSgprs: 42
; NumVgprs: 23
; ScratchSize: 0
; MemoryBound: 0
; FloatMode: 240
; IeeeMode: 1
; LDSByteSize: 3088 bytes/workgroup (compile time only)
; SGPRBlocks: 5
; VGPRBlocks: 5
; NumSGPRsForWavesPerEU: 42
; NumVGPRsForWavesPerEU: 23
; Occupancy: 10
; WaveLimiterHint : 0
; COMPUTE_PGM_RSRC2:SCRATCH_EN: 0
; COMPUTE_PGM_RSRC2:USER_SGPR: 6
; COMPUTE_PGM_RSRC2:TRAP_HANDLER: 0
; COMPUTE_PGM_RSRC2:TGID_X_EN: 1
; COMPUTE_PGM_RSRC2:TGID_Y_EN: 0
; COMPUTE_PGM_RSRC2:TGID_Z_EN: 0
; COMPUTE_PGM_RSRC2:TIDIG_COMP_CNT: 2
	.section	.text._Z17sort_pairs_kernelI22helper_blocked_stripedxLj192ELj1ELj10EEvPKT0_PS1_,"axG",@progbits,_Z17sort_pairs_kernelI22helper_blocked_stripedxLj192ELj1ELj10EEvPKT0_PS1_,comdat
	.protected	_Z17sort_pairs_kernelI22helper_blocked_stripedxLj192ELj1ELj10EEvPKT0_PS1_ ; -- Begin function _Z17sort_pairs_kernelI22helper_blocked_stripedxLj192ELj1ELj10EEvPKT0_PS1_
	.globl	_Z17sort_pairs_kernelI22helper_blocked_stripedxLj192ELj1ELj10EEvPKT0_PS1_
	.p2align	8
	.type	_Z17sort_pairs_kernelI22helper_blocked_stripedxLj192ELj1ELj10EEvPKT0_PS1_,@function
_Z17sort_pairs_kernelI22helper_blocked_stripedxLj192ELj1ELj10EEvPKT0_PS1_: ; @_Z17sort_pairs_kernelI22helper_blocked_stripedxLj192ELj1ELj10EEvPKT0_PS1_
; %bb.0:
	s_load_dwordx4 s[28:31], s[4:5], 0x0
	s_load_dword s24, s[4:5], 0x1c
	s_mul_i32 s36, s6, 0xc0
	s_mov_b32 s37, 0
	s_lshl_b64 s[34:35], s[36:37], 3
	s_waitcnt lgkmcnt(0)
	s_add_u32 s0, s28, s34
	s_addc_u32 s1, s29, s35
	v_lshlrev_b32_e32 v3, 3, v0
	global_load_dwordx2 v[9:10], v3, s[0:1]
	s_lshr_b32 s25, s24, 16
	v_mbcnt_lo_u32_b32 v4, -1, 0
	s_and_b32 s24, s24, 0xffff
	v_mad_u32_u24 v1, v2, s25, v1
	v_mbcnt_hi_u32_b32 v4, -1, v4
	v_mad_u64_u32 v[1:2], s[24:25], v1, s24, v[0:1]
	v_subrev_co_u32_e64 v16, s[8:9], 1, v4
	v_and_b32_e32 v17, 64, v4
	v_and_b32_e32 v5, 0xc0, v0
	;; [unrolled: 1-line block ×3, first 2 shown]
	v_cmp_lt_i32_e32 vcc, v16, v17
	v_lshlrev_b32_e32 v13, 4, v0
	v_lshrrev_b32_e32 v6, 4, v0
	v_and_b32_e32 v8, 15, v4
	v_min_u32_e32 v12, 0x80, v5
	v_cmp_eq_u32_e64 s[18:19], 0, v11
	v_cndmask_b32_e32 v11, v16, v4, vcc
	v_lshlrev_b32_e32 v7, 2, v0
	v_and_b32_e32 v14, 12, v6
	v_mad_i32_i24 v15, v0, -12, v13
	v_and_b32_e32 v6, 3, v4
	v_lshlrev_b32_e32 v5, 3, v5
	v_cmp_eq_u32_e64 s[10:11], 0, v8
	v_cmp_lt_u32_e64 s[12:13], 1, v8
	v_cmp_lt_u32_e64 s[14:15], 3, v8
	;; [unrolled: 1-line block ×3, first 2 shown]
	v_or_b32_e32 v8, 63, v12
	v_lshlrev_b32_e32 v18, 2, v11
	v_lshrrev_b32_e32 v1, 4, v1
	v_mov_b32_e32 v3, 0
	v_cmp_gt_u32_e64 s[0:1], 3, v0
	v_cmp_lt_u32_e64 s[2:3], 63, v0
	v_cmp_eq_u32_e64 s[4:5], 0, v0
	v_cmp_lt_u32_e64 s[6:7], 31, v4
	v_cmp_eq_u32_e64 s[20:21], 0, v6
	v_cmp_lt_u32_e64 s[22:23], 1, v6
	v_lshl_add_u32 v16, v4, 3, v5
	v_add_u32_e32 v17, v15, v7
	v_cmp_eq_u32_e64 s[24:25], v0, v8
	v_and_b32_e32 v19, 0xffffffc, v1
	s_waitcnt vmcnt(0)
	v_add_co_u32_e32 v11, vcc, 1, v9
	v_addc_co_u32_e32 v12, vcc, 0, v10, vcc
	v_xor_b32_e32 v10, 0x80000000, v10
	s_branch .LBB305_2
.LBB305_1:                              ;   in Loop: Header=BB305_2 Depth=1
	v_lshlrev_b32_e32 v4, 3, v4
	s_barrier
	ds_write_b64 v4, v[7:8]
	s_waitcnt lgkmcnt(0)
	s_barrier
	ds_read_b64 v[9:10], v17
	s_waitcnt lgkmcnt(0)
	s_barrier
	ds_write_b64 v4, v[1:2]
	s_waitcnt lgkmcnt(0)
	s_barrier
	ds_read_b64 v[11:12], v17
	s_add_i32 s37, s37, 1
	s_cmp_eq_u32 s37, 10
	s_cbranch_scc1 .LBB305_14
.LBB305_2:                              ; =>This Loop Header: Depth=1
                                        ;     Child Loop BB305_4 Depth 2
	v_mov_b32_e32 v5, 0
	v_mov_b32_e32 v6, 0
	s_branch .LBB305_4
.LBB305_3:                              ;   in Loop: Header=BB305_4 Depth=2
	s_andn2_b64 vcc, exec, s[26:27]
	s_cbranch_vccz .LBB305_1
.LBB305_4:                              ;   Parent Loop BB305_2 Depth=1
                                        ; =>  This Inner Loop Header: Depth=2
	v_mov_b32_e32 v7, v9
	v_mov_b32_e32 v8, v10
	v_lshrrev_b64 v[9:10], v5, v[7:8]
	s_waitcnt lgkmcnt(0)
	v_mov_b32_e32 v1, v11
	v_mov_b32_e32 v4, 12
	;; [unrolled: 1-line block ×3, first 2 shown]
	v_mul_u32_u24_sdwa v11, v9, v4 dst_sel:DWORD dst_unused:UNUSED_PAD src0_sel:BYTE_0 src1_sel:DWORD
	v_and_b32_e32 v4, 1, v9
	v_add_co_u32_e32 v10, vcc, -1, v4
	v_addc_co_u32_e64 v12, s[26:27], 0, -1, vcc
	v_cmp_ne_u32_e32 vcc, 0, v4
	v_xor_b32_e32 v4, vcc_hi, v12
	v_and_b32_e32 v12, exec_hi, v4
	v_lshlrev_b32_e32 v4, 30, v9
	v_xor_b32_e32 v10, vcc_lo, v10
	v_cmp_gt_i64_e32 vcc, 0, v[3:4]
	v_not_b32_e32 v4, v4
	v_ashrrev_i32_e32 v4, 31, v4
	v_and_b32_e32 v10, exec_lo, v10
	v_xor_b32_e32 v20, vcc_hi, v4
	v_xor_b32_e32 v4, vcc_lo, v4
	v_and_b32_e32 v10, v10, v4
	v_lshlrev_b32_e32 v4, 29, v9
	v_cmp_gt_i64_e32 vcc, 0, v[3:4]
	v_not_b32_e32 v4, v4
	v_ashrrev_i32_e32 v4, 31, v4
	v_and_b32_e32 v12, v12, v20
	v_xor_b32_e32 v20, vcc_hi, v4
	v_xor_b32_e32 v4, vcc_lo, v4
	v_and_b32_e32 v10, v10, v4
	v_lshlrev_b32_e32 v4, 28, v9
	v_cmp_gt_i64_e32 vcc, 0, v[3:4]
	v_not_b32_e32 v4, v4
	v_ashrrev_i32_e32 v4, 31, v4
	v_and_b32_e32 v12, v12, v20
	;; [unrolled: 8-line block ×5, first 2 shown]
	v_xor_b32_e32 v20, vcc_hi, v4
	v_xor_b32_e32 v4, vcc_lo, v4
	v_and_b32_e32 v12, v12, v20
	v_and_b32_e32 v20, v10, v4
	v_lshlrev_b32_e32 v4, 24, v9
	v_cmp_gt_i64_e32 vcc, 0, v[3:4]
	v_not_b32_e32 v4, v4
	v_ashrrev_i32_e32 v4, 31, v4
	v_xor_b32_e32 v9, vcc_hi, v4
	v_xor_b32_e32 v4, vcc_lo, v4
	v_and_b32_e32 v10, v12, v9
	v_and_b32_e32 v9, v20, v4
	v_mbcnt_lo_u32_b32 v4, v9, 0
	v_mbcnt_hi_u32_b32 v4, v10, v4
	v_cmp_ne_u64_e32 vcc, 0, v[9:10]
	v_cmp_eq_u32_e64 s[26:27], 0, v4
	s_and_b64 s[28:29], vcc, s[26:27]
	v_add_u32_e32 v20, v19, v11
	ds_write2_b32 v13, v3, v3 offset0:3 offset1:4
	ds_write2_b32 v13, v3, v3 offset0:5 offset1:6
	s_waitcnt lgkmcnt(0)
	s_barrier
	; wave barrier
	s_and_saveexec_b64 s[26:27], s[28:29]
; %bb.5:                                ;   in Loop: Header=BB305_4 Depth=2
	v_bcnt_u32_b32 v9, v9, 0
	v_bcnt_u32_b32 v9, v10, v9
	ds_write_b32 v20, v9 offset:12
; %bb.6:                                ;   in Loop: Header=BB305_4 Depth=2
	s_or_b64 exec, exec, s[26:27]
	; wave barrier
	s_waitcnt lgkmcnt(0)
	s_barrier
	ds_read2_b32 v[11:12], v13 offset0:3 offset1:4
	ds_read2_b32 v[9:10], v13 offset0:5 offset1:6
	s_waitcnt lgkmcnt(1)
	v_add_u32_e32 v21, v12, v11
	s_waitcnt lgkmcnt(0)
	v_add3_u32 v10, v21, v9, v10
	s_nop 1
	v_mov_b32_dpp v21, v10 row_shr:1 row_mask:0xf bank_mask:0xf
	v_cndmask_b32_e64 v21, v21, 0, s[10:11]
	v_add_u32_e32 v10, v21, v10
	s_nop 1
	v_mov_b32_dpp v21, v10 row_shr:2 row_mask:0xf bank_mask:0xf
	v_cndmask_b32_e64 v21, 0, v21, s[12:13]
	v_add_u32_e32 v10, v10, v21
	;; [unrolled: 4-line block ×4, first 2 shown]
	s_nop 1
	v_mov_b32_dpp v21, v10 row_bcast:15 row_mask:0xf bank_mask:0xf
	v_cndmask_b32_e64 v21, v21, 0, s[18:19]
	v_add_u32_e32 v10, v10, v21
	s_nop 1
	v_mov_b32_dpp v21, v10 row_bcast:31 row_mask:0xf bank_mask:0xf
	v_cndmask_b32_e64 v21, 0, v21, s[6:7]
	v_add_u32_e32 v10, v10, v21
	s_and_saveexec_b64 s[26:27], s[24:25]
; %bb.7:                                ;   in Loop: Header=BB305_4 Depth=2
	ds_write_b32 v14, v10
; %bb.8:                                ;   in Loop: Header=BB305_4 Depth=2
	s_or_b64 exec, exec, s[26:27]
	s_waitcnt lgkmcnt(0)
	s_barrier
	s_and_saveexec_b64 s[26:27], s[0:1]
	s_cbranch_execz .LBB305_10
; %bb.9:                                ;   in Loop: Header=BB305_4 Depth=2
	ds_read_b32 v21, v15
	s_waitcnt lgkmcnt(0)
	s_nop 0
	v_mov_b32_dpp v22, v21 row_shr:1 row_mask:0xf bank_mask:0xf
	v_cndmask_b32_e64 v22, v22, 0, s[20:21]
	v_add_u32_e32 v21, v22, v21
	s_nop 1
	v_mov_b32_dpp v22, v21 row_shr:2 row_mask:0xf bank_mask:0xf
	v_cndmask_b32_e64 v22, 0, v22, s[22:23]
	v_add_u32_e32 v21, v21, v22
	ds_write_b32 v15, v21
.LBB305_10:                             ;   in Loop: Header=BB305_4 Depth=2
	s_or_b64 exec, exec, s[26:27]
	v_mov_b32_e32 v21, 0
	s_waitcnt lgkmcnt(0)
	s_barrier
	s_and_saveexec_b64 s[26:27], s[2:3]
; %bb.11:                               ;   in Loop: Header=BB305_4 Depth=2
	v_add_u32_e32 v21, -4, v14
	ds_read_b32 v21, v21
; %bb.12:                               ;   in Loop: Header=BB305_4 Depth=2
	s_or_b64 exec, exec, s[26:27]
	s_waitcnt lgkmcnt(0)
	v_add_u32_e32 v10, v21, v10
	ds_bpermute_b32 v10, v18, v10
	v_cmp_lt_u32_e32 vcc, 55, v5
	s_and_b64 vcc, exec, vcc
	s_mov_b64 s[26:27], -1
	s_waitcnt lgkmcnt(0)
	v_cndmask_b32_e64 v10, v10, v21, s[8:9]
	v_cndmask_b32_e64 v10, v10, 0, s[4:5]
	v_add_u32_e32 v11, v10, v11
	v_add_u32_e32 v12, v11, v12
	;; [unrolled: 1-line block ×3, first 2 shown]
	ds_write2_b32 v13, v10, v11 offset0:3 offset1:4
	ds_write2_b32 v13, v12, v9 offset0:5 offset1:6
	s_waitcnt lgkmcnt(0)
	s_barrier
	ds_read_b32 v9, v20 offset:12
                                        ; implicit-def: $vgpr11_vgpr12
	s_waitcnt lgkmcnt(0)
	v_add_u32_e32 v4, v9, v4
                                        ; implicit-def: $vgpr9_vgpr10
	s_cbranch_vccnz .LBB305_3
; %bb.13:                               ;   in Loop: Header=BB305_4 Depth=2
	v_lshlrev_b32_e32 v11, 3, v4
	s_barrier
	ds_write_b64 v11, v[7:8]
	s_waitcnt lgkmcnt(0)
	s_barrier
	ds_read_b64 v[9:10], v16
	s_waitcnt lgkmcnt(0)
	s_barrier
	ds_write_b64 v11, v[1:2]
	s_waitcnt lgkmcnt(0)
	s_barrier
	ds_read_b64 v[11:12], v16
	v_add_co_u32_e32 v5, vcc, 8, v5
	v_addc_co_u32_e32 v6, vcc, 0, v6, vcc
	s_mov_b64 s[26:27], 0
	s_waitcnt lgkmcnt(0)
	s_barrier
	s_branch .LBB305_3
.LBB305_14:
	s_waitcnt lgkmcnt(0)
	v_add_co_u32_e32 v1, vcc, v11, v9
	v_addc_co_u32_e32 v2, vcc, v12, v10, vcc
	s_add_u32 s0, s30, s34
	v_add_u32_e32 v2, 0x80000000, v2
	s_addc_u32 s1, s31, s35
	v_lshlrev_b32_e32 v0, 3, v0
	global_store_dwordx2 v0, v[1:2], s[0:1]
	s_endpgm
	.section	.rodata,"a",@progbits
	.p2align	6, 0x0
	.amdhsa_kernel _Z17sort_pairs_kernelI22helper_blocked_stripedxLj192ELj1ELj10EEvPKT0_PS1_
		.amdhsa_group_segment_fixed_size 3088
		.amdhsa_private_segment_fixed_size 0
		.amdhsa_kernarg_size 272
		.amdhsa_user_sgpr_count 6
		.amdhsa_user_sgpr_private_segment_buffer 1
		.amdhsa_user_sgpr_dispatch_ptr 0
		.amdhsa_user_sgpr_queue_ptr 0
		.amdhsa_user_sgpr_kernarg_segment_ptr 1
		.amdhsa_user_sgpr_dispatch_id 0
		.amdhsa_user_sgpr_flat_scratch_init 0
		.amdhsa_user_sgpr_private_segment_size 0
		.amdhsa_uses_dynamic_stack 0
		.amdhsa_system_sgpr_private_segment_wavefront_offset 0
		.amdhsa_system_sgpr_workgroup_id_x 1
		.amdhsa_system_sgpr_workgroup_id_y 0
		.amdhsa_system_sgpr_workgroup_id_z 0
		.amdhsa_system_sgpr_workgroup_info 0
		.amdhsa_system_vgpr_workitem_id 2
		.amdhsa_next_free_vgpr 23
		.amdhsa_next_free_sgpr 38
		.amdhsa_reserve_vcc 1
		.amdhsa_reserve_flat_scratch 0
		.amdhsa_float_round_mode_32 0
		.amdhsa_float_round_mode_16_64 0
		.amdhsa_float_denorm_mode_32 3
		.amdhsa_float_denorm_mode_16_64 3
		.amdhsa_dx10_clamp 1
		.amdhsa_ieee_mode 1
		.amdhsa_fp16_overflow 0
		.amdhsa_exception_fp_ieee_invalid_op 0
		.amdhsa_exception_fp_denorm_src 0
		.amdhsa_exception_fp_ieee_div_zero 0
		.amdhsa_exception_fp_ieee_overflow 0
		.amdhsa_exception_fp_ieee_underflow 0
		.amdhsa_exception_fp_ieee_inexact 0
		.amdhsa_exception_int_div_zero 0
	.end_amdhsa_kernel
	.section	.text._Z17sort_pairs_kernelI22helper_blocked_stripedxLj192ELj1ELj10EEvPKT0_PS1_,"axG",@progbits,_Z17sort_pairs_kernelI22helper_blocked_stripedxLj192ELj1ELj10EEvPKT0_PS1_,comdat
.Lfunc_end305:
	.size	_Z17sort_pairs_kernelI22helper_blocked_stripedxLj192ELj1ELj10EEvPKT0_PS1_, .Lfunc_end305-_Z17sort_pairs_kernelI22helper_blocked_stripedxLj192ELj1ELj10EEvPKT0_PS1_
                                        ; -- End function
	.set _Z17sort_pairs_kernelI22helper_blocked_stripedxLj192ELj1ELj10EEvPKT0_PS1_.num_vgpr, 23
	.set _Z17sort_pairs_kernelI22helper_blocked_stripedxLj192ELj1ELj10EEvPKT0_PS1_.num_agpr, 0
	.set _Z17sort_pairs_kernelI22helper_blocked_stripedxLj192ELj1ELj10EEvPKT0_PS1_.numbered_sgpr, 38
	.set _Z17sort_pairs_kernelI22helper_blocked_stripedxLj192ELj1ELj10EEvPKT0_PS1_.num_named_barrier, 0
	.set _Z17sort_pairs_kernelI22helper_blocked_stripedxLj192ELj1ELj10EEvPKT0_PS1_.private_seg_size, 0
	.set _Z17sort_pairs_kernelI22helper_blocked_stripedxLj192ELj1ELj10EEvPKT0_PS1_.uses_vcc, 1
	.set _Z17sort_pairs_kernelI22helper_blocked_stripedxLj192ELj1ELj10EEvPKT0_PS1_.uses_flat_scratch, 0
	.set _Z17sort_pairs_kernelI22helper_blocked_stripedxLj192ELj1ELj10EEvPKT0_PS1_.has_dyn_sized_stack, 0
	.set _Z17sort_pairs_kernelI22helper_blocked_stripedxLj192ELj1ELj10EEvPKT0_PS1_.has_recursion, 0
	.set _Z17sort_pairs_kernelI22helper_blocked_stripedxLj192ELj1ELj10EEvPKT0_PS1_.has_indirect_call, 0
	.section	.AMDGPU.csdata,"",@progbits
; Kernel info:
; codeLenInByte = 1380
; TotalNumSgprs: 42
; NumVgprs: 23
; ScratchSize: 0
; MemoryBound: 0
; FloatMode: 240
; IeeeMode: 1
; LDSByteSize: 3088 bytes/workgroup (compile time only)
; SGPRBlocks: 5
; VGPRBlocks: 5
; NumSGPRsForWavesPerEU: 42
; NumVGPRsForWavesPerEU: 23
; Occupancy: 10
; WaveLimiterHint : 0
; COMPUTE_PGM_RSRC2:SCRATCH_EN: 0
; COMPUTE_PGM_RSRC2:USER_SGPR: 6
; COMPUTE_PGM_RSRC2:TRAP_HANDLER: 0
; COMPUTE_PGM_RSRC2:TGID_X_EN: 1
; COMPUTE_PGM_RSRC2:TGID_Y_EN: 0
; COMPUTE_PGM_RSRC2:TGID_Z_EN: 0
; COMPUTE_PGM_RSRC2:TIDIG_COMP_CNT: 2
	.section	.text._Z16sort_keys_kernelI22helper_blocked_stripedxLj192ELj3ELj10EEvPKT0_PS1_,"axG",@progbits,_Z16sort_keys_kernelI22helper_blocked_stripedxLj192ELj3ELj10EEvPKT0_PS1_,comdat
	.protected	_Z16sort_keys_kernelI22helper_blocked_stripedxLj192ELj3ELj10EEvPKT0_PS1_ ; -- Begin function _Z16sort_keys_kernelI22helper_blocked_stripedxLj192ELj3ELj10EEvPKT0_PS1_
	.globl	_Z16sort_keys_kernelI22helper_blocked_stripedxLj192ELj3ELj10EEvPKT0_PS1_
	.p2align	8
	.type	_Z16sort_keys_kernelI22helper_blocked_stripedxLj192ELj3ELj10EEvPKT0_PS1_,@function
_Z16sort_keys_kernelI22helper_blocked_stripedxLj192ELj3ELj10EEvPKT0_PS1_: ; @_Z16sort_keys_kernelI22helper_blocked_stripedxLj192ELj3ELj10EEvPKT0_PS1_
; %bb.0:
	s_load_dwordx4 s[28:31], s[4:5], 0x0
	s_load_dword s2, s[4:5], 0x1c
	s_mul_i32 s34, s6, 0x240
	s_mov_b32 s35, 0
	s_lshl_b64 s[36:37], s[34:35], 3
	s_waitcnt lgkmcnt(0)
	s_add_u32 s0, s28, s36
	v_mul_u32_u24_e32 v3, 3, v0
	s_addc_u32 s1, s29, s37
	v_lshlrev_b32_e32 v7, 3, v3
	global_load_dwordx2 v[8:9], v7, s[0:1] offset:16
	global_load_dwordx4 v[3:6], v7, s[0:1]
	s_lshr_b32 s0, s2, 16
	v_mbcnt_lo_u32_b32 v7, -1, 0
	s_and_b32 s1, s2, 0xffff
	v_mad_u32_u24 v1, v2, s0, v1
	v_mbcnt_hi_u32_b32 v7, -1, v7
	v_mad_u64_u32 v[1:2], s[0:1], v1, s1, v[0:1]
	v_lshrrev_b32_e32 v10, 6, v0
	v_and_b32_e32 v2, 15, v7
	v_mul_u32_u24_e32 v11, 0xc0, v10
	v_cmp_eq_u32_e64 s[0:1], 0, v2
	v_cmp_lt_u32_e64 s[2:3], 1, v2
	v_cmp_lt_u32_e64 s[4:5], 3, v2
	;; [unrolled: 1-line block ×3, first 2 shown]
	v_and_b32_e32 v2, 16, v7
	v_lshlrev_b32_e32 v11, 3, v11
	v_lshlrev_b32_e32 v12, 3, v7
	v_cmp_eq_u32_e64 s[8:9], 0, v2
	v_and_b32_e32 v2, 0xc0, v0
	v_mad_u32_u24 v17, v7, 24, v11
	v_add_u32_e32 v18, v12, v11
	v_min_u32_e32 v11, 0x80, v2
	v_or_b32_e32 v11, 63, v11
	v_cmp_eq_u32_e64 s[12:13], v0, v11
	v_subrev_co_u32_e64 v11, s[18:19], 1, v7
	v_and_b32_e32 v13, 64, v7
	v_lshlrev_b32_e32 v19, 4, v0
	v_cmp_lt_i32_e32 vcc, v11, v13
	v_lshrrev_b32_e32 v1, 4, v1
	v_cmp_lt_u32_e64 s[10:11], 31, v7
	v_cndmask_b32_e32 v11, v11, v7, vcc
	v_lshlrev_b32_e32 v21, 2, v10
	v_mad_i32_i24 v22, v0, -12, v19
	v_and_b32_e32 v7, 3, v7
	v_mul_u32_u24_e32 v2, 24, v2
	v_and_b32_e32 v24, 0xffffffc, v1
	v_lshlrev_b32_e32 v1, 2, v0
	v_cmp_gt_u32_e64 s[14:15], 3, v0
	v_cmp_lt_u32_e64 s[16:17], 63, v0
	v_lshlrev_b32_e32 v20, 2, v11
	v_cmp_eq_u32_e64 s[20:21], 0, v0
	v_cmp_eq_u32_e64 s[22:23], 0, v7
	v_cmp_lt_u32_e64 s[24:25], 1, v7
	v_add_u32_e32 v23, -4, v21
	v_add_u32_e32 v25, v12, v2
	v_mov_b32_e32 v7, 0
	v_add_u32_e32 v26, v22, v1
	v_mov_b32_e32 v27, 12
	s_branch .LBB306_2
.LBB306_1:                              ;   in Loop: Header=BB306_2 Depth=1
	v_lshlrev_b32_e32 v1, 3, v30
	s_barrier
	ds_write_b64 v1, v[13:14]
	v_lshlrev_b32_e32 v1, 3, v28
	ds_write_b64 v1, v[11:12]
	v_lshlrev_b32_e32 v1, 3, v8
	ds_write_b64 v1, v[5:6]
	s_waitcnt lgkmcnt(0)
	s_barrier
	ds_read2st64_b64 v[3:6], v26 offset1:3
	ds_read_b64 v[8:9], v26 offset:3072
	s_add_i32 s35, s35, 1
	s_cmp_eq_u32 s35, 10
	s_waitcnt lgkmcnt(1)
	v_xor_b32_e32 v4, 0x80000000, v4
	v_xor_b32_e32 v6, 0x80000000, v6
	s_waitcnt lgkmcnt(0)
	v_xor_b32_e32 v9, 0x80000000, v9
	s_cbranch_scc1 .LBB306_18
.LBB306_2:                              ; =>This Loop Header: Depth=1
                                        ;     Child Loop BB306_4 Depth 2
	s_waitcnt vmcnt(0)
	v_xor_b32_e32 v4, 0x80000000, v4
	v_xor_b32_e32 v6, 0x80000000, v6
	;; [unrolled: 1-line block ×3, first 2 shown]
	ds_write2_b64 v17, v[3:4], v[5:6] offset1:1
	ds_write_b64 v17, v[8:9] offset:16
	; wave barrier
	ds_read2st64_b64 v[1:4], v18 offset1:1
	ds_read_b64 v[15:16], v18 offset:1024
	v_mov_b32_e32 v9, 0
	v_mov_b32_e32 v10, 0
	s_waitcnt lgkmcnt(0)
	s_barrier
	; wave barrier
	s_barrier
	s_branch .LBB306_4
.LBB306_3:                              ;   in Loop: Header=BB306_4 Depth=2
	s_andn2_b64 vcc, exec, s[26:27]
	s_cbranch_vccz .LBB306_1
.LBB306_4:                              ;   Parent Loop BB306_2 Depth=1
                                        ; =>  This Inner Loop Header: Depth=2
	v_mov_b32_e32 v14, v2
	v_mov_b32_e32 v13, v1
	v_lshrrev_b64 v[1:2], v9, v[13:14]
	v_mov_b32_e32 v12, v4
	v_and_b32_e32 v2, 1, v1
	v_mov_b32_e32 v11, v3
	v_add_co_u32_e32 v4, vcc, -1, v2
	v_addc_co_u32_e64 v8, s[26:27], 0, -1, vcc
	v_cmp_ne_u32_e32 vcc, 0, v2
	v_xor_b32_e32 v2, vcc_hi, v8
	v_lshlrev_b32_e32 v8, 30, v1
	v_xor_b32_e32 v4, vcc_lo, v4
	v_cmp_gt_i64_e32 vcc, 0, v[7:8]
	v_not_b32_e32 v8, v8
	v_mov_b32_e32 v5, v15
	v_ashrrev_i32_e32 v8, 31, v8
	v_mov_b32_e32 v6, v16
	v_and_b32_e32 v4, exec_lo, v4
	v_xor_b32_e32 v15, vcc_hi, v8
	v_xor_b32_e32 v8, vcc_lo, v8
	v_and_b32_e32 v4, v4, v8
	v_lshlrev_b32_e32 v8, 29, v1
	v_cmp_gt_i64_e32 vcc, 0, v[7:8]
	v_not_b32_e32 v8, v8
	v_and_b32_e32 v2, exec_hi, v2
	v_ashrrev_i32_e32 v8, 31, v8
	v_and_b32_e32 v2, v2, v15
	v_xor_b32_e32 v15, vcc_hi, v8
	v_xor_b32_e32 v8, vcc_lo, v8
	v_and_b32_e32 v4, v4, v8
	v_lshlrev_b32_e32 v8, 28, v1
	v_cmp_gt_i64_e32 vcc, 0, v[7:8]
	v_not_b32_e32 v8, v8
	v_ashrrev_i32_e32 v8, 31, v8
	v_and_b32_e32 v2, v2, v15
	v_xor_b32_e32 v15, vcc_hi, v8
	v_xor_b32_e32 v8, vcc_lo, v8
	v_and_b32_e32 v4, v4, v8
	v_lshlrev_b32_e32 v8, 27, v1
	v_cmp_gt_i64_e32 vcc, 0, v[7:8]
	v_not_b32_e32 v8, v8
	;; [unrolled: 8-line block ×4, first 2 shown]
	v_ashrrev_i32_e32 v8, 31, v8
	v_and_b32_e32 v2, v2, v15
	v_xor_b32_e32 v15, vcc_hi, v8
	v_xor_b32_e32 v8, vcc_lo, v8
	v_and_b32_e32 v4, v4, v8
	v_lshlrev_b32_e32 v8, 24, v1
	v_mul_u32_u24_sdwa v3, v1, v27 dst_sel:DWORD dst_unused:UNUSED_PAD src0_sel:BYTE_0 src1_sel:DWORD
	v_cmp_gt_i64_e32 vcc, 0, v[7:8]
	v_not_b32_e32 v1, v8
	v_ashrrev_i32_e32 v1, 31, v1
	v_xor_b32_e32 v8, vcc_hi, v1
	v_xor_b32_e32 v1, vcc_lo, v1
	v_and_b32_e32 v2, v2, v15
	v_and_b32_e32 v1, v4, v1
	;; [unrolled: 1-line block ×3, first 2 shown]
	v_mbcnt_lo_u32_b32 v4, v1, 0
	v_mbcnt_hi_u32_b32 v15, v2, v4
	v_cmp_ne_u64_e32 vcc, 0, v[1:2]
	v_cmp_eq_u32_e64 s[26:27], 0, v15
	s_and_b64 s[28:29], vcc, s[26:27]
	v_add_u32_e32 v16, v24, v3
	ds_write2_b32 v19, v7, v7 offset0:3 offset1:4
	ds_write2_b32 v19, v7, v7 offset0:5 offset1:6
	s_waitcnt lgkmcnt(0)
	s_barrier
	; wave barrier
	s_and_saveexec_b64 s[26:27], s[28:29]
; %bb.5:                                ;   in Loop: Header=BB306_4 Depth=2
	v_bcnt_u32_b32 v1, v1, 0
	v_bcnt_u32_b32 v1, v2, v1
	ds_write_b32 v16, v1 offset:12
; %bb.6:                                ;   in Loop: Header=BB306_4 Depth=2
	s_or_b64 exec, exec, s[26:27]
	v_lshrrev_b64 v[1:2], v9, v[11:12]
	v_and_b32_e32 v2, 0xff, v1
	v_mul_u32_u24_e32 v3, 12, v2
	v_mad_u32_u24 v2, v2, 12, v24
	; wave barrier
	ds_read_b32 v28, v2 offset:12
	v_and_b32_e32 v2, 1, v1
	v_add_co_u32_e32 v4, vcc, -1, v2
	v_addc_co_u32_e64 v8, s[26:27], 0, -1, vcc
	v_cmp_ne_u32_e32 vcc, 0, v2
	v_xor_b32_e32 v2, vcc_hi, v8
	v_lshlrev_b32_e32 v8, 30, v1
	v_xor_b32_e32 v4, vcc_lo, v4
	v_cmp_gt_i64_e32 vcc, 0, v[7:8]
	v_not_b32_e32 v8, v8
	v_ashrrev_i32_e32 v8, 31, v8
	v_and_b32_e32 v4, exec_lo, v4
	v_xor_b32_e32 v29, vcc_hi, v8
	v_xor_b32_e32 v8, vcc_lo, v8
	v_and_b32_e32 v4, v4, v8
	v_lshlrev_b32_e32 v8, 29, v1
	v_cmp_gt_i64_e32 vcc, 0, v[7:8]
	v_not_b32_e32 v8, v8
	v_and_b32_e32 v2, exec_hi, v2
	v_ashrrev_i32_e32 v8, 31, v8
	v_and_b32_e32 v2, v2, v29
	v_xor_b32_e32 v29, vcc_hi, v8
	v_xor_b32_e32 v8, vcc_lo, v8
	v_and_b32_e32 v4, v4, v8
	v_lshlrev_b32_e32 v8, 28, v1
	v_cmp_gt_i64_e32 vcc, 0, v[7:8]
	v_not_b32_e32 v8, v8
	v_ashrrev_i32_e32 v8, 31, v8
	v_and_b32_e32 v2, v2, v29
	v_xor_b32_e32 v29, vcc_hi, v8
	v_xor_b32_e32 v8, vcc_lo, v8
	v_and_b32_e32 v4, v4, v8
	v_lshlrev_b32_e32 v8, 27, v1
	v_cmp_gt_i64_e32 vcc, 0, v[7:8]
	v_not_b32_e32 v8, v8
	;; [unrolled: 8-line block ×5, first 2 shown]
	v_ashrrev_i32_e32 v1, 31, v1
	v_xor_b32_e32 v8, vcc_hi, v1
	v_xor_b32_e32 v1, vcc_lo, v1
	v_and_b32_e32 v2, v2, v29
	v_and_b32_e32 v1, v4, v1
	;; [unrolled: 1-line block ×3, first 2 shown]
	v_mbcnt_lo_u32_b32 v4, v1, 0
	v_mbcnt_hi_u32_b32 v29, v2, v4
	v_cmp_ne_u64_e32 vcc, 0, v[1:2]
	v_cmp_eq_u32_e64 s[26:27], 0, v29
	s_and_b64 s[28:29], vcc, s[26:27]
	v_add_u32_e32 v30, v24, v3
	; wave barrier
	s_and_saveexec_b64 s[26:27], s[28:29]
	s_cbranch_execz .LBB306_8
; %bb.7:                                ;   in Loop: Header=BB306_4 Depth=2
	v_bcnt_u32_b32 v1, v1, 0
	v_bcnt_u32_b32 v1, v2, v1
	s_waitcnt lgkmcnt(0)
	v_add_u32_e32 v1, v28, v1
	ds_write_b32 v30, v1 offset:12
.LBB306_8:                              ;   in Loop: Header=BB306_4 Depth=2
	s_or_b64 exec, exec, s[26:27]
	v_lshrrev_b64 v[1:2], v9, v[5:6]
	v_and_b32_e32 v2, 0xff, v1
	v_mul_u32_u24_e32 v3, 12, v2
	v_mad_u32_u24 v2, v2, 12, v24
	; wave barrier
	ds_read_b32 v31, v2 offset:12
	v_and_b32_e32 v2, 1, v1
	v_add_co_u32_e32 v4, vcc, -1, v2
	v_addc_co_u32_e64 v8, s[26:27], 0, -1, vcc
	v_cmp_ne_u32_e32 vcc, 0, v2
	v_xor_b32_e32 v2, vcc_hi, v8
	v_lshlrev_b32_e32 v8, 30, v1
	v_xor_b32_e32 v4, vcc_lo, v4
	v_cmp_gt_i64_e32 vcc, 0, v[7:8]
	v_not_b32_e32 v8, v8
	v_ashrrev_i32_e32 v8, 31, v8
	v_and_b32_e32 v4, exec_lo, v4
	v_xor_b32_e32 v32, vcc_hi, v8
	v_xor_b32_e32 v8, vcc_lo, v8
	v_and_b32_e32 v4, v4, v8
	v_lshlrev_b32_e32 v8, 29, v1
	v_cmp_gt_i64_e32 vcc, 0, v[7:8]
	v_not_b32_e32 v8, v8
	v_and_b32_e32 v2, exec_hi, v2
	v_ashrrev_i32_e32 v8, 31, v8
	v_and_b32_e32 v2, v2, v32
	v_xor_b32_e32 v32, vcc_hi, v8
	v_xor_b32_e32 v8, vcc_lo, v8
	v_and_b32_e32 v4, v4, v8
	v_lshlrev_b32_e32 v8, 28, v1
	v_cmp_gt_i64_e32 vcc, 0, v[7:8]
	v_not_b32_e32 v8, v8
	v_ashrrev_i32_e32 v8, 31, v8
	v_and_b32_e32 v2, v2, v32
	v_xor_b32_e32 v32, vcc_hi, v8
	v_xor_b32_e32 v8, vcc_lo, v8
	v_and_b32_e32 v4, v4, v8
	v_lshlrev_b32_e32 v8, 27, v1
	v_cmp_gt_i64_e32 vcc, 0, v[7:8]
	v_not_b32_e32 v8, v8
	;; [unrolled: 8-line block ×5, first 2 shown]
	v_ashrrev_i32_e32 v1, 31, v1
	v_xor_b32_e32 v8, vcc_hi, v1
	v_xor_b32_e32 v1, vcc_lo, v1
	v_and_b32_e32 v2, v2, v32
	v_and_b32_e32 v1, v4, v1
	;; [unrolled: 1-line block ×3, first 2 shown]
	v_mbcnt_lo_u32_b32 v4, v1, 0
	v_mbcnt_hi_u32_b32 v8, v2, v4
	v_cmp_ne_u64_e32 vcc, 0, v[1:2]
	v_cmp_eq_u32_e64 s[26:27], 0, v8
	s_and_b64 s[28:29], vcc, s[26:27]
	v_add_u32_e32 v32, v24, v3
	; wave barrier
	s_and_saveexec_b64 s[26:27], s[28:29]
	s_cbranch_execz .LBB306_10
; %bb.9:                                ;   in Loop: Header=BB306_4 Depth=2
	v_bcnt_u32_b32 v1, v1, 0
	v_bcnt_u32_b32 v1, v2, v1
	s_waitcnt lgkmcnt(0)
	v_add_u32_e32 v1, v31, v1
	ds_write_b32 v32, v1 offset:12
.LBB306_10:                             ;   in Loop: Header=BB306_4 Depth=2
	s_or_b64 exec, exec, s[26:27]
	; wave barrier
	s_waitcnt lgkmcnt(0)
	s_barrier
	ds_read2_b32 v[3:4], v19 offset0:3 offset1:4
	ds_read2_b32 v[1:2], v19 offset0:5 offset1:6
	s_waitcnt lgkmcnt(1)
	v_add_u32_e32 v33, v4, v3
	s_waitcnt lgkmcnt(0)
	v_add3_u32 v2, v33, v1, v2
	s_nop 1
	v_mov_b32_dpp v33, v2 row_shr:1 row_mask:0xf bank_mask:0xf
	v_cndmask_b32_e64 v33, v33, 0, s[0:1]
	v_add_u32_e32 v2, v33, v2
	s_nop 1
	v_mov_b32_dpp v33, v2 row_shr:2 row_mask:0xf bank_mask:0xf
	v_cndmask_b32_e64 v33, 0, v33, s[2:3]
	v_add_u32_e32 v2, v2, v33
	;; [unrolled: 4-line block ×4, first 2 shown]
	s_nop 1
	v_mov_b32_dpp v33, v2 row_bcast:15 row_mask:0xf bank_mask:0xf
	v_cndmask_b32_e64 v33, v33, 0, s[8:9]
	v_add_u32_e32 v2, v2, v33
	s_nop 1
	v_mov_b32_dpp v33, v2 row_bcast:31 row_mask:0xf bank_mask:0xf
	v_cndmask_b32_e64 v33, 0, v33, s[10:11]
	v_add_u32_e32 v2, v2, v33
	s_and_saveexec_b64 s[26:27], s[12:13]
; %bb.11:                               ;   in Loop: Header=BB306_4 Depth=2
	ds_write_b32 v21, v2
; %bb.12:                               ;   in Loop: Header=BB306_4 Depth=2
	s_or_b64 exec, exec, s[26:27]
	s_waitcnt lgkmcnt(0)
	s_barrier
	s_and_saveexec_b64 s[26:27], s[14:15]
	s_cbranch_execz .LBB306_14
; %bb.13:                               ;   in Loop: Header=BB306_4 Depth=2
	ds_read_b32 v33, v22
	s_waitcnt lgkmcnt(0)
	s_nop 0
	v_mov_b32_dpp v34, v33 row_shr:1 row_mask:0xf bank_mask:0xf
	v_cndmask_b32_e64 v34, v34, 0, s[22:23]
	v_add_u32_e32 v33, v34, v33
	s_nop 1
	v_mov_b32_dpp v34, v33 row_shr:2 row_mask:0xf bank_mask:0xf
	v_cndmask_b32_e64 v34, 0, v34, s[24:25]
	v_add_u32_e32 v33, v33, v34
	ds_write_b32 v22, v33
.LBB306_14:                             ;   in Loop: Header=BB306_4 Depth=2
	s_or_b64 exec, exec, s[26:27]
	v_mov_b32_e32 v33, 0
	s_waitcnt lgkmcnt(0)
	s_barrier
	s_and_saveexec_b64 s[26:27], s[16:17]
; %bb.15:                               ;   in Loop: Header=BB306_4 Depth=2
	ds_read_b32 v33, v23
; %bb.16:                               ;   in Loop: Header=BB306_4 Depth=2
	s_or_b64 exec, exec, s[26:27]
	s_waitcnt lgkmcnt(0)
	v_add_u32_e32 v2, v33, v2
	ds_bpermute_b32 v2, v20, v2
	v_cmp_lt_u32_e32 vcc, 55, v9
	s_and_b64 vcc, exec, vcc
	s_mov_b64 s[26:27], -1
	s_waitcnt lgkmcnt(0)
	v_cndmask_b32_e64 v2, v2, v33, s[18:19]
	v_cndmask_b32_e64 v2, v2, 0, s[20:21]
	v_add_u32_e32 v3, v2, v3
	v_add_u32_e32 v4, v3, v4
	;; [unrolled: 1-line block ×3, first 2 shown]
	ds_write2_b32 v19, v2, v3 offset0:3 offset1:4
	ds_write2_b32 v19, v4, v1 offset0:5 offset1:6
	s_waitcnt lgkmcnt(0)
	s_barrier
	ds_read_b32 v1, v16 offset:12
	ds_read_b32 v2, v30 offset:12
	;; [unrolled: 1-line block ×3, first 2 shown]
	s_waitcnt lgkmcnt(2)
	v_add_u32_e32 v30, v1, v15
	s_waitcnt lgkmcnt(1)
	v_add3_u32 v28, v29, v28, v2
	s_waitcnt lgkmcnt(0)
	v_add3_u32 v8, v8, v31, v3
                                        ; implicit-def: $vgpr15_vgpr16
                                        ; implicit-def: $vgpr3_vgpr4
	s_cbranch_vccnz .LBB306_3
; %bb.17:                               ;   in Loop: Header=BB306_4 Depth=2
	v_lshlrev_b32_e32 v1, 3, v30
	s_barrier
	ds_write_b64 v1, v[13:14]
	v_lshlrev_b32_e32 v1, 3, v28
	ds_write_b64 v1, v[11:12]
	v_lshlrev_b32_e32 v1, 3, v8
	ds_write_b64 v1, v[5:6]
	s_waitcnt lgkmcnt(0)
	s_barrier
	ds_read2st64_b64 v[1:4], v25 offset1:1
	ds_read_b64 v[15:16], v25 offset:1024
	v_add_co_u32_e32 v9, vcc, 8, v9
	v_addc_co_u32_e32 v10, vcc, 0, v10, vcc
	s_mov_b64 s[26:27], 0
	s_waitcnt lgkmcnt(0)
	s_barrier
	s_branch .LBB306_3
.LBB306_18:
	s_add_u32 s0, s30, s36
	s_addc_u32 s1, s31, s37
	v_lshlrev_b32_e32 v0, 3, v0
	global_store_dwordx2 v0, v[3:4], s[0:1]
	global_store_dwordx2 v0, v[5:6], s[0:1] offset:1536
	global_store_dwordx2 v0, v[8:9], s[0:1] offset:3072
	s_endpgm
	.section	.rodata,"a",@progbits
	.p2align	6, 0x0
	.amdhsa_kernel _Z16sort_keys_kernelI22helper_blocked_stripedxLj192ELj3ELj10EEvPKT0_PS1_
		.amdhsa_group_segment_fixed_size 4608
		.amdhsa_private_segment_fixed_size 0
		.amdhsa_kernarg_size 272
		.amdhsa_user_sgpr_count 6
		.amdhsa_user_sgpr_private_segment_buffer 1
		.amdhsa_user_sgpr_dispatch_ptr 0
		.amdhsa_user_sgpr_queue_ptr 0
		.amdhsa_user_sgpr_kernarg_segment_ptr 1
		.amdhsa_user_sgpr_dispatch_id 0
		.amdhsa_user_sgpr_flat_scratch_init 0
		.amdhsa_user_sgpr_private_segment_size 0
		.amdhsa_uses_dynamic_stack 0
		.amdhsa_system_sgpr_private_segment_wavefront_offset 0
		.amdhsa_system_sgpr_workgroup_id_x 1
		.amdhsa_system_sgpr_workgroup_id_y 0
		.amdhsa_system_sgpr_workgroup_id_z 0
		.amdhsa_system_sgpr_workgroup_info 0
		.amdhsa_system_vgpr_workitem_id 2
		.amdhsa_next_free_vgpr 35
		.amdhsa_next_free_sgpr 38
		.amdhsa_reserve_vcc 1
		.amdhsa_reserve_flat_scratch 0
		.amdhsa_float_round_mode_32 0
		.amdhsa_float_round_mode_16_64 0
		.amdhsa_float_denorm_mode_32 3
		.amdhsa_float_denorm_mode_16_64 3
		.amdhsa_dx10_clamp 1
		.amdhsa_ieee_mode 1
		.amdhsa_fp16_overflow 0
		.amdhsa_exception_fp_ieee_invalid_op 0
		.amdhsa_exception_fp_denorm_src 0
		.amdhsa_exception_fp_ieee_div_zero 0
		.amdhsa_exception_fp_ieee_overflow 0
		.amdhsa_exception_fp_ieee_underflow 0
		.amdhsa_exception_fp_ieee_inexact 0
		.amdhsa_exception_int_div_zero 0
	.end_amdhsa_kernel
	.section	.text._Z16sort_keys_kernelI22helper_blocked_stripedxLj192ELj3ELj10EEvPKT0_PS1_,"axG",@progbits,_Z16sort_keys_kernelI22helper_blocked_stripedxLj192ELj3ELj10EEvPKT0_PS1_,comdat
.Lfunc_end306:
	.size	_Z16sort_keys_kernelI22helper_blocked_stripedxLj192ELj3ELj10EEvPKT0_PS1_, .Lfunc_end306-_Z16sort_keys_kernelI22helper_blocked_stripedxLj192ELj3ELj10EEvPKT0_PS1_
                                        ; -- End function
	.set _Z16sort_keys_kernelI22helper_blocked_stripedxLj192ELj3ELj10EEvPKT0_PS1_.num_vgpr, 35
	.set _Z16sort_keys_kernelI22helper_blocked_stripedxLj192ELj3ELj10EEvPKT0_PS1_.num_agpr, 0
	.set _Z16sort_keys_kernelI22helper_blocked_stripedxLj192ELj3ELj10EEvPKT0_PS1_.numbered_sgpr, 38
	.set _Z16sort_keys_kernelI22helper_blocked_stripedxLj192ELj3ELj10EEvPKT0_PS1_.num_named_barrier, 0
	.set _Z16sort_keys_kernelI22helper_blocked_stripedxLj192ELj3ELj10EEvPKT0_PS1_.private_seg_size, 0
	.set _Z16sort_keys_kernelI22helper_blocked_stripedxLj192ELj3ELj10EEvPKT0_PS1_.uses_vcc, 1
	.set _Z16sort_keys_kernelI22helper_blocked_stripedxLj192ELj3ELj10EEvPKT0_PS1_.uses_flat_scratch, 0
	.set _Z16sort_keys_kernelI22helper_blocked_stripedxLj192ELj3ELj10EEvPKT0_PS1_.has_dyn_sized_stack, 0
	.set _Z16sort_keys_kernelI22helper_blocked_stripedxLj192ELj3ELj10EEvPKT0_PS1_.has_recursion, 0
	.set _Z16sort_keys_kernelI22helper_blocked_stripedxLj192ELj3ELj10EEvPKT0_PS1_.has_indirect_call, 0
	.section	.AMDGPU.csdata,"",@progbits
; Kernel info:
; codeLenInByte = 2292
; TotalNumSgprs: 42
; NumVgprs: 35
; ScratchSize: 0
; MemoryBound: 0
; FloatMode: 240
; IeeeMode: 1
; LDSByteSize: 4608 bytes/workgroup (compile time only)
; SGPRBlocks: 5
; VGPRBlocks: 8
; NumSGPRsForWavesPerEU: 42
; NumVGPRsForWavesPerEU: 35
; Occupancy: 7
; WaveLimiterHint : 1
; COMPUTE_PGM_RSRC2:SCRATCH_EN: 0
; COMPUTE_PGM_RSRC2:USER_SGPR: 6
; COMPUTE_PGM_RSRC2:TRAP_HANDLER: 0
; COMPUTE_PGM_RSRC2:TGID_X_EN: 1
; COMPUTE_PGM_RSRC2:TGID_Y_EN: 0
; COMPUTE_PGM_RSRC2:TGID_Z_EN: 0
; COMPUTE_PGM_RSRC2:TIDIG_COMP_CNT: 2
	.section	.text._Z17sort_pairs_kernelI22helper_blocked_stripedxLj192ELj3ELj10EEvPKT0_PS1_,"axG",@progbits,_Z17sort_pairs_kernelI22helper_blocked_stripedxLj192ELj3ELj10EEvPKT0_PS1_,comdat
	.protected	_Z17sort_pairs_kernelI22helper_blocked_stripedxLj192ELj3ELj10EEvPKT0_PS1_ ; -- Begin function _Z17sort_pairs_kernelI22helper_blocked_stripedxLj192ELj3ELj10EEvPKT0_PS1_
	.globl	_Z17sort_pairs_kernelI22helper_blocked_stripedxLj192ELj3ELj10EEvPKT0_PS1_
	.p2align	8
	.type	_Z17sort_pairs_kernelI22helper_blocked_stripedxLj192ELj3ELj10EEvPKT0_PS1_,@function
_Z17sort_pairs_kernelI22helper_blocked_stripedxLj192ELj3ELj10EEvPKT0_PS1_: ; @_Z17sort_pairs_kernelI22helper_blocked_stripedxLj192ELj3ELj10EEvPKT0_PS1_
; %bb.0:
	s_load_dwordx4 s[28:31], s[4:5], 0x0
	s_load_dword s24, s[4:5], 0x1c
	s_mul_i32 s36, s6, 0x240
	s_mov_b32 s37, 0
	s_lshl_b64 s[34:35], s[36:37], 3
	s_waitcnt lgkmcnt(0)
	s_add_u32 s0, s28, s34
	v_mul_u32_u24_e32 v3, 3, v0
	s_addc_u32 s1, s29, s35
	v_lshlrev_b32_e32 v7, 3, v3
	global_load_dwordx4 v[3:6], v7, s[0:1]
	global_load_dwordx2 v[12:13], v7, s[0:1] offset:16
	v_mbcnt_lo_u32_b32 v7, -1, 0
	v_mbcnt_hi_u32_b32 v7, -1, v7
	v_lshrrev_b32_e32 v8, 6, v0
	v_mul_u32_u24_e32 v11, 0xc0, v8
	v_subrev_co_u32_e64 v18, s[8:9], 1, v7
	v_and_b32_e32 v19, 64, v7
	s_lshr_b32 s25, s24, 16
	v_and_b32_e32 v16, 16, v7
	v_lshlrev_b32_e32 v11, 3, v11
	v_cmp_lt_i32_e32 vcc, v18, v19
	s_and_b32 s24, s24, 0xffff
	v_mad_u32_u24 v1, v2, s25, v1
	v_and_b32_e32 v9, 0xc0, v0
	v_lshlrev_b32_e32 v14, 3, v7
	v_and_b32_e32 v15, 15, v7
	v_cmp_lt_u32_e64 s[6:7], 31, v7
	v_lshlrev_b32_e32 v31, 2, v8
	v_and_b32_e32 v8, 3, v7
	v_cmp_eq_u32_e64 s[18:19], 0, v16
	v_cndmask_b32_e32 v16, v18, v7, vcc
	v_mad_u32_u24 v36, v7, 24, v11
	v_mad_u64_u32 v[1:2], s[24:25], v1, s24, v[0:1]
	v_lshlrev_b32_e32 v30, 4, v0
	v_min_u32_e32 v17, 0x80, v9
	v_mul_u32_u24_e32 v9, 24, v9
	v_cmp_eq_u32_e64 s[20:21], 0, v8
	v_cmp_lt_u32_e64 s[22:23], 1, v8
	v_lshlrev_b32_e32 v10, 2, v0
	v_mad_i32_i24 v32, v0, -12, v30
	v_add_u32_e32 v33, v14, v9
	v_add_u32_e32 v34, v32, v10
	v_cmp_eq_u32_e64 s[10:11], 0, v15
	v_cmp_lt_u32_e64 s[12:13], 1, v15
	v_cmp_lt_u32_e64 s[14:15], 3, v15
	;; [unrolled: 1-line block ×3, first 2 shown]
	v_or_b32_e32 v15, 63, v17
	v_add_u32_e32 v37, v14, v11
	v_lshrrev_b32_e32 v1, 4, v1
	v_mov_b32_e32 v29, 12
	v_cmp_gt_u32_e64 s[0:1], 3, v0
	v_cmp_lt_u32_e64 s[2:3], 63, v0
	v_cmp_eq_u32_e64 s[4:5], 0, v0
	v_add_u32_e32 v35, -4, v31
	v_cmp_eq_u32_e64 s[24:25], v0, v15
	v_lshlrev_b32_e32 v38, 2, v16
	v_and_b32_e32 v39, 0xffffffc, v1
	v_mov_b32_e32 v11, 0
	s_waitcnt vmcnt(1)
	v_add_co_u32_e32 v7, vcc, 1, v3
	v_addc_co_u32_e32 v8, vcc, 0, v4, vcc
	v_add_co_u32_e32 v9, vcc, 1, v5
	v_addc_co_u32_e32 v10, vcc, 0, v6, vcc
	s_waitcnt vmcnt(0)
	v_add_co_u32_e32 v14, vcc, 1, v12
	v_addc_co_u32_e32 v15, vcc, 0, v13, vcc
	s_branch .LBB307_2
.LBB307_1:                              ;   in Loop: Header=BB307_2 Depth=1
	v_lshlrev_b32_e32 v1, 3, v41
	v_lshlrev_b32_e32 v2, 3, v40
	;; [unrolled: 1-line block ×3, first 2 shown]
	s_barrier
	ds_write_b64 v1, v[19:20]
	ds_write_b64 v2, v[17:18]
	;; [unrolled: 1-line block ×3, first 2 shown]
	s_waitcnt lgkmcnt(0)
	s_barrier
	ds_read2st64_b64 v[3:6], v34 offset1:3
	ds_read_b64 v[12:13], v34 offset:3072
	s_waitcnt lgkmcnt(0)
	s_barrier
	ds_write_b64 v1, v[15:16]
	ds_write_b64 v2, v[9:10]
	;; [unrolled: 1-line block ×3, first 2 shown]
	s_waitcnt lgkmcnt(0)
	s_barrier
	ds_read2st64_b64 v[7:10], v34 offset1:3
	ds_read_b64 v[14:15], v34 offset:3072
	s_add_i32 s37, s37, 1
	v_xor_b32_e32 v4, 0x80000000, v4
	v_xor_b32_e32 v6, 0x80000000, v6
	s_cmp_eq_u32 s37, 10
	v_xor_b32_e32 v13, 0x80000000, v13
	s_cbranch_scc1 .LBB307_18
.LBB307_2:                              ; =>This Loop Header: Depth=1
                                        ;     Child Loop BB307_4 Depth 2
	v_xor_b32_e32 v4, 0x80000000, v4
	v_xor_b32_e32 v6, 0x80000000, v6
	;; [unrolled: 1-line block ×3, first 2 shown]
	ds_write2_b64 v36, v[3:4], v[5:6] offset1:1
	ds_write_b64 v36, v[12:13] offset:16
	; wave barrier
	ds_read2st64_b64 v[1:4], v37 offset1:1
	ds_read_b64 v[25:26], v37 offset:1024
	; wave barrier
	s_waitcnt lgkmcnt(5)
	ds_write2_b64 v36, v[7:8], v[9:10] offset1:1
	s_waitcnt lgkmcnt(5)
	ds_write_b64 v36, v[14:15] offset:16
	; wave barrier
	ds_read2st64_b64 v[5:8], v37 offset1:1
	ds_read_b64 v[27:28], v37 offset:1024
	v_mov_b32_e32 v13, 0
	v_mov_b32_e32 v14, 0
	s_waitcnt lgkmcnt(0)
	s_barrier
	s_branch .LBB307_4
.LBB307_3:                              ;   in Loop: Header=BB307_4 Depth=2
	s_andn2_b64 vcc, exec, s[26:27]
	s_cbranch_vccz .LBB307_1
.LBB307_4:                              ;   Parent Loop BB307_2 Depth=1
                                        ; =>  This Inner Loop Header: Depth=2
	v_mov_b32_e32 v20, v2
	v_mov_b32_e32 v19, v1
	v_lshrrev_b64 v[1:2], v13, v[19:20]
	v_mov_b32_e32 v18, v4
	v_and_b32_e32 v2, 1, v1
	v_mov_b32_e32 v17, v3
	v_add_co_u32_e32 v3, vcc, -1, v2
	v_addc_co_u32_e64 v4, s[26:27], 0, -1, vcc
	v_cmp_ne_u32_e32 vcc, 0, v2
	v_lshlrev_b32_e32 v12, 30, v1
	v_xor_b32_e32 v2, vcc_hi, v4
	v_cmp_gt_i64_e64 s[26:27], 0, v[11:12]
	v_not_b32_e32 v4, v12
	v_mov_b32_e32 v16, v6
	v_ashrrev_i32_e32 v4, 31, v4
	v_xor_b32_e32 v3, vcc_lo, v3
	v_mov_b32_e32 v15, v5
	v_xor_b32_e32 v5, s27, v4
	v_and_b32_e32 v3, exec_lo, v3
	v_xor_b32_e32 v4, s26, v4
	v_lshlrev_b32_e32 v12, 29, v1
	v_and_b32_e32 v3, v3, v4
	v_cmp_gt_i64_e32 vcc, 0, v[11:12]
	v_not_b32_e32 v4, v12
	v_and_b32_e32 v2, exec_hi, v2
	v_ashrrev_i32_e32 v4, 31, v4
	v_and_b32_e32 v2, v2, v5
	v_xor_b32_e32 v5, vcc_hi, v4
	v_xor_b32_e32 v4, vcc_lo, v4
	v_lshlrev_b32_e32 v12, 28, v1
	v_and_b32_e32 v3, v3, v4
	v_cmp_gt_i64_e32 vcc, 0, v[11:12]
	v_not_b32_e32 v4, v12
	v_ashrrev_i32_e32 v4, 31, v4
	v_and_b32_e32 v2, v2, v5
	v_xor_b32_e32 v5, vcc_hi, v4
	v_xor_b32_e32 v4, vcc_lo, v4
	v_lshlrev_b32_e32 v12, 27, v1
	v_and_b32_e32 v3, v3, v4
	v_cmp_gt_i64_e32 vcc, 0, v[11:12]
	v_not_b32_e32 v4, v12
	;; [unrolled: 8-line block ×4, first 2 shown]
	v_ashrrev_i32_e32 v4, 31, v4
	v_and_b32_e32 v2, v2, v5
	v_xor_b32_e32 v5, vcc_hi, v4
	v_xor_b32_e32 v4, vcc_lo, v4
	v_lshlrev_b32_e32 v12, 24, v1
	v_and_b32_e32 v3, v3, v4
	v_mul_u32_u24_sdwa v4, v1, v29 dst_sel:DWORD dst_unused:UNUSED_PAD src0_sel:BYTE_0 src1_sel:DWORD
	v_cmp_gt_i64_e32 vcc, 0, v[11:12]
	v_not_b32_e32 v1, v12
	v_ashrrev_i32_e32 v1, 31, v1
	v_and_b32_e32 v2, v2, v5
	v_xor_b32_e32 v5, vcc_hi, v1
	v_xor_b32_e32 v1, vcc_lo, v1
	v_and_b32_e32 v1, v3, v1
	v_and_b32_e32 v2, v2, v5
	v_mbcnt_lo_u32_b32 v3, v1, 0
	v_mbcnt_hi_u32_b32 v5, v2, v3
	v_cmp_ne_u64_e32 vcc, 0, v[1:2]
	v_mov_b32_e32 v10, v8
	v_mov_b32_e32 v23, v25
	;; [unrolled: 1-line block ×3, first 2 shown]
	v_cmp_eq_u32_e64 s[26:27], 0, v5
	v_mov_b32_e32 v9, v7
	v_mov_b32_e32 v24, v26
	;; [unrolled: 1-line block ×3, first 2 shown]
	s_and_b64 s[28:29], vcc, s[26:27]
	v_add_u32_e32 v6, v39, v4
	ds_write2_b32 v30, v11, v11 offset0:3 offset1:4
	ds_write2_b32 v30, v11, v11 offset0:5 offset1:6
	s_waitcnt lgkmcnt(0)
	s_barrier
	; wave barrier
	s_and_saveexec_b64 s[26:27], s[28:29]
; %bb.5:                                ;   in Loop: Header=BB307_4 Depth=2
	v_bcnt_u32_b32 v1, v1, 0
	v_bcnt_u32_b32 v1, v2, v1
	ds_write_b32 v6, v1 offset:12
; %bb.6:                                ;   in Loop: Header=BB307_4 Depth=2
	s_or_b64 exec, exec, s[26:27]
	v_lshrrev_b64 v[1:2], v13, v[17:18]
	v_and_b32_e32 v2, 0xff, v1
	v_mul_u32_u24_e32 v3, 12, v2
	v_mad_u32_u24 v2, v2, 12, v39
	; wave barrier
	ds_read_b32 v7, v2 offset:12
	v_and_b32_e32 v2, 1, v1
	v_add_co_u32_e32 v4, vcc, -1, v2
	v_addc_co_u32_e64 v8, s[26:27], 0, -1, vcc
	v_cmp_ne_u32_e32 vcc, 0, v2
	v_lshlrev_b32_e32 v12, 30, v1
	v_xor_b32_e32 v2, vcc_hi, v8
	v_xor_b32_e32 v4, vcc_lo, v4
	v_cmp_gt_i64_e32 vcc, 0, v[11:12]
	v_not_b32_e32 v8, v12
	v_ashrrev_i32_e32 v8, 31, v8
	v_and_b32_e32 v2, exec_hi, v2
	v_xor_b32_e32 v12, vcc_hi, v8
	v_and_b32_e32 v4, exec_lo, v4
	v_xor_b32_e32 v8, vcc_lo, v8
	v_and_b32_e32 v2, v2, v12
	v_lshlrev_b32_e32 v12, 29, v1
	v_and_b32_e32 v4, v4, v8
	v_cmp_gt_i64_e32 vcc, 0, v[11:12]
	v_not_b32_e32 v8, v12
	v_ashrrev_i32_e32 v8, 31, v8
	v_xor_b32_e32 v12, vcc_hi, v8
	v_xor_b32_e32 v8, vcc_lo, v8
	v_and_b32_e32 v2, v2, v12
	v_lshlrev_b32_e32 v12, 28, v1
	v_and_b32_e32 v4, v4, v8
	v_cmp_gt_i64_e32 vcc, 0, v[11:12]
	v_not_b32_e32 v8, v12
	v_ashrrev_i32_e32 v8, 31, v8
	v_xor_b32_e32 v12, vcc_hi, v8
	;; [unrolled: 8-line block ×5, first 2 shown]
	v_and_b32_e32 v2, v2, v12
	v_lshlrev_b32_e32 v12, 24, v1
	v_xor_b32_e32 v8, vcc_lo, v8
	v_cmp_gt_i64_e32 vcc, 0, v[11:12]
	v_not_b32_e32 v1, v12
	v_ashrrev_i32_e32 v1, 31, v1
	v_and_b32_e32 v4, v4, v8
	v_xor_b32_e32 v8, vcc_hi, v1
	v_xor_b32_e32 v1, vcc_lo, v1
	v_and_b32_e32 v1, v4, v1
	v_and_b32_e32 v2, v2, v8
	v_mbcnt_lo_u32_b32 v4, v1, 0
	v_mbcnt_hi_u32_b32 v8, v2, v4
	v_cmp_ne_u64_e32 vcc, 0, v[1:2]
	v_cmp_eq_u32_e64 s[26:27], 0, v8
	s_and_b64 s[28:29], vcc, s[26:27]
	v_add_u32_e32 v25, v39, v3
	; wave barrier
	s_and_saveexec_b64 s[26:27], s[28:29]
	s_cbranch_execz .LBB307_8
; %bb.7:                                ;   in Loop: Header=BB307_4 Depth=2
	v_bcnt_u32_b32 v1, v1, 0
	v_bcnt_u32_b32 v1, v2, v1
	s_waitcnt lgkmcnt(0)
	v_add_u32_e32 v1, v7, v1
	ds_write_b32 v25, v1 offset:12
.LBB307_8:                              ;   in Loop: Header=BB307_4 Depth=2
	s_or_b64 exec, exec, s[26:27]
	v_lshrrev_b64 v[1:2], v13, v[23:24]
	v_and_b32_e32 v2, 0xff, v1
	v_mul_u32_u24_e32 v3, 12, v2
	v_mad_u32_u24 v2, v2, 12, v39
	; wave barrier
	ds_read_b32 v26, v2 offset:12
	v_and_b32_e32 v2, 1, v1
	v_add_co_u32_e32 v4, vcc, -1, v2
	v_addc_co_u32_e64 v12, s[26:27], 0, -1, vcc
	v_cmp_ne_u32_e32 vcc, 0, v2
	v_xor_b32_e32 v2, vcc_hi, v12
	v_lshlrev_b32_e32 v12, 30, v1
	v_xor_b32_e32 v4, vcc_lo, v4
	v_cmp_gt_i64_e32 vcc, 0, v[11:12]
	v_not_b32_e32 v12, v12
	v_ashrrev_i32_e32 v12, 31, v12
	v_and_b32_e32 v4, exec_lo, v4
	v_xor_b32_e32 v27, vcc_hi, v12
	v_xor_b32_e32 v12, vcc_lo, v12
	v_and_b32_e32 v4, v4, v12
	v_lshlrev_b32_e32 v12, 29, v1
	v_cmp_gt_i64_e32 vcc, 0, v[11:12]
	v_not_b32_e32 v12, v12
	v_and_b32_e32 v2, exec_hi, v2
	v_ashrrev_i32_e32 v12, 31, v12
	v_and_b32_e32 v2, v2, v27
	v_xor_b32_e32 v27, vcc_hi, v12
	v_xor_b32_e32 v12, vcc_lo, v12
	v_and_b32_e32 v4, v4, v12
	v_lshlrev_b32_e32 v12, 28, v1
	v_cmp_gt_i64_e32 vcc, 0, v[11:12]
	v_not_b32_e32 v12, v12
	v_ashrrev_i32_e32 v12, 31, v12
	v_and_b32_e32 v2, v2, v27
	v_xor_b32_e32 v27, vcc_hi, v12
	v_xor_b32_e32 v12, vcc_lo, v12
	v_and_b32_e32 v4, v4, v12
	v_lshlrev_b32_e32 v12, 27, v1
	v_cmp_gt_i64_e32 vcc, 0, v[11:12]
	v_not_b32_e32 v12, v12
	;; [unrolled: 8-line block ×5, first 2 shown]
	v_ashrrev_i32_e32 v1, 31, v1
	v_xor_b32_e32 v12, vcc_hi, v1
	v_xor_b32_e32 v1, vcc_lo, v1
	v_and_b32_e32 v2, v2, v27
	v_and_b32_e32 v1, v4, v1
	;; [unrolled: 1-line block ×3, first 2 shown]
	v_mbcnt_lo_u32_b32 v4, v1, 0
	v_mbcnt_hi_u32_b32 v12, v2, v4
	v_cmp_ne_u64_e32 vcc, 0, v[1:2]
	v_cmp_eq_u32_e64 s[26:27], 0, v12
	s_and_b64 s[28:29], vcc, s[26:27]
	v_add_u32_e32 v27, v39, v3
	; wave barrier
	s_and_saveexec_b64 s[26:27], s[28:29]
	s_cbranch_execz .LBB307_10
; %bb.9:                                ;   in Loop: Header=BB307_4 Depth=2
	v_bcnt_u32_b32 v1, v1, 0
	v_bcnt_u32_b32 v1, v2, v1
	s_waitcnt lgkmcnt(0)
	v_add_u32_e32 v1, v26, v1
	ds_write_b32 v27, v1 offset:12
.LBB307_10:                             ;   in Loop: Header=BB307_4 Depth=2
	s_or_b64 exec, exec, s[26:27]
	; wave barrier
	s_waitcnt lgkmcnt(0)
	s_barrier
	ds_read2_b32 v[3:4], v30 offset0:3 offset1:4
	ds_read2_b32 v[1:2], v30 offset0:5 offset1:6
	s_waitcnt lgkmcnt(1)
	v_add_u32_e32 v28, v4, v3
	s_waitcnt lgkmcnt(0)
	v_add3_u32 v2, v28, v1, v2
	s_nop 1
	v_mov_b32_dpp v28, v2 row_shr:1 row_mask:0xf bank_mask:0xf
	v_cndmask_b32_e64 v28, v28, 0, s[10:11]
	v_add_u32_e32 v2, v28, v2
	s_nop 1
	v_mov_b32_dpp v28, v2 row_shr:2 row_mask:0xf bank_mask:0xf
	v_cndmask_b32_e64 v28, 0, v28, s[12:13]
	v_add_u32_e32 v2, v2, v28
	;; [unrolled: 4-line block ×4, first 2 shown]
	s_nop 1
	v_mov_b32_dpp v28, v2 row_bcast:15 row_mask:0xf bank_mask:0xf
	v_cndmask_b32_e64 v28, v28, 0, s[18:19]
	v_add_u32_e32 v2, v2, v28
	s_nop 1
	v_mov_b32_dpp v28, v2 row_bcast:31 row_mask:0xf bank_mask:0xf
	v_cndmask_b32_e64 v28, 0, v28, s[6:7]
	v_add_u32_e32 v2, v2, v28
	s_and_saveexec_b64 s[26:27], s[24:25]
; %bb.11:                               ;   in Loop: Header=BB307_4 Depth=2
	ds_write_b32 v31, v2
; %bb.12:                               ;   in Loop: Header=BB307_4 Depth=2
	s_or_b64 exec, exec, s[26:27]
	s_waitcnt lgkmcnt(0)
	s_barrier
	s_and_saveexec_b64 s[26:27], s[0:1]
	s_cbranch_execz .LBB307_14
; %bb.13:                               ;   in Loop: Header=BB307_4 Depth=2
	ds_read_b32 v28, v32
	s_waitcnt lgkmcnt(0)
	s_nop 0
	v_mov_b32_dpp v40, v28 row_shr:1 row_mask:0xf bank_mask:0xf
	v_cndmask_b32_e64 v40, v40, 0, s[20:21]
	v_add_u32_e32 v28, v40, v28
	s_nop 1
	v_mov_b32_dpp v40, v28 row_shr:2 row_mask:0xf bank_mask:0xf
	v_cndmask_b32_e64 v40, 0, v40, s[22:23]
	v_add_u32_e32 v28, v28, v40
	ds_write_b32 v32, v28
.LBB307_14:                             ;   in Loop: Header=BB307_4 Depth=2
	s_or_b64 exec, exec, s[26:27]
	v_mov_b32_e32 v28, 0
	s_waitcnt lgkmcnt(0)
	s_barrier
	s_and_saveexec_b64 s[26:27], s[2:3]
; %bb.15:                               ;   in Loop: Header=BB307_4 Depth=2
	ds_read_b32 v28, v35
; %bb.16:                               ;   in Loop: Header=BB307_4 Depth=2
	s_or_b64 exec, exec, s[26:27]
	s_waitcnt lgkmcnt(0)
	v_add_u32_e32 v2, v28, v2
	ds_bpermute_b32 v2, v38, v2
	v_cmp_lt_u32_e32 vcc, 55, v13
	s_and_b64 vcc, exec, vcc
	s_mov_b64 s[26:27], -1
	s_waitcnt lgkmcnt(0)
	v_cndmask_b32_e64 v2, v2, v28, s[8:9]
	v_cndmask_b32_e64 v2, v2, 0, s[4:5]
	v_add_u32_e32 v3, v2, v3
	v_add_u32_e32 v4, v3, v4
	;; [unrolled: 1-line block ×3, first 2 shown]
	ds_write2_b32 v30, v2, v3 offset0:3 offset1:4
	ds_write2_b32 v30, v4, v1 offset0:5 offset1:6
	s_waitcnt lgkmcnt(0)
	s_barrier
	ds_read_b32 v1, v6 offset:12
	ds_read_b32 v2, v25 offset:12
	;; [unrolled: 1-line block ×3, first 2 shown]
                                        ; implicit-def: $vgpr27_vgpr28
	s_waitcnt lgkmcnt(2)
	v_add_u32_e32 v41, v1, v5
	s_waitcnt lgkmcnt(1)
	v_add3_u32 v40, v8, v7, v2
	s_waitcnt lgkmcnt(0)
	v_add3_u32 v12, v12, v26, v3
                                        ; implicit-def: $vgpr25_vgpr26
                                        ; implicit-def: $vgpr3_vgpr4
                                        ; implicit-def: $vgpr7_vgpr8
	s_cbranch_vccnz .LBB307_3
; %bb.17:                               ;   in Loop: Header=BB307_4 Depth=2
	v_lshlrev_b32_e32 v5, 3, v41
	v_lshlrev_b32_e32 v6, 3, v40
	;; [unrolled: 1-line block ×3, first 2 shown]
	s_barrier
	ds_write_b64 v5, v[19:20]
	ds_write_b64 v6, v[17:18]
	;; [unrolled: 1-line block ×3, first 2 shown]
	s_waitcnt lgkmcnt(0)
	s_barrier
	ds_read2st64_b64 v[1:4], v33 offset1:1
	ds_read_b64 v[25:26], v33 offset:1024
	s_waitcnt lgkmcnt(0)
	s_barrier
	ds_write_b64 v5, v[15:16]
	ds_write_b64 v6, v[9:10]
	;; [unrolled: 1-line block ×3, first 2 shown]
	s_waitcnt lgkmcnt(0)
	s_barrier
	ds_read2st64_b64 v[5:8], v33 offset1:1
	ds_read_b64 v[27:28], v33 offset:1024
	v_add_co_u32_e32 v13, vcc, 8, v13
	v_addc_co_u32_e32 v14, vcc, 0, v14, vcc
	s_mov_b64 s[26:27], 0
	s_waitcnt lgkmcnt(0)
	s_barrier
	s_branch .LBB307_3
.LBB307_18:
	s_waitcnt lgkmcnt(1)
	v_add_co_u32_e32 v1, vcc, v3, v7
	v_addc_co_u32_e32 v2, vcc, v4, v8, vcc
	v_add_co_u32_e32 v3, vcc, v5, v9
	v_addc_co_u32_e32 v4, vcc, v6, v10, vcc
	s_add_u32 s0, s30, s34
	s_waitcnt lgkmcnt(0)
	v_add_co_u32_e32 v5, vcc, v12, v14
	s_addc_u32 s1, s31, s35
	v_lshlrev_b32_e32 v0, 3, v0
	v_addc_co_u32_e32 v6, vcc, v13, v15, vcc
	global_store_dwordx2 v0, v[1:2], s[0:1]
	global_store_dwordx2 v0, v[3:4], s[0:1] offset:1536
	global_store_dwordx2 v0, v[5:6], s[0:1] offset:3072
	s_endpgm
	.section	.rodata,"a",@progbits
	.p2align	6, 0x0
	.amdhsa_kernel _Z17sort_pairs_kernelI22helper_blocked_stripedxLj192ELj3ELj10EEvPKT0_PS1_
		.amdhsa_group_segment_fixed_size 4608
		.amdhsa_private_segment_fixed_size 0
		.amdhsa_kernarg_size 272
		.amdhsa_user_sgpr_count 6
		.amdhsa_user_sgpr_private_segment_buffer 1
		.amdhsa_user_sgpr_dispatch_ptr 0
		.amdhsa_user_sgpr_queue_ptr 0
		.amdhsa_user_sgpr_kernarg_segment_ptr 1
		.amdhsa_user_sgpr_dispatch_id 0
		.amdhsa_user_sgpr_flat_scratch_init 0
		.amdhsa_user_sgpr_private_segment_size 0
		.amdhsa_uses_dynamic_stack 0
		.amdhsa_system_sgpr_private_segment_wavefront_offset 0
		.amdhsa_system_sgpr_workgroup_id_x 1
		.amdhsa_system_sgpr_workgroup_id_y 0
		.amdhsa_system_sgpr_workgroup_id_z 0
		.amdhsa_system_sgpr_workgroup_info 0
		.amdhsa_system_vgpr_workitem_id 2
		.amdhsa_next_free_vgpr 42
		.amdhsa_next_free_sgpr 38
		.amdhsa_reserve_vcc 1
		.amdhsa_reserve_flat_scratch 0
		.amdhsa_float_round_mode_32 0
		.amdhsa_float_round_mode_16_64 0
		.amdhsa_float_denorm_mode_32 3
		.amdhsa_float_denorm_mode_16_64 3
		.amdhsa_dx10_clamp 1
		.amdhsa_ieee_mode 1
		.amdhsa_fp16_overflow 0
		.amdhsa_exception_fp_ieee_invalid_op 0
		.amdhsa_exception_fp_denorm_src 0
		.amdhsa_exception_fp_ieee_div_zero 0
		.amdhsa_exception_fp_ieee_overflow 0
		.amdhsa_exception_fp_ieee_underflow 0
		.amdhsa_exception_fp_ieee_inexact 0
		.amdhsa_exception_int_div_zero 0
	.end_amdhsa_kernel
	.section	.text._Z17sort_pairs_kernelI22helper_blocked_stripedxLj192ELj3ELj10EEvPKT0_PS1_,"axG",@progbits,_Z17sort_pairs_kernelI22helper_blocked_stripedxLj192ELj3ELj10EEvPKT0_PS1_,comdat
.Lfunc_end307:
	.size	_Z17sort_pairs_kernelI22helper_blocked_stripedxLj192ELj3ELj10EEvPKT0_PS1_, .Lfunc_end307-_Z17sort_pairs_kernelI22helper_blocked_stripedxLj192ELj3ELj10EEvPKT0_PS1_
                                        ; -- End function
	.set _Z17sort_pairs_kernelI22helper_blocked_stripedxLj192ELj3ELj10EEvPKT0_PS1_.num_vgpr, 42
	.set _Z17sort_pairs_kernelI22helper_blocked_stripedxLj192ELj3ELj10EEvPKT0_PS1_.num_agpr, 0
	.set _Z17sort_pairs_kernelI22helper_blocked_stripedxLj192ELj3ELj10EEvPKT0_PS1_.numbered_sgpr, 38
	.set _Z17sort_pairs_kernelI22helper_blocked_stripedxLj192ELj3ELj10EEvPKT0_PS1_.num_named_barrier, 0
	.set _Z17sort_pairs_kernelI22helper_blocked_stripedxLj192ELj3ELj10EEvPKT0_PS1_.private_seg_size, 0
	.set _Z17sort_pairs_kernelI22helper_blocked_stripedxLj192ELj3ELj10EEvPKT0_PS1_.uses_vcc, 1
	.set _Z17sort_pairs_kernelI22helper_blocked_stripedxLj192ELj3ELj10EEvPKT0_PS1_.uses_flat_scratch, 0
	.set _Z17sort_pairs_kernelI22helper_blocked_stripedxLj192ELj3ELj10EEvPKT0_PS1_.has_dyn_sized_stack, 0
	.set _Z17sort_pairs_kernelI22helper_blocked_stripedxLj192ELj3ELj10EEvPKT0_PS1_.has_recursion, 0
	.set _Z17sort_pairs_kernelI22helper_blocked_stripedxLj192ELj3ELj10EEvPKT0_PS1_.has_indirect_call, 0
	.section	.AMDGPU.csdata,"",@progbits
; Kernel info:
; codeLenInByte = 2520
; TotalNumSgprs: 42
; NumVgprs: 42
; ScratchSize: 0
; MemoryBound: 0
; FloatMode: 240
; IeeeMode: 1
; LDSByteSize: 4608 bytes/workgroup (compile time only)
; SGPRBlocks: 5
; VGPRBlocks: 10
; NumSGPRsForWavesPerEU: 42
; NumVGPRsForWavesPerEU: 42
; Occupancy: 5
; WaveLimiterHint : 1
; COMPUTE_PGM_RSRC2:SCRATCH_EN: 0
; COMPUTE_PGM_RSRC2:USER_SGPR: 6
; COMPUTE_PGM_RSRC2:TRAP_HANDLER: 0
; COMPUTE_PGM_RSRC2:TGID_X_EN: 1
; COMPUTE_PGM_RSRC2:TGID_Y_EN: 0
; COMPUTE_PGM_RSRC2:TGID_Z_EN: 0
; COMPUTE_PGM_RSRC2:TIDIG_COMP_CNT: 2
	.section	.text._Z16sort_keys_kernelI22helper_blocked_stripedxLj192ELj4ELj10EEvPKT0_PS1_,"axG",@progbits,_Z16sort_keys_kernelI22helper_blocked_stripedxLj192ELj4ELj10EEvPKT0_PS1_,comdat
	.protected	_Z16sort_keys_kernelI22helper_blocked_stripedxLj192ELj4ELj10EEvPKT0_PS1_ ; -- Begin function _Z16sort_keys_kernelI22helper_blocked_stripedxLj192ELj4ELj10EEvPKT0_PS1_
	.globl	_Z16sort_keys_kernelI22helper_blocked_stripedxLj192ELj4ELj10EEvPKT0_PS1_
	.p2align	8
	.type	_Z16sort_keys_kernelI22helper_blocked_stripedxLj192ELj4ELj10EEvPKT0_PS1_,@function
_Z16sort_keys_kernelI22helper_blocked_stripedxLj192ELj4ELj10EEvPKT0_PS1_: ; @_Z16sort_keys_kernelI22helper_blocked_stripedxLj192ELj4ELj10EEvPKT0_PS1_
; %bb.0:
	s_load_dwordx4 s[36:39], s[4:5], 0x0
	s_load_dword s8, s[4:5], 0x1c
	s_mul_i32 s40, s6, 0x300
	s_mov_b32 s41, 0
	s_lshl_b64 s[42:43], s[40:41], 3
	s_waitcnt lgkmcnt(0)
	s_add_u32 s0, s36, s42
	s_addc_u32 s1, s37, s43
	v_lshlrev_b32_e32 v11, 5, v0
	global_load_dwordx4 v[3:6], v11, s[0:1] offset:16
	global_load_dwordx4 v[7:10], v11, s[0:1]
	s_lshr_b32 s9, s8, 16
	v_mbcnt_lo_u32_b32 v11, -1, 0
	s_and_b32 s8, s8, 0xffff
	v_mad_u32_u24 v1, v2, s9, v1
	v_mbcnt_hi_u32_b32 v11, -1, v11
	v_mad_u64_u32 v[1:2], s[8:9], v1, s8, v[0:1]
	v_and_b32_e32 v2, 15, v11
	v_cmp_eq_u32_e64 s[8:9], 0, v2
	v_cmp_lt_u32_e64 s[10:11], 1, v2
	v_cmp_lt_u32_e64 s[12:13], 3, v2
	;; [unrolled: 1-line block ×3, first 2 shown]
	v_and_b32_e32 v2, 16, v11
	v_cmp_eq_u32_e64 s[16:17], 0, v2
	v_and_b32_e32 v2, 0xc0, v0
	v_min_u32_e32 v2, 0x80, v2
	v_or_b32_e32 v2, 63, v2
	v_and_b32_e32 v14, 64, v11
	v_cmp_eq_u32_e64 s[20:21], v0, v2
	v_subrev_co_u32_e64 v2, s[26:27], 1, v11
	v_cmp_lt_i32_e32 vcc, v2, v14
	v_cndmask_b32_e32 v2, v2, v11, vcc
	s_movk_i32 s33, 0x300
	v_lshlrev_b32_e32 v21, 2, v0
	v_lshrrev_b32_e32 v12, 2, v11
	v_lshlrev_b32_e32 v27, 2, v2
	v_lshrrev_b32_e32 v2, 4, v0
	v_or_b32_e32 v15, v12, v14
	v_add_u32_e32 v12, 48, v12
	v_and_b32_e32 v28, 12, v2
	v_and_or_b32 v2, v21, s33, v11
	v_and_b32_e32 v13, 3, v11
	v_and_or_b32 v12, v12, 63, v14
	v_cmp_lt_u32_e64 s[18:19], 31, v11
	v_lshrrev_b32_e32 v11, 2, v2
	v_lshlrev_b32_e32 v25, 2, v12
	v_and_b32_e32 v11, 0xd8, v11
	v_lshlrev_b32_e32 v12, 3, v2
	v_add_u32_e32 v31, v11, v12
	v_add_u32_e32 v11, 64, v2
	v_lshrrev_b32_e32 v11, 2, v11
	v_and_b32_e32 v11, 0xf8, v11
	v_add_u32_e32 v32, v11, v12
	v_or_b32_e32 v11, 0x80, v2
	v_add_u32_e32 v2, 0xc0, v2
	v_lshrrev_b32_e32 v11, 2, v11
	v_lshrrev_b32_e32 v2, 2, v2
	v_lshlrev_b32_e32 v22, 2, v15
	v_lshlrev_b32_e32 v26, 4, v0
	v_and_b32_e32 v11, 0xf8, v11
	v_and_b32_e32 v2, 0x1f8, v2
	v_lshrrev_b32_e32 v1, 4, v1
	v_cmp_eq_u32_e64 s[0:1], 3, v13
	v_cmp_eq_u32_e64 s[2:3], 2, v13
	;; [unrolled: 1-line block ×4, first 2 shown]
	v_add_u32_e32 v23, 64, v22
	v_or_b32_e32 v24, 0x80, v22
	v_cmp_gt_u32_e64 s[22:23], 3, v0
	v_cmp_lt_u32_e64 s[24:25], 63, v0
	v_cmp_eq_u32_e64 s[28:29], 0, v0
	v_mad_i32_i24 v29, v0, -12, v26
	v_cmp_lt_u32_e64 s[30:31], 1, v13
	v_add_u32_e32 v30, -4, v28
	v_add_u32_e32 v33, v11, v12
	v_add_u32_e32 v34, v2, v12
	v_and_b32_e32 v35, 0xffffffc, v1
	v_mov_b32_e32 v1, 0
	v_mov_b32_e32 v36, 12
	s_branch .LBB308_2
.LBB308_1:                              ;   in Loop: Header=BB308_2 Depth=1
	v_lshlrev_b32_e32 v7, 3, v42
	s_barrier
	ds_write_b64 v7, v[11:12]
	v_lshlrev_b32_e32 v7, 3, v40
	ds_write_b64 v7, v[9:10]
	v_lshlrev_b32_e32 v7, 3, v37
	v_lshlrev_b32_e32 v2, 3, v2
	ds_write_b64 v7, v[5:6]
	ds_write_b64 v2, v[3:4]
	v_add_u32_e32 v2, v29, v21
	s_waitcnt lgkmcnt(0)
	s_barrier
	ds_read2st64_b64 v[7:10], v2 offset1:3
	ds_read2st64_b64 v[3:6], v2 offset0:6 offset1:9
	s_add_i32 s41, s41, 1
	s_cmp_eq_u32 s41, 10
	s_waitcnt lgkmcnt(1)
	v_xor_b32_e32 v8, 0x80000000, v8
	v_xor_b32_e32 v10, 0x80000000, v10
	s_waitcnt lgkmcnt(0)
	v_xor_b32_e32 v4, 0x80000000, v4
	v_xor_b32_e32 v6, 0x80000000, v6
	s_cbranch_scc1 .LBB308_20
.LBB308_2:                              ; =>This Loop Header: Depth=1
                                        ;     Child Loop BB308_4 Depth 2
	s_waitcnt vmcnt(0)
	v_xor_b32_e32 v2, 0x80000000, v8
	ds_bpermute_b32 v8, v22, v7
	ds_bpermute_b32 v11, v22, v2
	v_xor_b32_e32 v10, 0x80000000, v10
	ds_bpermute_b32 v12, v22, v9
	ds_bpermute_b32 v13, v22, v10
	v_xor_b32_e32 v4, 0x80000000, v4
	ds_bpermute_b32 v14, v22, v4
	s_waitcnt lgkmcnt(4)
	v_cndmask_b32_e64 v8, 0, v8, s[6:7]
	s_waitcnt lgkmcnt(3)
	v_cndmask_b32_e64 v11, 0, v11, s[6:7]
	ds_bpermute_b32 v15, v22, v3
	s_waitcnt lgkmcnt(3)
	v_cndmask_b32_e64 v8, v8, v12, s[4:5]
	s_waitcnt lgkmcnt(2)
	v_cndmask_b32_e64 v11, v11, v13, s[4:5]
	ds_bpermute_b32 v12, v22, v5
	v_xor_b32_e32 v6, 0x80000000, v6
	s_waitcnt lgkmcnt(2)
	v_cndmask_b32_e64 v11, v11, v14, s[2:3]
	ds_bpermute_b32 v14, v22, v6
	s_waitcnt lgkmcnt(2)
	v_cndmask_b32_e64 v8, v8, v15, s[2:3]
	s_waitcnt lgkmcnt(1)
	v_cndmask_b32_e64 v13, v8, v12, s[0:1]
	ds_bpermute_b32 v8, v23, v2
	ds_bpermute_b32 v12, v23, v7
	;; [unrolled: 1-line block ×3, first 2 shown]
	s_waitcnt lgkmcnt(3)
	v_cndmask_b32_e64 v14, v11, v14, s[0:1]
	ds_bpermute_b32 v11, v23, v10
	s_waitcnt lgkmcnt(3)
	v_cndmask_b32_e64 v8, 0, v8, s[6:7]
	s_waitcnt lgkmcnt(2)
	v_cndmask_b32_e64 v12, 0, v12, s[6:7]
	;; [unrolled: 2-line block ×3, first 2 shown]
	ds_bpermute_b32 v15, v23, v4
	s_waitcnt lgkmcnt(1)
	v_cndmask_b32_e64 v8, v8, v11, s[4:5]
	ds_bpermute_b32 v11, v23, v3
	ds_bpermute_b32 v16, v23, v5
	;; [unrolled: 1-line block ×3, first 2 shown]
	s_waitcnt lgkmcnt(3)
	v_cndmask_b32_e64 v8, v8, v15, s[2:3]
	ds_bpermute_b32 v18, v24, v2
	s_waitcnt lgkmcnt(3)
	v_cndmask_b32_e64 v11, v12, v11, s[2:3]
	s_waitcnt lgkmcnt(2)
	v_cndmask_b32_e64 v15, v11, v16, s[0:1]
	;; [unrolled: 2-line block ×3, first 2 shown]
	ds_bpermute_b32 v8, v24, v7
	ds_bpermute_b32 v12, v24, v9
	;; [unrolled: 1-line block ×4, first 2 shown]
	s_waitcnt lgkmcnt(4)
	v_cndmask_b32_e64 v11, 0, v18, s[6:7]
	s_waitcnt lgkmcnt(3)
	v_cndmask_b32_e64 v8, 0, v8, s[6:7]
	;; [unrolled: 2-line block ×3, first 2 shown]
	ds_bpermute_b32 v12, v24, v5
	ds_bpermute_b32 v18, v24, v4
	s_waitcnt lgkmcnt(3)
	v_cndmask_b32_e64 v8, v8, v19, s[2:3]
	ds_bpermute_b32 v2, v25, v2
	ds_bpermute_b32 v7, v25, v7
	s_waitcnt lgkmcnt(4)
	v_cndmask_b32_e64 v11, v11, v17, s[4:5]
	s_waitcnt lgkmcnt(3)
	v_cndmask_b32_e64 v17, v8, v12, s[0:1]
	ds_bpermute_b32 v8, v25, v9
	ds_bpermute_b32 v9, v25, v10
	;; [unrolled: 1-line block ×4, first 2 shown]
	s_waitcnt lgkmcnt(6)
	v_cndmask_b32_e64 v11, v11, v18, s[2:3]
	ds_bpermute_b32 v18, v24, v6
	ds_bpermute_b32 v5, v25, v5
	;; [unrolled: 1-line block ×3, first 2 shown]
	s_waitcnt lgkmcnt(8)
	v_cndmask_b32_e64 v2, 0, v2, s[6:7]
	s_waitcnt lgkmcnt(7)
	v_cndmask_b32_e64 v7, 0, v7, s[6:7]
	;; [unrolled: 2-line block ×6, first 2 shown]
	v_mov_b32_e32 v7, 0
	s_waitcnt lgkmcnt(2)
	v_cndmask_b32_e64 v18, v11, v18, s[0:1]
	s_waitcnt lgkmcnt(1)
	v_cndmask_b32_e64 v19, v3, v5, s[0:1]
	s_waitcnt lgkmcnt(0)
	v_cndmask_b32_e64 v20, v2, v6, s[0:1]
	v_mov_b32_e32 v8, 0
	s_barrier
	s_branch .LBB308_4
.LBB308_3:                              ;   in Loop: Header=BB308_4 Depth=2
	s_andn2_b64 vcc, exec, s[34:35]
	s_cbranch_vccz .LBB308_1
.LBB308_4:                              ;   Parent Loop BB308_2 Depth=1
                                        ; =>  This Inner Loop Header: Depth=2
	v_mov_b32_e32 v11, v13
	v_mov_b32_e32 v12, v14
	v_lshrrev_b64 v[13:14], v7, v[11:12]
	v_mov_b32_e32 v9, v15
	v_and_b32_e32 v2, 1, v13
	v_add_co_u32_e32 v14, vcc, -1, v2
	v_mov_b32_e32 v10, v16
	v_addc_co_u32_e64 v16, s[34:35], 0, -1, vcc
	v_cmp_ne_u32_e32 vcc, 0, v2
	v_xor_b32_e32 v2, vcc_hi, v16
	v_and_b32_e32 v16, exec_hi, v2
	v_lshlrev_b32_e32 v2, 30, v13
	v_xor_b32_e32 v14, vcc_lo, v14
	v_cmp_gt_i64_e32 vcc, 0, v[1:2]
	v_not_b32_e32 v2, v2
	v_mov_b32_e32 v5, v17
	v_ashrrev_i32_e32 v2, 31, v2
	v_mov_b32_e32 v6, v18
	v_and_b32_e32 v14, exec_lo, v14
	v_xor_b32_e32 v17, vcc_hi, v2
	v_xor_b32_e32 v2, vcc_lo, v2
	v_and_b32_e32 v14, v14, v2
	v_lshlrev_b32_e32 v2, 29, v13
	v_cmp_gt_i64_e32 vcc, 0, v[1:2]
	v_not_b32_e32 v2, v2
	v_ashrrev_i32_e32 v2, 31, v2
	v_and_b32_e32 v16, v16, v17
	v_xor_b32_e32 v17, vcc_hi, v2
	v_xor_b32_e32 v2, vcc_lo, v2
	v_and_b32_e32 v14, v14, v2
	v_lshlrev_b32_e32 v2, 28, v13
	v_cmp_gt_i64_e32 vcc, 0, v[1:2]
	v_not_b32_e32 v2, v2
	v_ashrrev_i32_e32 v2, 31, v2
	v_and_b32_e32 v16, v16, v17
	;; [unrolled: 8-line block ×5, first 2 shown]
	v_xor_b32_e32 v17, vcc_hi, v2
	v_xor_b32_e32 v2, vcc_lo, v2
	v_and_b32_e32 v16, v16, v17
	v_and_b32_e32 v17, v14, v2
	v_lshlrev_b32_e32 v2, 24, v13
	v_cmp_gt_i64_e32 vcc, 0, v[1:2]
	v_not_b32_e32 v2, v2
	v_ashrrev_i32_e32 v2, 31, v2
	v_mul_u32_u24_sdwa v15, v13, v36 dst_sel:DWORD dst_unused:UNUSED_PAD src0_sel:BYTE_0 src1_sel:DWORD
	v_xor_b32_e32 v13, vcc_hi, v2
	v_xor_b32_e32 v2, vcc_lo, v2
	v_and_b32_e32 v14, v16, v13
	v_and_b32_e32 v13, v17, v2
	v_mbcnt_lo_u32_b32 v2, v13, 0
	v_mbcnt_hi_u32_b32 v17, v14, v2
	v_cmp_ne_u64_e32 vcc, 0, v[13:14]
	v_mov_b32_e32 v3, v19
	v_cmp_eq_u32_e64 s[34:35], 0, v17
	v_mov_b32_e32 v4, v20
	s_and_b64 s[36:37], vcc, s[34:35]
	v_add_u32_e32 v18, v35, v15
	ds_write2_b32 v26, v1, v1 offset0:3 offset1:4
	ds_write2_b32 v26, v1, v1 offset0:5 offset1:6
	s_waitcnt lgkmcnt(0)
	s_barrier
	; wave barrier
	s_and_saveexec_b64 s[34:35], s[36:37]
; %bb.5:                                ;   in Loop: Header=BB308_4 Depth=2
	v_bcnt_u32_b32 v2, v13, 0
	v_bcnt_u32_b32 v2, v14, v2
	ds_write_b32 v18, v2 offset:12
; %bb.6:                                ;   in Loop: Header=BB308_4 Depth=2
	s_or_b64 exec, exec, s[34:35]
	v_lshrrev_b64 v[13:14], v7, v[9:10]
	v_and_b32_e32 v2, 0xff, v13
	v_mul_u32_u24_e32 v15, 12, v2
	v_mad_u32_u24 v2, v2, 12, v35
	; wave barrier
	ds_read_b32 v19, v2 offset:12
	v_and_b32_e32 v2, 1, v13
	v_add_co_u32_e32 v14, vcc, -1, v2
	v_addc_co_u32_e64 v16, s[34:35], 0, -1, vcc
	v_cmp_ne_u32_e32 vcc, 0, v2
	v_xor_b32_e32 v2, vcc_hi, v16
	v_and_b32_e32 v16, exec_hi, v2
	v_lshlrev_b32_e32 v2, 30, v13
	v_xor_b32_e32 v14, vcc_lo, v14
	v_cmp_gt_i64_e32 vcc, 0, v[1:2]
	v_not_b32_e32 v2, v2
	v_ashrrev_i32_e32 v2, 31, v2
	v_and_b32_e32 v14, exec_lo, v14
	v_xor_b32_e32 v20, vcc_hi, v2
	v_xor_b32_e32 v2, vcc_lo, v2
	v_and_b32_e32 v14, v14, v2
	v_lshlrev_b32_e32 v2, 29, v13
	v_cmp_gt_i64_e32 vcc, 0, v[1:2]
	v_not_b32_e32 v2, v2
	v_ashrrev_i32_e32 v2, 31, v2
	v_and_b32_e32 v16, v16, v20
	v_xor_b32_e32 v20, vcc_hi, v2
	v_xor_b32_e32 v2, vcc_lo, v2
	v_and_b32_e32 v14, v14, v2
	v_lshlrev_b32_e32 v2, 28, v13
	v_cmp_gt_i64_e32 vcc, 0, v[1:2]
	v_not_b32_e32 v2, v2
	v_ashrrev_i32_e32 v2, 31, v2
	v_and_b32_e32 v16, v16, v20
	;; [unrolled: 8-line block ×5, first 2 shown]
	v_xor_b32_e32 v20, vcc_hi, v2
	v_xor_b32_e32 v2, vcc_lo, v2
	v_and_b32_e32 v16, v16, v20
	v_and_b32_e32 v20, v14, v2
	v_lshlrev_b32_e32 v2, 24, v13
	v_cmp_gt_i64_e32 vcc, 0, v[1:2]
	v_not_b32_e32 v2, v2
	v_ashrrev_i32_e32 v2, 31, v2
	v_xor_b32_e32 v13, vcc_hi, v2
	v_xor_b32_e32 v2, vcc_lo, v2
	v_and_b32_e32 v14, v16, v13
	v_and_b32_e32 v13, v20, v2
	v_mbcnt_lo_u32_b32 v2, v13, 0
	v_mbcnt_hi_u32_b32 v20, v14, v2
	v_cmp_ne_u64_e32 vcc, 0, v[13:14]
	v_cmp_eq_u32_e64 s[34:35], 0, v20
	s_and_b64 s[36:37], vcc, s[34:35]
	v_add_u32_e32 v37, v35, v15
	; wave barrier
	s_and_saveexec_b64 s[34:35], s[36:37]
	s_cbranch_execz .LBB308_8
; %bb.7:                                ;   in Loop: Header=BB308_4 Depth=2
	v_bcnt_u32_b32 v2, v13, 0
	v_bcnt_u32_b32 v2, v14, v2
	s_waitcnt lgkmcnt(0)
	v_add_u32_e32 v2, v19, v2
	ds_write_b32 v37, v2 offset:12
.LBB308_8:                              ;   in Loop: Header=BB308_4 Depth=2
	s_or_b64 exec, exec, s[34:35]
	v_lshrrev_b64 v[13:14], v7, v[5:6]
	v_and_b32_e32 v2, 0xff, v13
	v_mul_u32_u24_e32 v15, 12, v2
	v_mad_u32_u24 v2, v2, 12, v35
	; wave barrier
	ds_read_b32 v38, v2 offset:12
	v_and_b32_e32 v2, 1, v13
	v_add_co_u32_e32 v14, vcc, -1, v2
	v_addc_co_u32_e64 v16, s[34:35], 0, -1, vcc
	v_cmp_ne_u32_e32 vcc, 0, v2
	v_xor_b32_e32 v2, vcc_hi, v16
	v_and_b32_e32 v16, exec_hi, v2
	v_lshlrev_b32_e32 v2, 30, v13
	v_xor_b32_e32 v14, vcc_lo, v14
	v_cmp_gt_i64_e32 vcc, 0, v[1:2]
	v_not_b32_e32 v2, v2
	v_ashrrev_i32_e32 v2, 31, v2
	v_and_b32_e32 v14, exec_lo, v14
	v_xor_b32_e32 v39, vcc_hi, v2
	v_xor_b32_e32 v2, vcc_lo, v2
	v_and_b32_e32 v14, v14, v2
	v_lshlrev_b32_e32 v2, 29, v13
	v_cmp_gt_i64_e32 vcc, 0, v[1:2]
	v_not_b32_e32 v2, v2
	v_ashrrev_i32_e32 v2, 31, v2
	v_and_b32_e32 v16, v16, v39
	v_xor_b32_e32 v39, vcc_hi, v2
	v_xor_b32_e32 v2, vcc_lo, v2
	v_and_b32_e32 v14, v14, v2
	v_lshlrev_b32_e32 v2, 28, v13
	v_cmp_gt_i64_e32 vcc, 0, v[1:2]
	v_not_b32_e32 v2, v2
	v_ashrrev_i32_e32 v2, 31, v2
	v_and_b32_e32 v16, v16, v39
	v_xor_b32_e32 v39, vcc_hi, v2
	v_xor_b32_e32 v2, vcc_lo, v2
	v_and_b32_e32 v14, v14, v2
	v_lshlrev_b32_e32 v2, 27, v13
	v_cmp_gt_i64_e32 vcc, 0, v[1:2]
	v_not_b32_e32 v2, v2
	v_ashrrev_i32_e32 v2, 31, v2
	v_and_b32_e32 v16, v16, v39
	v_xor_b32_e32 v39, vcc_hi, v2
	v_xor_b32_e32 v2, vcc_lo, v2
	v_and_b32_e32 v14, v14, v2
	v_lshlrev_b32_e32 v2, 26, v13
	v_cmp_gt_i64_e32 vcc, 0, v[1:2]
	v_not_b32_e32 v2, v2
	v_ashrrev_i32_e32 v2, 31, v2
	v_and_b32_e32 v16, v16, v39
	v_xor_b32_e32 v39, vcc_hi, v2
	v_xor_b32_e32 v2, vcc_lo, v2
	v_and_b32_e32 v14, v14, v2
	v_lshlrev_b32_e32 v2, 25, v13
	v_cmp_gt_i64_e32 vcc, 0, v[1:2]
	v_not_b32_e32 v2, v2
	v_ashrrev_i32_e32 v2, 31, v2
	v_and_b32_e32 v16, v16, v39
	v_xor_b32_e32 v39, vcc_hi, v2
	v_xor_b32_e32 v2, vcc_lo, v2
	v_and_b32_e32 v16, v16, v39
	v_and_b32_e32 v39, v14, v2
	v_lshlrev_b32_e32 v2, 24, v13
	v_cmp_gt_i64_e32 vcc, 0, v[1:2]
	v_not_b32_e32 v2, v2
	v_ashrrev_i32_e32 v2, 31, v2
	v_xor_b32_e32 v13, vcc_hi, v2
	v_xor_b32_e32 v2, vcc_lo, v2
	v_and_b32_e32 v14, v16, v13
	v_and_b32_e32 v13, v39, v2
	v_mbcnt_lo_u32_b32 v2, v13, 0
	v_mbcnt_hi_u32_b32 v39, v14, v2
	v_cmp_ne_u64_e32 vcc, 0, v[13:14]
	v_cmp_eq_u32_e64 s[34:35], 0, v39
	s_and_b64 s[36:37], vcc, s[34:35]
	v_add_u32_e32 v40, v35, v15
	; wave barrier
	s_and_saveexec_b64 s[34:35], s[36:37]
	s_cbranch_execz .LBB308_10
; %bb.9:                                ;   in Loop: Header=BB308_4 Depth=2
	v_bcnt_u32_b32 v2, v13, 0
	v_bcnt_u32_b32 v2, v14, v2
	s_waitcnt lgkmcnt(0)
	v_add_u32_e32 v2, v38, v2
	ds_write_b32 v40, v2 offset:12
.LBB308_10:                             ;   in Loop: Header=BB308_4 Depth=2
	s_or_b64 exec, exec, s[34:35]
	v_lshrrev_b64 v[13:14], v7, v[3:4]
	v_and_b32_e32 v2, 0xff, v13
	v_mul_u32_u24_e32 v15, 12, v2
	v_mad_u32_u24 v2, v2, 12, v35
	; wave barrier
	ds_read_b32 v41, v2 offset:12
	v_and_b32_e32 v2, 1, v13
	v_add_co_u32_e32 v14, vcc, -1, v2
	v_addc_co_u32_e64 v16, s[34:35], 0, -1, vcc
	v_cmp_ne_u32_e32 vcc, 0, v2
	v_xor_b32_e32 v2, vcc_hi, v16
	v_and_b32_e32 v16, exec_hi, v2
	v_lshlrev_b32_e32 v2, 30, v13
	v_xor_b32_e32 v14, vcc_lo, v14
	v_cmp_gt_i64_e32 vcc, 0, v[1:2]
	v_not_b32_e32 v2, v2
	v_ashrrev_i32_e32 v2, 31, v2
	v_and_b32_e32 v14, exec_lo, v14
	v_xor_b32_e32 v42, vcc_hi, v2
	v_xor_b32_e32 v2, vcc_lo, v2
	v_and_b32_e32 v14, v14, v2
	v_lshlrev_b32_e32 v2, 29, v13
	v_cmp_gt_i64_e32 vcc, 0, v[1:2]
	v_not_b32_e32 v2, v2
	v_ashrrev_i32_e32 v2, 31, v2
	v_and_b32_e32 v16, v16, v42
	v_xor_b32_e32 v42, vcc_hi, v2
	v_xor_b32_e32 v2, vcc_lo, v2
	v_and_b32_e32 v14, v14, v2
	v_lshlrev_b32_e32 v2, 28, v13
	v_cmp_gt_i64_e32 vcc, 0, v[1:2]
	v_not_b32_e32 v2, v2
	v_ashrrev_i32_e32 v2, 31, v2
	v_and_b32_e32 v16, v16, v42
	;; [unrolled: 8-line block ×5, first 2 shown]
	v_xor_b32_e32 v42, vcc_hi, v2
	v_xor_b32_e32 v2, vcc_lo, v2
	v_and_b32_e32 v16, v16, v42
	v_and_b32_e32 v42, v14, v2
	v_lshlrev_b32_e32 v2, 24, v13
	v_cmp_gt_i64_e32 vcc, 0, v[1:2]
	v_not_b32_e32 v2, v2
	v_ashrrev_i32_e32 v2, 31, v2
	v_xor_b32_e32 v13, vcc_hi, v2
	v_xor_b32_e32 v2, vcc_lo, v2
	v_and_b32_e32 v14, v16, v13
	v_and_b32_e32 v13, v42, v2
	v_mbcnt_lo_u32_b32 v2, v13, 0
	v_mbcnt_hi_u32_b32 v2, v14, v2
	v_cmp_ne_u64_e32 vcc, 0, v[13:14]
	v_cmp_eq_u32_e64 s[34:35], 0, v2
	s_and_b64 s[36:37], vcc, s[34:35]
	v_add_u32_e32 v42, v35, v15
	; wave barrier
	s_and_saveexec_b64 s[34:35], s[36:37]
	s_cbranch_execz .LBB308_12
; %bb.11:                               ;   in Loop: Header=BB308_4 Depth=2
	v_bcnt_u32_b32 v13, v13, 0
	v_bcnt_u32_b32 v13, v14, v13
	s_waitcnt lgkmcnt(0)
	v_add_u32_e32 v13, v41, v13
	ds_write_b32 v42, v13 offset:12
.LBB308_12:                             ;   in Loop: Header=BB308_4 Depth=2
	s_or_b64 exec, exec, s[34:35]
	; wave barrier
	s_waitcnt lgkmcnt(0)
	s_barrier
	ds_read2_b32 v[15:16], v26 offset0:3 offset1:4
	ds_read2_b32 v[13:14], v26 offset0:5 offset1:6
	s_waitcnt lgkmcnt(1)
	v_add_u32_e32 v43, v16, v15
	s_waitcnt lgkmcnt(0)
	v_add3_u32 v14, v43, v13, v14
	s_nop 1
	v_mov_b32_dpp v43, v14 row_shr:1 row_mask:0xf bank_mask:0xf
	v_cndmask_b32_e64 v43, v43, 0, s[8:9]
	v_add_u32_e32 v14, v43, v14
	s_nop 1
	v_mov_b32_dpp v43, v14 row_shr:2 row_mask:0xf bank_mask:0xf
	v_cndmask_b32_e64 v43, 0, v43, s[10:11]
	v_add_u32_e32 v14, v14, v43
	s_nop 1
	v_mov_b32_dpp v43, v14 row_shr:4 row_mask:0xf bank_mask:0xf
	v_cndmask_b32_e64 v43, 0, v43, s[12:13]
	v_add_u32_e32 v14, v14, v43
	s_nop 1
	v_mov_b32_dpp v43, v14 row_shr:8 row_mask:0xf bank_mask:0xf
	v_cndmask_b32_e64 v43, 0, v43, s[14:15]
	v_add_u32_e32 v14, v14, v43
	s_nop 1
	v_mov_b32_dpp v43, v14 row_bcast:15 row_mask:0xf bank_mask:0xf
	v_cndmask_b32_e64 v43, v43, 0, s[16:17]
	v_add_u32_e32 v14, v14, v43
	s_nop 1
	v_mov_b32_dpp v43, v14 row_bcast:31 row_mask:0xf bank_mask:0xf
	v_cndmask_b32_e64 v43, 0, v43, s[18:19]
	v_add_u32_e32 v14, v14, v43
	s_and_saveexec_b64 s[34:35], s[20:21]
; %bb.13:                               ;   in Loop: Header=BB308_4 Depth=2
	ds_write_b32 v28, v14
; %bb.14:                               ;   in Loop: Header=BB308_4 Depth=2
	s_or_b64 exec, exec, s[34:35]
	s_waitcnt lgkmcnt(0)
	s_barrier
	s_and_saveexec_b64 s[34:35], s[22:23]
	s_cbranch_execz .LBB308_16
; %bb.15:                               ;   in Loop: Header=BB308_4 Depth=2
	ds_read_b32 v43, v29
	s_waitcnt lgkmcnt(0)
	s_nop 0
	v_mov_b32_dpp v44, v43 row_shr:1 row_mask:0xf bank_mask:0xf
	v_cndmask_b32_e64 v44, v44, 0, s[6:7]
	v_add_u32_e32 v43, v44, v43
	s_nop 1
	v_mov_b32_dpp v44, v43 row_shr:2 row_mask:0xf bank_mask:0xf
	v_cndmask_b32_e64 v44, 0, v44, s[30:31]
	v_add_u32_e32 v43, v43, v44
	ds_write_b32 v29, v43
.LBB308_16:                             ;   in Loop: Header=BB308_4 Depth=2
	s_or_b64 exec, exec, s[34:35]
	v_mov_b32_e32 v43, 0
	s_waitcnt lgkmcnt(0)
	s_barrier
	s_and_saveexec_b64 s[34:35], s[24:25]
; %bb.17:                               ;   in Loop: Header=BB308_4 Depth=2
	ds_read_b32 v43, v30
; %bb.18:                               ;   in Loop: Header=BB308_4 Depth=2
	s_or_b64 exec, exec, s[34:35]
	s_waitcnt lgkmcnt(0)
	v_add_u32_e32 v14, v43, v14
	ds_bpermute_b32 v14, v27, v14
	v_cmp_lt_u32_e32 vcc, 55, v7
	s_and_b64 vcc, exec, vcc
	s_mov_b64 s[34:35], -1
	s_waitcnt lgkmcnt(0)
	v_cndmask_b32_e64 v14, v14, v43, s[26:27]
	v_cndmask_b32_e64 v14, v14, 0, s[28:29]
	v_add_u32_e32 v15, v14, v15
	v_add_u32_e32 v16, v15, v16
	;; [unrolled: 1-line block ×3, first 2 shown]
	ds_write2_b32 v26, v14, v15 offset0:3 offset1:4
	ds_write2_b32 v26, v16, v13 offset0:5 offset1:6
	s_waitcnt lgkmcnt(0)
	s_barrier
	ds_read_b32 v13, v18 offset:12
	ds_read_b32 v14, v37 offset:12
	;; [unrolled: 1-line block ×4, first 2 shown]
	s_waitcnt lgkmcnt(3)
	v_add_u32_e32 v42, v13, v17
	s_waitcnt lgkmcnt(2)
	v_add3_u32 v40, v20, v19, v14
	s_waitcnt lgkmcnt(1)
	v_add3_u32 v37, v39, v38, v15
	;; [unrolled: 2-line block ×3, first 2 shown]
                                        ; implicit-def: $vgpr19_vgpr20
                                        ; implicit-def: $vgpr17_vgpr18
                                        ; implicit-def: $vgpr15_vgpr16
                                        ; implicit-def: $vgpr13_vgpr14
	s_cbranch_vccnz .LBB308_3
; %bb.19:                               ;   in Loop: Header=BB308_4 Depth=2
	v_lshrrev_b32_e32 v13, 2, v42
	v_and_b32_e32 v13, 0x3ffffff8, v13
	v_lshl_add_u32 v13, v42, 3, v13
	s_barrier
	ds_write_b64 v13, v[11:12]
	v_lshrrev_b32_e32 v13, 2, v40
	v_and_b32_e32 v13, 0x3ffffff8, v13
	v_lshl_add_u32 v13, v40, 3, v13
	ds_write_b64 v13, v[9:10]
	v_lshrrev_b32_e32 v13, 2, v37
	v_and_b32_e32 v13, 0x3ffffff8, v13
	v_lshl_add_u32 v13, v37, 3, v13
	;; [unrolled: 4-line block ×3, first 2 shown]
	ds_write_b64 v13, v[3:4]
	s_waitcnt lgkmcnt(0)
	s_barrier
	ds_read_b64 v[13:14], v31
	ds_read_b64 v[15:16], v32 offset:512
	ds_read_b64 v[17:18], v33 offset:1024
	;; [unrolled: 1-line block ×3, first 2 shown]
	v_add_co_u32_e32 v7, vcc, 8, v7
	v_addc_co_u32_e32 v8, vcc, 0, v8, vcc
	s_mov_b64 s[34:35], 0
	s_waitcnt lgkmcnt(0)
	s_barrier
	s_branch .LBB308_3
.LBB308_20:
	s_add_u32 s0, s38, s42
	s_addc_u32 s1, s39, s43
	v_lshlrev_b32_e32 v0, 3, v0
	v_mov_b32_e32 v1, s1
	v_add_co_u32_e32 v2, vcc, s0, v0
	v_addc_co_u32_e32 v1, vcc, 0, v1, vcc
	global_store_dwordx2 v0, v[7:8], s[0:1]
	global_store_dwordx2 v0, v[9:10], s[0:1] offset:1536
	global_store_dwordx2 v0, v[3:4], s[0:1] offset:3072
	v_add_co_u32_e32 v0, vcc, 0x1000, v2
	v_addc_co_u32_e32 v1, vcc, 0, v1, vcc
	global_store_dwordx2 v[0:1], v[5:6], off offset:512
	s_endpgm
	.section	.rodata,"a",@progbits
	.p2align	6, 0x0
	.amdhsa_kernel _Z16sort_keys_kernelI22helper_blocked_stripedxLj192ELj4ELj10EEvPKT0_PS1_
		.amdhsa_group_segment_fixed_size 6336
		.amdhsa_private_segment_fixed_size 0
		.amdhsa_kernarg_size 272
		.amdhsa_user_sgpr_count 6
		.amdhsa_user_sgpr_private_segment_buffer 1
		.amdhsa_user_sgpr_dispatch_ptr 0
		.amdhsa_user_sgpr_queue_ptr 0
		.amdhsa_user_sgpr_kernarg_segment_ptr 1
		.amdhsa_user_sgpr_dispatch_id 0
		.amdhsa_user_sgpr_flat_scratch_init 0
		.amdhsa_user_sgpr_private_segment_size 0
		.amdhsa_uses_dynamic_stack 0
		.amdhsa_system_sgpr_private_segment_wavefront_offset 0
		.amdhsa_system_sgpr_workgroup_id_x 1
		.amdhsa_system_sgpr_workgroup_id_y 0
		.amdhsa_system_sgpr_workgroup_id_z 0
		.amdhsa_system_sgpr_workgroup_info 0
		.amdhsa_system_vgpr_workitem_id 2
		.amdhsa_next_free_vgpr 45
		.amdhsa_next_free_sgpr 61
		.amdhsa_reserve_vcc 1
		.amdhsa_reserve_flat_scratch 0
		.amdhsa_float_round_mode_32 0
		.amdhsa_float_round_mode_16_64 0
		.amdhsa_float_denorm_mode_32 3
		.amdhsa_float_denorm_mode_16_64 3
		.amdhsa_dx10_clamp 1
		.amdhsa_ieee_mode 1
		.amdhsa_fp16_overflow 0
		.amdhsa_exception_fp_ieee_invalid_op 0
		.amdhsa_exception_fp_denorm_src 0
		.amdhsa_exception_fp_ieee_div_zero 0
		.amdhsa_exception_fp_ieee_overflow 0
		.amdhsa_exception_fp_ieee_underflow 0
		.amdhsa_exception_fp_ieee_inexact 0
		.amdhsa_exception_int_div_zero 0
	.end_amdhsa_kernel
	.section	.text._Z16sort_keys_kernelI22helper_blocked_stripedxLj192ELj4ELj10EEvPKT0_PS1_,"axG",@progbits,_Z16sort_keys_kernelI22helper_blocked_stripedxLj192ELj4ELj10EEvPKT0_PS1_,comdat
.Lfunc_end308:
	.size	_Z16sort_keys_kernelI22helper_blocked_stripedxLj192ELj4ELj10EEvPKT0_PS1_, .Lfunc_end308-_Z16sort_keys_kernelI22helper_blocked_stripedxLj192ELj4ELj10EEvPKT0_PS1_
                                        ; -- End function
	.set _Z16sort_keys_kernelI22helper_blocked_stripedxLj192ELj4ELj10EEvPKT0_PS1_.num_vgpr, 45
	.set _Z16sort_keys_kernelI22helper_blocked_stripedxLj192ELj4ELj10EEvPKT0_PS1_.num_agpr, 0
	.set _Z16sort_keys_kernelI22helper_blocked_stripedxLj192ELj4ELj10EEvPKT0_PS1_.numbered_sgpr, 44
	.set _Z16sort_keys_kernelI22helper_blocked_stripedxLj192ELj4ELj10EEvPKT0_PS1_.num_named_barrier, 0
	.set _Z16sort_keys_kernelI22helper_blocked_stripedxLj192ELj4ELj10EEvPKT0_PS1_.private_seg_size, 0
	.set _Z16sort_keys_kernelI22helper_blocked_stripedxLj192ELj4ELj10EEvPKT0_PS1_.uses_vcc, 1
	.set _Z16sort_keys_kernelI22helper_blocked_stripedxLj192ELj4ELj10EEvPKT0_PS1_.uses_flat_scratch, 0
	.set _Z16sort_keys_kernelI22helper_blocked_stripedxLj192ELj4ELj10EEvPKT0_PS1_.has_dyn_sized_stack, 0
	.set _Z16sort_keys_kernelI22helper_blocked_stripedxLj192ELj4ELj10EEvPKT0_PS1_.has_recursion, 0
	.set _Z16sort_keys_kernelI22helper_blocked_stripedxLj192ELj4ELj10EEvPKT0_PS1_.has_indirect_call, 0
	.section	.AMDGPU.csdata,"",@progbits
; Kernel info:
; codeLenInByte = 3572
; TotalNumSgprs: 48
; NumVgprs: 45
; ScratchSize: 0
; MemoryBound: 0
; FloatMode: 240
; IeeeMode: 1
; LDSByteSize: 6336 bytes/workgroup (compile time only)
; SGPRBlocks: 8
; VGPRBlocks: 11
; NumSGPRsForWavesPerEU: 65
; NumVGPRsForWavesPerEU: 45
; Occupancy: 5
; WaveLimiterHint : 1
; COMPUTE_PGM_RSRC2:SCRATCH_EN: 0
; COMPUTE_PGM_RSRC2:USER_SGPR: 6
; COMPUTE_PGM_RSRC2:TRAP_HANDLER: 0
; COMPUTE_PGM_RSRC2:TGID_X_EN: 1
; COMPUTE_PGM_RSRC2:TGID_Y_EN: 0
; COMPUTE_PGM_RSRC2:TGID_Z_EN: 0
; COMPUTE_PGM_RSRC2:TIDIG_COMP_CNT: 2
	.section	.text._Z17sort_pairs_kernelI22helper_blocked_stripedxLj192ELj4ELj10EEvPKT0_PS1_,"axG",@progbits,_Z17sort_pairs_kernelI22helper_blocked_stripedxLj192ELj4ELj10EEvPKT0_PS1_,comdat
	.protected	_Z17sort_pairs_kernelI22helper_blocked_stripedxLj192ELj4ELj10EEvPKT0_PS1_ ; -- Begin function _Z17sort_pairs_kernelI22helper_blocked_stripedxLj192ELj4ELj10EEvPKT0_PS1_
	.globl	_Z17sort_pairs_kernelI22helper_blocked_stripedxLj192ELj4ELj10EEvPKT0_PS1_
	.p2align	8
	.type	_Z17sort_pairs_kernelI22helper_blocked_stripedxLj192ELj4ELj10EEvPKT0_PS1_,@function
_Z17sort_pairs_kernelI22helper_blocked_stripedxLj192ELj4ELj10EEvPKT0_PS1_: ; @_Z17sort_pairs_kernelI22helper_blocked_stripedxLj192ELj4ELj10EEvPKT0_PS1_
; %bb.0:
	s_load_dwordx4 s[36:39], s[4:5], 0x0
	s_load_dword s30, s[4:5], 0x1c
	s_mul_i32 s42, s6, 0x300
	s_mov_b32 s43, 0
	s_lshl_b64 s[40:41], s[42:43], 3
	s_waitcnt lgkmcnt(0)
	s_add_u32 s0, s36, s40
	s_addc_u32 s1, s37, s41
	v_lshlrev_b32_e32 v11, 5, v0
	global_load_dwordx4 v[7:10], v11, s[0:1]
	global_load_dwordx4 v[3:6], v11, s[0:1] offset:16
	v_mbcnt_lo_u32_b32 v11, -1, 0
	v_mbcnt_hi_u32_b32 v11, -1, v11
	s_movk_i32 s8, 0x300
	v_lshlrev_b32_e32 v37, 2, v0
	v_and_b32_e32 v12, 0xc0, v0
	v_and_b32_e32 v15, 64, v11
	v_subrev_co_u32_e64 v18, s[6:7], 1, v11
	v_lshrrev_b32_e32 v13, 2, v11
	v_and_b32_e32 v14, 3, v11
	v_and_b32_e32 v16, 15, v11
	;; [unrolled: 1-line block ×3, first 2 shown]
	v_min_u32_e32 v12, 0x80, v12
	v_and_or_b32 v19, v37, s8, v11
	v_cmp_lt_i32_e32 vcc, v18, v15
	v_cmp_lt_u32_e64 s[4:5], 31, v11
	v_cmp_eq_u32_e64 s[8:9], 3, v14
	v_cmp_eq_u32_e64 s[10:11], 2, v14
	v_cmp_eq_u32_e64 s[12:13], 1, v14
	v_cmp_eq_u32_e64 s[14:15], 0, v14
	v_or_b32_e32 v20, v13, v15
	v_add_u32_e32 v13, 48, v13
	v_cmp_eq_u32_e64 s[16:17], 0, v16
	v_cmp_lt_u32_e64 s[18:19], 1, v16
	v_cmp_lt_u32_e64 s[20:21], 3, v16
	;; [unrolled: 1-line block ×3, first 2 shown]
	v_cmp_eq_u32_e64 s[24:25], 0, v17
	v_or_b32_e32 v12, 63, v12
	v_cndmask_b32_e32 v11, v18, v11, vcc
	v_cmp_lt_u32_e64 s[26:27], 1, v14
	v_lshrrev_b32_e32 v14, 2, v19
	v_lshlrev_b32_e32 v16, 3, v19
	v_add_u32_e32 v17, 64, v19
	v_or_b32_e32 v18, 0x80, v19
	v_add_u32_e32 v19, 0xc0, v19
	v_and_or_b32 v13, v13, 63, v15
	v_cmp_eq_u32_e64 s[28:29], v0, v12
	v_lshlrev_b32_e32 v39, 2, v11
	v_and_b32_e32 v11, 0xd8, v14
	v_lshrrev_b32_e32 v12, 2, v17
	v_lshrrev_b32_e32 v14, 2, v18
	v_lshrrev_b32_e32 v15, 2, v19
	v_lshlrev_b32_e32 v40, 2, v13
	v_add_u32_e32 v41, v11, v16
	v_and_b32_e32 v11, 0xf8, v12
	v_and_b32_e32 v12, 0xf8, v14
	v_and_b32_e32 v13, 0x1f8, v15
	s_lshr_b32 s31, s30, 16
	v_add_u32_e32 v42, v11, v16
	v_add_u32_e32 v43, v12, v16
	;; [unrolled: 1-line block ×3, first 2 shown]
	s_and_b32 s30, s30, 0xffff
	v_mad_u32_u24 v1, v2, s31, v1
	v_mad_u64_u32 v[1:2], s[30:31], v1, s30, v[0:1]
	v_lshrrev_b32_e32 v2, 4, v0
	v_lshlrev_b32_e32 v38, 2, v20
	v_lshrrev_b32_e32 v1, 4, v1
	v_and_b32_e32 v45, 12, v2
	v_lshlrev_b32_e32 v49, 4, v0
	v_cmp_gt_u32_e64 s[0:1], 3, v0
	v_cmp_lt_u32_e64 s[2:3], 63, v0
	v_cmp_eq_u32_e64 s[30:31], 0, v0
	v_and_b32_e32 v46, 0xffffffc, v1
	v_add_u32_e32 v47, 64, v38
	v_or_b32_e32 v48, 0x80, v38
	v_mad_i32_i24 v50, v0, -12, v49
	v_add_u32_e32 v51, -4, v45
	v_mov_b32_e32 v52, 12
	v_mov_b32_e32 v1, 0
	s_waitcnt vmcnt(1)
	v_add_co_u32_e32 v15, vcc, 1, v7
	v_addc_co_u32_e32 v16, vcc, 0, v8, vcc
	v_add_co_u32_e32 v17, vcc, 1, v9
	v_addc_co_u32_e32 v18, vcc, 0, v10, vcc
	s_waitcnt vmcnt(0)
	v_add_co_u32_e32 v11, vcc, 1, v3
	v_addc_co_u32_e32 v12, vcc, 0, v4, vcc
	v_add_co_u32_e32 v13, vcc, 1, v5
	v_addc_co_u32_e32 v14, vcc, 0, v6, vcc
	s_branch .LBB309_2
.LBB309_1:                              ;   in Loop: Header=BB309_2 Depth=1
	v_lshlrev_b32_e32 v21, 3, v55
	s_barrier
	ds_write_b64 v21, v[19:20]
	v_lshlrev_b32_e32 v19, 3, v54
	v_lshlrev_b32_e32 v20, 3, v53
	;; [unrolled: 1-line block ×3, first 2 shown]
	v_add_u32_e32 v22, v50, v37
	ds_write_b64 v19, v[9:10]
	ds_write_b64 v20, v[7:8]
	;; [unrolled: 1-line block ×3, first 2 shown]
	s_waitcnt lgkmcnt(0)
	s_barrier
	ds_read2st64_b64 v[7:10], v22 offset1:3
	ds_read2st64_b64 v[3:6], v22 offset0:6 offset1:9
	s_waitcnt lgkmcnt(0)
	s_barrier
	ds_write_b64 v21, v[17:18]
	ds_write_b64 v19, v[15:16]
	;; [unrolled: 1-line block ×4, first 2 shown]
	s_waitcnt lgkmcnt(0)
	s_barrier
	ds_read2st64_b64 v[15:18], v22 offset1:3
	ds_read2st64_b64 v[11:14], v22 offset0:6 offset1:9
	s_add_i32 s43, s43, 1
	v_xor_b32_e32 v8, 0x80000000, v8
	v_xor_b32_e32 v10, 0x80000000, v10
	;; [unrolled: 1-line block ×3, first 2 shown]
	s_cmp_lg_u32 s43, 10
	v_xor_b32_e32 v6, 0x80000000, v6
	s_cbranch_scc0 .LBB309_20
.LBB309_2:                              ; =>This Loop Header: Depth=1
                                        ;     Child Loop BB309_4 Depth 2
	v_xor_b32_e32 v2, 0x80000000, v8
	ds_bpermute_b32 v8, v38, v7
	ds_bpermute_b32 v20, v38, v9
	;; [unrolled: 1-line block ×3, first 2 shown]
	v_xor_b32_e32 v10, 0x80000000, v10
	ds_bpermute_b32 v21, v38, v10
	s_waitcnt lgkmcnt(3)
	v_cndmask_b32_e64 v8, 0, v8, s[14:15]
	v_xor_b32_e32 v4, 0x80000000, v4
	ds_bpermute_b32 v23, v38, v3
	ds_bpermute_b32 v22, v38, v4
	s_waitcnt lgkmcnt(4)
	v_cndmask_b32_e64 v8, v8, v20, s[12:13]
	ds_bpermute_b32 v20, v38, v5
	s_waitcnt lgkmcnt(4)
	v_cndmask_b32_e64 v19, 0, v19, s[14:15]
	s_waitcnt lgkmcnt(3)
	v_cndmask_b32_e64 v19, v19, v21, s[12:13]
	;; [unrolled: 2-line block ×3, first 2 shown]
	v_xor_b32_e32 v6, 0x80000000, v6
	s_waitcnt lgkmcnt(1)
	v_cndmask_b32_e64 v19, v19, v22, s[10:11]
	ds_bpermute_b32 v22, v38, v6
	s_waitcnt lgkmcnt(1)
	v_cndmask_b32_e64 v21, v8, v20, s[8:9]
	ds_bpermute_b32 v20, v47, v7
	ds_bpermute_b32 v23, v47, v9
	;; [unrolled: 1-line block ×4, first 2 shown]
	s_waitcnt lgkmcnt(4)
	v_cndmask_b32_e64 v22, v19, v22, s[8:9]
	s_waitcnt lgkmcnt(3)
	v_cndmask_b32_e64 v19, 0, v20, s[14:15]
	;; [unrolled: 2-line block ×3, first 2 shown]
	ds_bpermute_b32 v20, v47, v4
	ds_bpermute_b32 v23, v47, v3
	s_waitcnt lgkmcnt(3)
	v_cndmask_b32_e64 v8, 0, v8, s[14:15]
	ds_bpermute_b32 v25, v47, v5
	s_waitcnt lgkmcnt(3)
	v_cndmask_b32_e64 v8, v8, v24, s[12:13]
	;; [unrolled: 3-line block ×3, first 2 shown]
	s_waitcnt lgkmcnt(2)
	v_cndmask_b32_e64 v19, v19, v23, s[10:11]
	ds_bpermute_b32 v20, v48, v7
	s_waitcnt lgkmcnt(2)
	v_cndmask_b32_e64 v23, v19, v25, s[8:9]
	ds_bpermute_b32 v19, v48, v2
	ds_bpermute_b32 v25, v48, v9
	s_waitcnt lgkmcnt(3)
	v_cndmask_b32_e64 v24, v8, v24, s[8:9]
	ds_bpermute_b32 v8, v48, v10
	s_waitcnt lgkmcnt(3)
	v_cndmask_b32_e64 v20, 0, v20, s[14:15]
	s_waitcnt lgkmcnt(2)
	v_cndmask_b32_e64 v19, 0, v19, s[14:15]
	;; [unrolled: 2-line block ×3, first 2 shown]
	ds_bpermute_b32 v25, v48, v4
	ds_bpermute_b32 v26, v48, v3
	s_waitcnt lgkmcnt(2)
	v_cndmask_b32_e64 v8, v19, v8, s[12:13]
	ds_bpermute_b32 v19, v48, v6
	ds_bpermute_b32 v2, v40, v2
	s_waitcnt lgkmcnt(3)
	v_cndmask_b32_e64 v8, v8, v25, s[10:11]
	s_waitcnt lgkmcnt(2)
	v_cndmask_b32_e64 v20, v20, v26, s[10:11]
	ds_bpermute_b32 v4, v40, v4
	s_waitcnt lgkmcnt(2)
	v_cndmask_b32_e64 v26, v8, v19, s[8:9]
	ds_bpermute_b32 v8, v40, v9
	ds_bpermute_b32 v9, v40, v10
	;; [unrolled: 1-line block ×3, first 2 shown]
	s_waitcnt lgkmcnt(4)
	v_cndmask_b32_e64 v2, 0, v2, s[14:15]
	ds_bpermute_b32 v3, v40, v3
	ds_bpermute_b32 v27, v48, v5
	s_waitcnt lgkmcnt(3)
	v_cndmask_b32_e64 v2, v2, v9, s[12:13]
	v_cndmask_b32_e64 v2, v2, v4, s[10:11]
	ds_bpermute_b32 v4, v40, v5
	ds_bpermute_b32 v5, v40, v6
	s_waitcnt lgkmcnt(4)
	v_cndmask_b32_e64 v7, 0, v7, s[14:15]
	v_cndmask_b32_e64 v7, v7, v8, s[12:13]
	s_waitcnt lgkmcnt(3)
	v_cndmask_b32_e64 v3, v7, v3, s[10:11]
	ds_bpermute_b32 v7, v38, v16
	s_waitcnt lgkmcnt(3)
	v_cndmask_b32_e64 v25, v20, v27, s[8:9]
	ds_bpermute_b32 v6, v38, v15
	s_waitcnt lgkmcnt(3)
	v_cndmask_b32_e64 v27, v3, v4, s[8:9]
	ds_bpermute_b32 v3, v38, v18
	s_waitcnt lgkmcnt(3)
	v_cndmask_b32_e64 v28, v2, v5, s[8:9]
	ds_bpermute_b32 v5, v38, v17
	s_waitcnt lgkmcnt(3)
	v_cndmask_b32_e64 v4, 0, v7, s[14:15]
	ds_bpermute_b32 v7, v38, v12
	s_waitcnt lgkmcnt(3)
	v_cndmask_b32_e64 v2, 0, v6, s[14:15]
	ds_bpermute_b32 v6, v38, v11
	s_waitcnt lgkmcnt(3)
	v_cndmask_b32_e64 v3, v4, v3, s[12:13]
	ds_bpermute_b32 v4, v38, v14
	s_waitcnt lgkmcnt(3)
	v_cndmask_b32_e64 v2, v2, v5, s[12:13]
	ds_bpermute_b32 v5, v38, v13
	s_waitcnt lgkmcnt(3)
	v_cndmask_b32_e64 v3, v3, v7, s[10:11]
	s_waitcnt lgkmcnt(2)
	v_cndmask_b32_e64 v2, v2, v6, s[10:11]
	;; [unrolled: 2-line block ×3, first 2 shown]
	ds_bpermute_b32 v3, v47, v15
	s_waitcnt lgkmcnt(1)
	v_cndmask_b32_e64 v29, v2, v5, s[8:9]
	ds_bpermute_b32 v2, v47, v17
	ds_bpermute_b32 v4, v47, v16
	;; [unrolled: 1-line block ×4, first 2 shown]
	s_waitcnt lgkmcnt(4)
	v_cndmask_b32_e64 v3, 0, v3, s[14:15]
	ds_bpermute_b32 v7, v47, v13
	s_waitcnt lgkmcnt(4)
	v_cndmask_b32_e64 v2, v3, v2, s[12:13]
	ds_bpermute_b32 v3, v47, v12
	s_waitcnt lgkmcnt(4)
	v_cndmask_b32_e64 v4, 0, v4, s[14:15]
	s_waitcnt lgkmcnt(3)
	v_cndmask_b32_e64 v2, v2, v5, s[10:11]
	;; [unrolled: 2-line block ×3, first 2 shown]
	ds_bpermute_b32 v6, v47, v14
	ds_bpermute_b32 v5, v48, v15
	s_waitcnt lgkmcnt(3)
	v_cndmask_b32_e64 v31, v2, v7, s[8:9]
	ds_bpermute_b32 v2, v48, v16
	s_waitcnt lgkmcnt(3)
	v_cndmask_b32_e64 v3, v4, v3, s[10:11]
	;; [unrolled: 3-line block ×3, first 2 shown]
	s_waitcnt lgkmcnt(2)
	v_cndmask_b32_e64 v3, 0, v5, s[14:15]
	ds_bpermute_b32 v5, v48, v17
	s_waitcnt lgkmcnt(2)
	v_cndmask_b32_e64 v2, 0, v2, s[14:15]
	ds_bpermute_b32 v7, v48, v12
	;; [unrolled: 3-line block ×3, first 2 shown]
	ds_bpermute_b32 v6, v48, v11
	s_waitcnt lgkmcnt(3)
	v_cndmask_b32_e64 v3, v3, v5, s[12:13]
	s_waitcnt lgkmcnt(2)
	v_cndmask_b32_e64 v2, v2, v7, s[10:11]
	ds_bpermute_b32 v5, v48, v13
	ds_bpermute_b32 v7, v40, v16
	s_waitcnt lgkmcnt(3)
	v_cndmask_b32_e64 v34, v2, v4, s[8:9]
	ds_bpermute_b32 v2, v40, v18
	s_waitcnt lgkmcnt(3)
	v_cndmask_b32_e64 v3, v3, v6, s[10:11]
	;; [unrolled: 3-line block ×3, first 2 shown]
	s_waitcnt lgkmcnt(2)
	v_cndmask_b32_e64 v4, 0, v7, s[14:15]
	ds_bpermute_b32 v5, v40, v17
	s_waitcnt lgkmcnt(2)
	v_cndmask_b32_e64 v2, v4, v2, s[12:13]
	ds_bpermute_b32 v4, v40, v11
	;; [unrolled: 3-line block ×3, first 2 shown]
	ds_bpermute_b32 v8, v40, v13
	ds_bpermute_b32 v7, v40, v14
	s_waitcnt lgkmcnt(4)
	v_cndmask_b32_e64 v3, v3, v5, s[12:13]
	s_waitcnt lgkmcnt(3)
	v_cndmask_b32_e64 v3, v3, v4, s[10:11]
	;; [unrolled: 2-line block ×4, first 2 shown]
	v_mov_b32_e32 v3, 0
	s_waitcnt lgkmcnt(0)
	v_cndmask_b32_e64 v36, v2, v7, s[8:9]
	v_mov_b32_e32 v4, 0
	s_barrier
	s_branch .LBB309_4
.LBB309_3:                              ;   in Loop: Header=BB309_4 Depth=2
	s_andn2_b64 vcc, exec, s[34:35]
	s_cbranch_vccz .LBB309_1
.LBB309_4:                              ;   Parent Loop BB309_2 Depth=1
                                        ; =>  This Inner Loop Header: Depth=2
	v_mov_b32_e32 v19, v21
	v_mov_b32_e32 v20, v22
	v_lshrrev_b64 v[21:22], v3, v[19:20]
	v_mov_b32_e32 v9, v23
	v_and_b32_e32 v2, 1, v21
	v_add_co_u32_e32 v22, vcc, -1, v2
	v_mov_b32_e32 v10, v24
	v_addc_co_u32_e64 v24, s[34:35], 0, -1, vcc
	v_cmp_ne_u32_e32 vcc, 0, v2
	v_xor_b32_e32 v2, vcc_hi, v24
	v_and_b32_e32 v24, exec_hi, v2
	v_lshlrev_b32_e32 v2, 30, v21
	v_xor_b32_e32 v22, vcc_lo, v22
	v_cmp_gt_i64_e32 vcc, 0, v[1:2]
	v_not_b32_e32 v2, v2
	v_mov_b32_e32 v7, v25
	v_ashrrev_i32_e32 v2, 31, v2
	v_mov_b32_e32 v8, v26
	v_and_b32_e32 v22, exec_lo, v22
	v_xor_b32_e32 v25, vcc_hi, v2
	v_xor_b32_e32 v2, vcc_lo, v2
	v_and_b32_e32 v22, v22, v2
	v_lshlrev_b32_e32 v2, 29, v21
	v_cmp_gt_i64_e32 vcc, 0, v[1:2]
	v_not_b32_e32 v2, v2
	v_ashrrev_i32_e32 v2, 31, v2
	v_and_b32_e32 v24, v24, v25
	v_xor_b32_e32 v25, vcc_hi, v2
	v_xor_b32_e32 v2, vcc_lo, v2
	v_and_b32_e32 v22, v22, v2
	v_lshlrev_b32_e32 v2, 28, v21
	v_cmp_gt_i64_e32 vcc, 0, v[1:2]
	v_not_b32_e32 v2, v2
	v_ashrrev_i32_e32 v2, 31, v2
	v_and_b32_e32 v24, v24, v25
	;; [unrolled: 8-line block ×5, first 2 shown]
	v_xor_b32_e32 v25, vcc_hi, v2
	v_xor_b32_e32 v2, vcc_lo, v2
	v_and_b32_e32 v24, v24, v25
	v_and_b32_e32 v25, v22, v2
	v_lshlrev_b32_e32 v2, 24, v21
	v_cmp_gt_i64_e32 vcc, 0, v[1:2]
	v_not_b32_e32 v2, v2
	v_ashrrev_i32_e32 v2, 31, v2
	v_mul_u32_u24_sdwa v23, v21, v52 dst_sel:DWORD dst_unused:UNUSED_PAD src0_sel:BYTE_0 src1_sel:DWORD
	v_xor_b32_e32 v21, vcc_hi, v2
	v_xor_b32_e32 v2, vcc_lo, v2
	v_and_b32_e32 v22, v24, v21
	v_and_b32_e32 v21, v25, v2
	v_mbcnt_lo_u32_b32 v2, v21, 0
	v_mbcnt_hi_u32_b32 v25, v22, v2
	v_cmp_ne_u64_e32 vcc, 0, v[21:22]
	v_mov_b32_e32 v5, v27
	v_mov_b32_e32 v17, v29
	;; [unrolled: 1-line block ×5, first 2 shown]
	v_cmp_eq_u32_e64 s[34:35], 0, v25
	v_mov_b32_e32 v6, v28
	v_mov_b32_e32 v18, v30
	;; [unrolled: 1-line block ×5, first 2 shown]
	s_and_b64 s[36:37], vcc, s[34:35]
	v_add_u32_e32 v26, v46, v23
	ds_write2_b32 v49, v1, v1 offset0:3 offset1:4
	ds_write2_b32 v49, v1, v1 offset0:5 offset1:6
	s_waitcnt lgkmcnt(0)
	s_barrier
	; wave barrier
	s_and_saveexec_b64 s[34:35], s[36:37]
; %bb.5:                                ;   in Loop: Header=BB309_4 Depth=2
	v_bcnt_u32_b32 v2, v21, 0
	v_bcnt_u32_b32 v2, v22, v2
	ds_write_b32 v26, v2 offset:12
; %bb.6:                                ;   in Loop: Header=BB309_4 Depth=2
	s_or_b64 exec, exec, s[34:35]
	v_lshrrev_b64 v[21:22], v3, v[9:10]
	v_and_b32_e32 v2, 0xff, v21
	v_mul_u32_u24_e32 v23, 12, v2
	v_mad_u32_u24 v2, v2, 12, v46
	; wave barrier
	ds_read_b32 v27, v2 offset:12
	v_and_b32_e32 v2, 1, v21
	v_add_co_u32_e32 v22, vcc, -1, v2
	v_addc_co_u32_e64 v24, s[34:35], 0, -1, vcc
	v_cmp_ne_u32_e32 vcc, 0, v2
	v_xor_b32_e32 v2, vcc_hi, v24
	v_and_b32_e32 v24, exec_hi, v2
	v_lshlrev_b32_e32 v2, 30, v21
	v_xor_b32_e32 v22, vcc_lo, v22
	v_cmp_gt_i64_e32 vcc, 0, v[1:2]
	v_not_b32_e32 v2, v2
	v_ashrrev_i32_e32 v2, 31, v2
	v_and_b32_e32 v22, exec_lo, v22
	v_xor_b32_e32 v28, vcc_hi, v2
	v_xor_b32_e32 v2, vcc_lo, v2
	v_and_b32_e32 v22, v22, v2
	v_lshlrev_b32_e32 v2, 29, v21
	v_cmp_gt_i64_e32 vcc, 0, v[1:2]
	v_not_b32_e32 v2, v2
	v_ashrrev_i32_e32 v2, 31, v2
	v_and_b32_e32 v24, v24, v28
	v_xor_b32_e32 v28, vcc_hi, v2
	v_xor_b32_e32 v2, vcc_lo, v2
	v_and_b32_e32 v22, v22, v2
	v_lshlrev_b32_e32 v2, 28, v21
	v_cmp_gt_i64_e32 vcc, 0, v[1:2]
	v_not_b32_e32 v2, v2
	v_ashrrev_i32_e32 v2, 31, v2
	v_and_b32_e32 v24, v24, v28
	;; [unrolled: 8-line block ×5, first 2 shown]
	v_xor_b32_e32 v28, vcc_hi, v2
	v_xor_b32_e32 v2, vcc_lo, v2
	v_and_b32_e32 v24, v24, v28
	v_and_b32_e32 v28, v22, v2
	v_lshlrev_b32_e32 v2, 24, v21
	v_cmp_gt_i64_e32 vcc, 0, v[1:2]
	v_not_b32_e32 v2, v2
	v_ashrrev_i32_e32 v2, 31, v2
	v_xor_b32_e32 v21, vcc_hi, v2
	v_xor_b32_e32 v2, vcc_lo, v2
	v_and_b32_e32 v22, v24, v21
	v_and_b32_e32 v21, v28, v2
	v_mbcnt_lo_u32_b32 v2, v21, 0
	v_mbcnt_hi_u32_b32 v28, v22, v2
	v_cmp_ne_u64_e32 vcc, 0, v[21:22]
	v_cmp_eq_u32_e64 s[34:35], 0, v28
	s_and_b64 s[36:37], vcc, s[34:35]
	v_add_u32_e32 v29, v46, v23
	; wave barrier
	s_and_saveexec_b64 s[34:35], s[36:37]
	s_cbranch_execz .LBB309_8
; %bb.7:                                ;   in Loop: Header=BB309_4 Depth=2
	v_bcnt_u32_b32 v2, v21, 0
	v_bcnt_u32_b32 v2, v22, v2
	s_waitcnt lgkmcnt(0)
	v_add_u32_e32 v2, v27, v2
	ds_write_b32 v29, v2 offset:12
.LBB309_8:                              ;   in Loop: Header=BB309_4 Depth=2
	s_or_b64 exec, exec, s[34:35]
	v_lshrrev_b64 v[21:22], v3, v[7:8]
	v_and_b32_e32 v2, 0xff, v21
	v_mul_u32_u24_e32 v23, 12, v2
	v_mad_u32_u24 v2, v2, 12, v46
	; wave barrier
	ds_read_b32 v30, v2 offset:12
	v_and_b32_e32 v2, 1, v21
	v_add_co_u32_e32 v22, vcc, -1, v2
	v_addc_co_u32_e64 v24, s[34:35], 0, -1, vcc
	v_cmp_ne_u32_e32 vcc, 0, v2
	v_xor_b32_e32 v2, vcc_hi, v24
	v_and_b32_e32 v24, exec_hi, v2
	v_lshlrev_b32_e32 v2, 30, v21
	v_xor_b32_e32 v22, vcc_lo, v22
	v_cmp_gt_i64_e32 vcc, 0, v[1:2]
	v_not_b32_e32 v2, v2
	v_ashrrev_i32_e32 v2, 31, v2
	v_and_b32_e32 v22, exec_lo, v22
	v_xor_b32_e32 v31, vcc_hi, v2
	v_xor_b32_e32 v2, vcc_lo, v2
	v_and_b32_e32 v22, v22, v2
	v_lshlrev_b32_e32 v2, 29, v21
	v_cmp_gt_i64_e32 vcc, 0, v[1:2]
	v_not_b32_e32 v2, v2
	v_ashrrev_i32_e32 v2, 31, v2
	v_and_b32_e32 v24, v24, v31
	v_xor_b32_e32 v31, vcc_hi, v2
	v_xor_b32_e32 v2, vcc_lo, v2
	v_and_b32_e32 v22, v22, v2
	v_lshlrev_b32_e32 v2, 28, v21
	v_cmp_gt_i64_e32 vcc, 0, v[1:2]
	v_not_b32_e32 v2, v2
	v_ashrrev_i32_e32 v2, 31, v2
	v_and_b32_e32 v24, v24, v31
	;; [unrolled: 8-line block ×5, first 2 shown]
	v_xor_b32_e32 v31, vcc_hi, v2
	v_xor_b32_e32 v2, vcc_lo, v2
	v_and_b32_e32 v24, v24, v31
	v_and_b32_e32 v31, v22, v2
	v_lshlrev_b32_e32 v2, 24, v21
	v_cmp_gt_i64_e32 vcc, 0, v[1:2]
	v_not_b32_e32 v2, v2
	v_ashrrev_i32_e32 v2, 31, v2
	v_xor_b32_e32 v21, vcc_hi, v2
	v_xor_b32_e32 v2, vcc_lo, v2
	v_and_b32_e32 v22, v24, v21
	v_and_b32_e32 v21, v31, v2
	v_mbcnt_lo_u32_b32 v2, v21, 0
	v_mbcnt_hi_u32_b32 v31, v22, v2
	v_cmp_ne_u64_e32 vcc, 0, v[21:22]
	v_cmp_eq_u32_e64 s[34:35], 0, v31
	s_and_b64 s[36:37], vcc, s[34:35]
	v_add_u32_e32 v32, v46, v23
	; wave barrier
	s_and_saveexec_b64 s[34:35], s[36:37]
	s_cbranch_execz .LBB309_10
; %bb.9:                                ;   in Loop: Header=BB309_4 Depth=2
	v_bcnt_u32_b32 v2, v21, 0
	v_bcnt_u32_b32 v2, v22, v2
	s_waitcnt lgkmcnt(0)
	v_add_u32_e32 v2, v30, v2
	ds_write_b32 v32, v2 offset:12
.LBB309_10:                             ;   in Loop: Header=BB309_4 Depth=2
	s_or_b64 exec, exec, s[34:35]
	v_lshrrev_b64 v[21:22], v3, v[5:6]
	v_and_b32_e32 v2, 0xff, v21
	v_mul_u32_u24_e32 v23, 12, v2
	v_mad_u32_u24 v2, v2, 12, v46
	; wave barrier
	ds_read_b32 v33, v2 offset:12
	v_and_b32_e32 v2, 1, v21
	v_add_co_u32_e32 v22, vcc, -1, v2
	v_addc_co_u32_e64 v24, s[34:35], 0, -1, vcc
	v_cmp_ne_u32_e32 vcc, 0, v2
	v_xor_b32_e32 v2, vcc_hi, v24
	v_and_b32_e32 v24, exec_hi, v2
	v_lshlrev_b32_e32 v2, 30, v21
	v_xor_b32_e32 v22, vcc_lo, v22
	v_cmp_gt_i64_e32 vcc, 0, v[1:2]
	v_not_b32_e32 v2, v2
	v_ashrrev_i32_e32 v2, 31, v2
	v_and_b32_e32 v22, exec_lo, v22
	v_xor_b32_e32 v34, vcc_hi, v2
	v_xor_b32_e32 v2, vcc_lo, v2
	v_and_b32_e32 v22, v22, v2
	v_lshlrev_b32_e32 v2, 29, v21
	v_cmp_gt_i64_e32 vcc, 0, v[1:2]
	v_not_b32_e32 v2, v2
	v_ashrrev_i32_e32 v2, 31, v2
	v_and_b32_e32 v24, v24, v34
	v_xor_b32_e32 v34, vcc_hi, v2
	v_xor_b32_e32 v2, vcc_lo, v2
	v_and_b32_e32 v22, v22, v2
	v_lshlrev_b32_e32 v2, 28, v21
	v_cmp_gt_i64_e32 vcc, 0, v[1:2]
	v_not_b32_e32 v2, v2
	v_ashrrev_i32_e32 v2, 31, v2
	v_and_b32_e32 v24, v24, v34
	;; [unrolled: 8-line block ×5, first 2 shown]
	v_xor_b32_e32 v34, vcc_hi, v2
	v_xor_b32_e32 v2, vcc_lo, v2
	v_and_b32_e32 v24, v24, v34
	v_and_b32_e32 v34, v22, v2
	v_lshlrev_b32_e32 v2, 24, v21
	v_cmp_gt_i64_e32 vcc, 0, v[1:2]
	v_not_b32_e32 v2, v2
	v_ashrrev_i32_e32 v2, 31, v2
	v_xor_b32_e32 v21, vcc_hi, v2
	v_xor_b32_e32 v2, vcc_lo, v2
	v_and_b32_e32 v22, v24, v21
	v_and_b32_e32 v21, v34, v2
	v_mbcnt_lo_u32_b32 v2, v21, 0
	v_mbcnt_hi_u32_b32 v2, v22, v2
	v_cmp_ne_u64_e32 vcc, 0, v[21:22]
	v_cmp_eq_u32_e64 s[34:35], 0, v2
	s_and_b64 s[36:37], vcc, s[34:35]
	v_add_u32_e32 v34, v46, v23
	; wave barrier
	s_and_saveexec_b64 s[34:35], s[36:37]
	s_cbranch_execz .LBB309_12
; %bb.11:                               ;   in Loop: Header=BB309_4 Depth=2
	v_bcnt_u32_b32 v21, v21, 0
	v_bcnt_u32_b32 v21, v22, v21
	s_waitcnt lgkmcnt(0)
	v_add_u32_e32 v21, v33, v21
	ds_write_b32 v34, v21 offset:12
.LBB309_12:                             ;   in Loop: Header=BB309_4 Depth=2
	s_or_b64 exec, exec, s[34:35]
	; wave barrier
	s_waitcnt lgkmcnt(0)
	s_barrier
	ds_read2_b32 v[23:24], v49 offset0:3 offset1:4
	ds_read2_b32 v[21:22], v49 offset0:5 offset1:6
	s_waitcnt lgkmcnt(1)
	v_add_u32_e32 v35, v24, v23
	s_waitcnt lgkmcnt(0)
	v_add3_u32 v22, v35, v21, v22
	s_nop 1
	v_mov_b32_dpp v35, v22 row_shr:1 row_mask:0xf bank_mask:0xf
	v_cndmask_b32_e64 v35, v35, 0, s[16:17]
	v_add_u32_e32 v22, v35, v22
	s_nop 1
	v_mov_b32_dpp v35, v22 row_shr:2 row_mask:0xf bank_mask:0xf
	v_cndmask_b32_e64 v35, 0, v35, s[18:19]
	v_add_u32_e32 v22, v22, v35
	;; [unrolled: 4-line block ×4, first 2 shown]
	s_nop 1
	v_mov_b32_dpp v35, v22 row_bcast:15 row_mask:0xf bank_mask:0xf
	v_cndmask_b32_e64 v35, v35, 0, s[24:25]
	v_add_u32_e32 v22, v22, v35
	s_nop 1
	v_mov_b32_dpp v35, v22 row_bcast:31 row_mask:0xf bank_mask:0xf
	v_cndmask_b32_e64 v35, 0, v35, s[4:5]
	v_add_u32_e32 v22, v22, v35
	s_and_saveexec_b64 s[34:35], s[28:29]
; %bb.13:                               ;   in Loop: Header=BB309_4 Depth=2
	ds_write_b32 v45, v22
; %bb.14:                               ;   in Loop: Header=BB309_4 Depth=2
	s_or_b64 exec, exec, s[34:35]
	s_waitcnt lgkmcnt(0)
	s_barrier
	s_and_saveexec_b64 s[34:35], s[0:1]
	s_cbranch_execz .LBB309_16
; %bb.15:                               ;   in Loop: Header=BB309_4 Depth=2
	ds_read_b32 v35, v50
	s_waitcnt lgkmcnt(0)
	s_nop 0
	v_mov_b32_dpp v36, v35 row_shr:1 row_mask:0xf bank_mask:0xf
	v_cndmask_b32_e64 v36, v36, 0, s[14:15]
	v_add_u32_e32 v35, v36, v35
	s_nop 1
	v_mov_b32_dpp v36, v35 row_shr:2 row_mask:0xf bank_mask:0xf
	v_cndmask_b32_e64 v36, 0, v36, s[26:27]
	v_add_u32_e32 v35, v35, v36
	ds_write_b32 v50, v35
.LBB309_16:                             ;   in Loop: Header=BB309_4 Depth=2
	s_or_b64 exec, exec, s[34:35]
	v_mov_b32_e32 v35, 0
	s_waitcnt lgkmcnt(0)
	s_barrier
	s_and_saveexec_b64 s[34:35], s[2:3]
; %bb.17:                               ;   in Loop: Header=BB309_4 Depth=2
	ds_read_b32 v35, v51
; %bb.18:                               ;   in Loop: Header=BB309_4 Depth=2
	s_or_b64 exec, exec, s[34:35]
	s_waitcnt lgkmcnt(0)
	v_add_u32_e32 v22, v35, v22
	ds_bpermute_b32 v22, v39, v22
	v_cmp_lt_u32_e32 vcc, 55, v3
	s_and_b64 vcc, exec, vcc
	s_mov_b64 s[34:35], -1
	s_waitcnt lgkmcnt(0)
	v_cndmask_b32_e64 v22, v22, v35, s[6:7]
	v_cndmask_b32_e64 v22, v22, 0, s[30:31]
	v_add_u32_e32 v23, v22, v23
	v_add_u32_e32 v24, v23, v24
	v_add_u32_e32 v21, v24, v21
	ds_write2_b32 v49, v22, v23 offset0:3 offset1:4
	ds_write2_b32 v49, v24, v21 offset0:5 offset1:6
	s_waitcnt lgkmcnt(0)
	s_barrier
	ds_read_b32 v21, v26 offset:12
	ds_read_b32 v22, v29 offset:12
	;; [unrolled: 1-line block ×4, first 2 shown]
                                        ; implicit-def: $vgpr35_vgpr36
	s_waitcnt lgkmcnt(3)
	v_add_u32_e32 v55, v21, v25
	s_waitcnt lgkmcnt(2)
	v_add3_u32 v54, v28, v27, v22
	s_waitcnt lgkmcnt(1)
	v_add3_u32 v53, v31, v30, v23
	;; [unrolled: 2-line block ×3, first 2 shown]
                                        ; implicit-def: $vgpr27_vgpr28
                                        ; implicit-def: $vgpr25_vgpr26
                                        ; implicit-def: $vgpr23_vgpr24
                                        ; implicit-def: $vgpr21_vgpr22
                                        ; implicit-def: $vgpr29_vgpr30
                                        ; implicit-def: $vgpr31_vgpr32
                                        ; implicit-def: $vgpr33_vgpr34
	s_cbranch_vccnz .LBB309_3
; %bb.19:                               ;   in Loop: Header=BB309_4 Depth=2
	v_lshrrev_b32_e32 v21, 2, v55
	v_and_b32_e32 v21, 0x3ffffff8, v21
	v_lshl_add_u32 v29, v55, 3, v21
	v_lshrrev_b32_e32 v21, 2, v54
	v_and_b32_e32 v21, 0x3ffffff8, v21
	v_lshl_add_u32 v30, v54, 3, v21
	;; [unrolled: 3-line block ×4, first 2 shown]
	s_barrier
	ds_write_b64 v29, v[19:20]
	ds_write_b64 v30, v[9:10]
	ds_write_b64 v31, v[7:8]
	ds_write_b64 v32, v[5:6]
	s_waitcnt lgkmcnt(0)
	s_barrier
	ds_read_b64 v[21:22], v41
	ds_read_b64 v[23:24], v42 offset:512
	ds_read_b64 v[25:26], v43 offset:1024
	;; [unrolled: 1-line block ×3, first 2 shown]
	s_waitcnt lgkmcnt(0)
	s_barrier
	ds_write_b64 v29, v[17:18]
	ds_write_b64 v30, v[15:16]
	;; [unrolled: 1-line block ×4, first 2 shown]
	s_waitcnt lgkmcnt(0)
	s_barrier
	ds_read_b64 v[29:30], v41
	ds_read_b64 v[31:32], v42 offset:512
	ds_read_b64 v[33:34], v43 offset:1024
	;; [unrolled: 1-line block ×3, first 2 shown]
	v_add_co_u32_e32 v3, vcc, 8, v3
	v_addc_co_u32_e32 v4, vcc, 0, v4, vcc
	s_mov_b64 s[34:35], 0
	s_waitcnt lgkmcnt(0)
	s_barrier
	s_branch .LBB309_3
.LBB309_20:
	s_waitcnt lgkmcnt(1)
	v_add_co_u32_e32 v1, vcc, v15, v7
	v_addc_co_u32_e32 v2, vcc, v16, v8, vcc
	v_add_co_u32_e32 v7, vcc, v17, v9
	v_addc_co_u32_e32 v8, vcc, v18, v10, vcc
	s_waitcnt lgkmcnt(0)
	v_add_co_u32_e32 v3, vcc, v11, v3
	v_addc_co_u32_e32 v4, vcc, v12, v4, vcc
	v_add_co_u32_e32 v5, vcc, v13, v5
	s_add_u32 s0, s38, s40
	v_addc_co_u32_e32 v6, vcc, v14, v6, vcc
	s_addc_u32 s1, s39, s41
	v_lshlrev_b32_e32 v0, 3, v0
	v_mov_b32_e32 v9, s1
	v_add_co_u32_e32 v10, vcc, s0, v0
	v_addc_co_u32_e32 v9, vcc, 0, v9, vcc
	global_store_dwordx2 v0, v[1:2], s[0:1]
	global_store_dwordx2 v0, v[7:8], s[0:1] offset:1536
	global_store_dwordx2 v0, v[3:4], s[0:1] offset:3072
	v_add_co_u32_e32 v0, vcc, 0x1000, v10
	v_addc_co_u32_e32 v1, vcc, 0, v9, vcc
	global_store_dwordx2 v[0:1], v[5:6], off offset:512
	s_endpgm
	.section	.rodata,"a",@progbits
	.p2align	6, 0x0
	.amdhsa_kernel _Z17sort_pairs_kernelI22helper_blocked_stripedxLj192ELj4ELj10EEvPKT0_PS1_
		.amdhsa_group_segment_fixed_size 6336
		.amdhsa_private_segment_fixed_size 0
		.amdhsa_kernarg_size 272
		.amdhsa_user_sgpr_count 6
		.amdhsa_user_sgpr_private_segment_buffer 1
		.amdhsa_user_sgpr_dispatch_ptr 0
		.amdhsa_user_sgpr_queue_ptr 0
		.amdhsa_user_sgpr_kernarg_segment_ptr 1
		.amdhsa_user_sgpr_dispatch_id 0
		.amdhsa_user_sgpr_flat_scratch_init 0
		.amdhsa_user_sgpr_private_segment_size 0
		.amdhsa_uses_dynamic_stack 0
		.amdhsa_system_sgpr_private_segment_wavefront_offset 0
		.amdhsa_system_sgpr_workgroup_id_x 1
		.amdhsa_system_sgpr_workgroup_id_y 0
		.amdhsa_system_sgpr_workgroup_id_z 0
		.amdhsa_system_sgpr_workgroup_info 0
		.amdhsa_system_vgpr_workitem_id 2
		.amdhsa_next_free_vgpr 56
		.amdhsa_next_free_sgpr 61
		.amdhsa_reserve_vcc 1
		.amdhsa_reserve_flat_scratch 0
		.amdhsa_float_round_mode_32 0
		.amdhsa_float_round_mode_16_64 0
		.amdhsa_float_denorm_mode_32 3
		.amdhsa_float_denorm_mode_16_64 3
		.amdhsa_dx10_clamp 1
		.amdhsa_ieee_mode 1
		.amdhsa_fp16_overflow 0
		.amdhsa_exception_fp_ieee_invalid_op 0
		.amdhsa_exception_fp_denorm_src 0
		.amdhsa_exception_fp_ieee_div_zero 0
		.amdhsa_exception_fp_ieee_overflow 0
		.amdhsa_exception_fp_ieee_underflow 0
		.amdhsa_exception_fp_ieee_inexact 0
		.amdhsa_exception_int_div_zero 0
	.end_amdhsa_kernel
	.section	.text._Z17sort_pairs_kernelI22helper_blocked_stripedxLj192ELj4ELj10EEvPKT0_PS1_,"axG",@progbits,_Z17sort_pairs_kernelI22helper_blocked_stripedxLj192ELj4ELj10EEvPKT0_PS1_,comdat
.Lfunc_end309:
	.size	_Z17sort_pairs_kernelI22helper_blocked_stripedxLj192ELj4ELj10EEvPKT0_PS1_, .Lfunc_end309-_Z17sort_pairs_kernelI22helper_blocked_stripedxLj192ELj4ELj10EEvPKT0_PS1_
                                        ; -- End function
	.set _Z17sort_pairs_kernelI22helper_blocked_stripedxLj192ELj4ELj10EEvPKT0_PS1_.num_vgpr, 56
	.set _Z17sort_pairs_kernelI22helper_blocked_stripedxLj192ELj4ELj10EEvPKT0_PS1_.num_agpr, 0
	.set _Z17sort_pairs_kernelI22helper_blocked_stripedxLj192ELj4ELj10EEvPKT0_PS1_.numbered_sgpr, 44
	.set _Z17sort_pairs_kernelI22helper_blocked_stripedxLj192ELj4ELj10EEvPKT0_PS1_.num_named_barrier, 0
	.set _Z17sort_pairs_kernelI22helper_blocked_stripedxLj192ELj4ELj10EEvPKT0_PS1_.private_seg_size, 0
	.set _Z17sort_pairs_kernelI22helper_blocked_stripedxLj192ELj4ELj10EEvPKT0_PS1_.uses_vcc, 1
	.set _Z17sort_pairs_kernelI22helper_blocked_stripedxLj192ELj4ELj10EEvPKT0_PS1_.uses_flat_scratch, 0
	.set _Z17sort_pairs_kernelI22helper_blocked_stripedxLj192ELj4ELj10EEvPKT0_PS1_.has_dyn_sized_stack, 0
	.set _Z17sort_pairs_kernelI22helper_blocked_stripedxLj192ELj4ELj10EEvPKT0_PS1_.has_recursion, 0
	.set _Z17sort_pairs_kernelI22helper_blocked_stripedxLj192ELj4ELj10EEvPKT0_PS1_.has_indirect_call, 0
	.section	.AMDGPU.csdata,"",@progbits
; Kernel info:
; codeLenInByte = 4448
; TotalNumSgprs: 48
; NumVgprs: 56
; ScratchSize: 0
; MemoryBound: 0
; FloatMode: 240
; IeeeMode: 1
; LDSByteSize: 6336 bytes/workgroup (compile time only)
; SGPRBlocks: 8
; VGPRBlocks: 13
; NumSGPRsForWavesPerEU: 65
; NumVGPRsForWavesPerEU: 56
; Occupancy: 4
; WaveLimiterHint : 1
; COMPUTE_PGM_RSRC2:SCRATCH_EN: 0
; COMPUTE_PGM_RSRC2:USER_SGPR: 6
; COMPUTE_PGM_RSRC2:TRAP_HANDLER: 0
; COMPUTE_PGM_RSRC2:TGID_X_EN: 1
; COMPUTE_PGM_RSRC2:TGID_Y_EN: 0
; COMPUTE_PGM_RSRC2:TGID_Z_EN: 0
; COMPUTE_PGM_RSRC2:TIDIG_COMP_CNT: 2
	.section	.text._Z16sort_keys_kernelI22helper_blocked_stripedxLj192ELj8ELj10EEvPKT0_PS1_,"axG",@progbits,_Z16sort_keys_kernelI22helper_blocked_stripedxLj192ELj8ELj10EEvPKT0_PS1_,comdat
	.protected	_Z16sort_keys_kernelI22helper_blocked_stripedxLj192ELj8ELj10EEvPKT0_PS1_ ; -- Begin function _Z16sort_keys_kernelI22helper_blocked_stripedxLj192ELj8ELj10EEvPKT0_PS1_
	.globl	_Z16sort_keys_kernelI22helper_blocked_stripedxLj192ELj8ELj10EEvPKT0_PS1_
	.p2align	8
	.type	_Z16sort_keys_kernelI22helper_blocked_stripedxLj192ELj8ELj10EEvPKT0_PS1_,@function
_Z16sort_keys_kernelI22helper_blocked_stripedxLj192ELj8ELj10EEvPKT0_PS1_: ; @_Z16sort_keys_kernelI22helper_blocked_stripedxLj192ELj8ELj10EEvPKT0_PS1_
; %bb.0:
	s_load_dwordx4 s[28:31], s[4:5], 0x0
	s_load_dword s2, s[4:5], 0x1c
	s_mul_i32 s34, s6, 0x600
	s_mov_b32 s35, 0
	s_lshl_b64 s[36:37], s[34:35], 3
	s_waitcnt lgkmcnt(0)
	s_add_u32 s0, s28, s36
	s_addc_u32 s1, s29, s37
	v_lshlrev_b32_e32 v19, 6, v0
	global_load_dwordx4 v[3:6], v19, s[0:1] offset:48
	global_load_dwordx4 v[7:10], v19, s[0:1] offset:32
	;; [unrolled: 1-line block ×3, first 2 shown]
	global_load_dwordx4 v[15:18], v19, s[0:1]
	v_mbcnt_lo_u32_b32 v19, -1, 0
	v_mbcnt_hi_u32_b32 v19, -1, v19
	v_and_b32_e32 v20, 0xc0, v0
	v_add_u32_e32 v21, v19, v20
	v_lshlrev_b32_e32 v22, 1, v21
	s_movk_i32 s3, 0x600
	v_lshlrev_b32_e32 v36, 3, v0
	v_and_b32_e32 v22, 0x3f8, v22
	v_lshl_add_u32 v37, v21, 6, v22
	v_and_or_b32 v21, v36, s3, v19
	v_lshrrev_b32_e32 v22, 2, v21
	v_and_b32_e32 v22, 0x198, v22
	v_lshlrev_b32_e32 v23, 3, v21
	v_add_u32_e32 v38, v22, v23
	v_add_u32_e32 v22, 64, v21
	v_lshrrev_b32_e32 v22, 2, v22
	v_and_b32_e32 v22, 0x1b8, v22
	v_add_u32_e32 v39, v22, v23
	v_or_b32_e32 v22, 0x80, v21
	v_lshrrev_b32_e32 v22, 2, v22
	v_and_b32_e32 v22, 0x1b8, v22
	v_add_u32_e32 v40, v22, v23
	v_add_u32_e32 v22, 0xc0, v21
	s_lshr_b32 s0, s2, 16
	v_lshrrev_b32_e32 v22, 2, v22
	s_and_b32 s1, s2, 0xffff
	v_mad_u32_u24 v1, v2, s0, v1
	v_and_b32_e32 v22, 0x1f8, v22
	v_mad_u64_u32 v[1:2], s[0:1], v1, s1, v[0:1]
	v_add_u32_e32 v41, v22, v23
	v_or_b32_e32 v22, 0x100, v21
	v_and_b32_e32 v2, 15, v19
	v_lshrrev_b32_e32 v22, 2, v22
	v_cmp_eq_u32_e64 s[0:1], 0, v2
	v_cmp_lt_u32_e64 s[2:3], 1, v2
	v_cmp_lt_u32_e64 s[4:5], 3, v2
	;; [unrolled: 1-line block ×3, first 2 shown]
	v_and_b32_e32 v2, 16, v19
	v_and_b32_e32 v22, 0x1d8, v22
	v_cmp_eq_u32_e64 s[8:9], 0, v2
	v_min_u32_e32 v2, 0x80, v20
	v_add_u32_e32 v42, v22, v23
	v_add_u32_e32 v22, 0x140, v21
	v_or_b32_e32 v2, 63, v2
	v_lshrrev_b32_e32 v22, 2, v22
	v_cmp_eq_u32_e64 s[12:13], v0, v2
	v_subrev_co_u32_e64 v2, s[18:19], 1, v19
	v_and_b32_e32 v20, 64, v19
	v_and_b32_e32 v22, 0x1f8, v22
	v_cmp_lt_i32_e32 vcc, v2, v20
	v_add_u32_e32 v43, v22, v23
	v_or_b32_e32 v22, 0x180, v21
	v_add_u32_e32 v21, 0x1c0, v21
	v_cndmask_b32_e32 v2, v2, v19, vcc
	v_lshrrev_b32_e32 v22, 2, v22
	v_lshrrev_b32_e32 v21, 2, v21
	v_lshlrev_b32_e32 v46, 4, v0
	v_lshlrev_b32_e32 v47, 2, v2
	v_lshrrev_b32_e32 v2, 4, v0
	v_lshrrev_b32_e32 v1, 4, v1
	v_and_b32_e32 v22, 0x1f8, v22
	v_and_b32_e32 v21, 0x3f8, v21
	;; [unrolled: 1-line block ×3, first 2 shown]
	v_mad_i32_i24 v49, v0, -12, v46
	v_and_b32_e32 v2, 3, v19
	v_and_b32_e32 v51, 0xffffffc, v1
	v_lshlrev_b32_e32 v1, 2, v0
	v_add_u32_e32 v44, v22, v23
	v_add_u32_e32 v45, v21, v23
	v_cmp_lt_u32_e64 s[10:11], 31, v19
	v_cmp_gt_u32_e64 s[14:15], 3, v0
	v_cmp_lt_u32_e64 s[16:17], 63, v0
	v_cmp_eq_u32_e64 s[20:21], 0, v0
	v_cmp_eq_u32_e64 s[22:23], 0, v2
	v_cmp_lt_u32_e64 s[24:25], 1, v2
	v_add_u32_e32 v50, -4, v48
	v_mov_b32_e32 v0, 0
	v_add_u32_e32 v52, v49, v1
	v_mov_b32_e32 v53, 12
	s_branch .LBB310_2
.LBB310_1:                              ;   in Loop: Header=BB310_2 Depth=1
	v_lshlrev_b32_e32 v8, 3, v63
	v_lshlrev_b32_e32 v1, 3, v1
	s_barrier
	ds_write_b64 v8, v[18:19]
	ds_write_b64 v1, v[16:17]
	v_lshlrev_b32_e32 v1, 3, v64
	ds_write_b64 v1, v[14:15]
	v_lshlrev_b32_e32 v1, 3, v61
	;; [unrolled: 2-line block ×6, first 2 shown]
	ds_write_b64 v1, v[2:3]
	s_waitcnt lgkmcnt(0)
	s_barrier
	ds_read2st64_b64 v[15:18], v52 offset1:3
	ds_read2st64_b64 v[11:14], v52 offset0:6 offset1:9
	ds_read2st64_b64 v[7:10], v52 offset0:12 offset1:15
	;; [unrolled: 1-line block ×3, first 2 shown]
	s_add_i32 s35, s35, 1
	s_waitcnt lgkmcnt(3)
	v_xor_b32_e32 v16, 0x80000000, v16
	v_xor_b32_e32 v18, 0x80000000, v18
	s_waitcnt lgkmcnt(2)
	v_xor_b32_e32 v12, 0x80000000, v12
	v_xor_b32_e32 v14, 0x80000000, v14
	;; [unrolled: 3-line block ×3, first 2 shown]
	s_waitcnt lgkmcnt(0)
	v_xor_b32_e32 v4, 0x80000000, v4
	s_cmp_eq_u32 s35, 10
	v_xor_b32_e32 v6, 0x80000000, v6
	s_cbranch_scc1 .LBB310_28
.LBB310_2:                              ; =>This Loop Header: Depth=1
                                        ;     Child Loop BB310_4 Depth 2
	s_waitcnt vmcnt(0)
	v_xor_b32_e32 v16, 0x80000000, v16
	v_xor_b32_e32 v18, 0x80000000, v18
	v_xor_b32_e32 v12, 0x80000000, v12
	v_xor_b32_e32 v14, 0x80000000, v14
	v_xor_b32_e32 v8, 0x80000000, v8
	v_xor_b32_e32 v10, 0x80000000, v10
	v_xor_b32_e32 v4, 0x80000000, v4
	v_xor_b32_e32 v6, 0x80000000, v6
	ds_write2_b64 v37, v[15:16], v[17:18] offset1:1
	ds_write2_b64 v37, v[11:12], v[13:14] offset0:2 offset1:3
	ds_write2_b64 v37, v[7:8], v[9:10] offset0:4 offset1:5
	ds_write2_b64 v37, v[3:4], v[5:6] offset0:6 offset1:7
	; wave barrier
	ds_read_b64 v[20:21], v38
	ds_read_b64 v[22:23], v39 offset:512
	ds_read_b64 v[24:25], v40 offset:1024
	;; [unrolled: 1-line block ×7, first 2 shown]
	v_mov_b32_e32 v8, 0
	v_mov_b32_e32 v9, 0
	s_waitcnt lgkmcnt(0)
	s_barrier
	; wave barrier
	s_barrier
	s_branch .LBB310_4
.LBB310_3:                              ;   in Loop: Header=BB310_4 Depth=2
	s_andn2_b64 vcc, exec, s[26:27]
	s_cbranch_vccz .LBB310_1
.LBB310_4:                              ;   Parent Loop BB310_2 Depth=1
                                        ; =>  This Inner Loop Header: Depth=2
	v_mov_b32_e32 v18, v20
	v_mov_b32_e32 v19, v21
	v_lshrrev_b64 v[20:21], v8, v[18:19]
	v_mov_b32_e32 v16, v22
	v_and_b32_e32 v1, 1, v20
	v_add_co_u32_e32 v21, vcc, -1, v1
	v_mov_b32_e32 v17, v23
	v_addc_co_u32_e64 v23, s[26:27], 0, -1, vcc
	v_cmp_ne_u32_e32 vcc, 0, v1
	v_xor_b32_e32 v1, vcc_hi, v23
	v_and_b32_e32 v23, exec_hi, v1
	v_lshlrev_b32_e32 v1, 30, v20
	v_xor_b32_e32 v21, vcc_lo, v21
	v_cmp_gt_i64_e32 vcc, 0, v[0:1]
	v_not_b32_e32 v1, v1
	v_mov_b32_e32 v14, v24
	v_ashrrev_i32_e32 v1, 31, v1
	v_mov_b32_e32 v15, v25
	v_and_b32_e32 v21, exec_lo, v21
	v_xor_b32_e32 v24, vcc_hi, v1
	v_xor_b32_e32 v1, vcc_lo, v1
	v_and_b32_e32 v21, v21, v1
	v_lshlrev_b32_e32 v1, 29, v20
	v_cmp_gt_i64_e32 vcc, 0, v[0:1]
	v_not_b32_e32 v1, v1
	v_ashrrev_i32_e32 v1, 31, v1
	v_and_b32_e32 v23, v23, v24
	v_xor_b32_e32 v24, vcc_hi, v1
	v_xor_b32_e32 v1, vcc_lo, v1
	v_and_b32_e32 v21, v21, v1
	v_lshlrev_b32_e32 v1, 28, v20
	v_cmp_gt_i64_e32 vcc, 0, v[0:1]
	v_not_b32_e32 v1, v1
	v_ashrrev_i32_e32 v1, 31, v1
	v_and_b32_e32 v23, v23, v24
	;; [unrolled: 8-line block ×5, first 2 shown]
	v_xor_b32_e32 v24, vcc_hi, v1
	v_xor_b32_e32 v1, vcc_lo, v1
	v_and_b32_e32 v23, v23, v24
	v_and_b32_e32 v24, v21, v1
	v_lshlrev_b32_e32 v1, 24, v20
	v_cmp_gt_i64_e32 vcc, 0, v[0:1]
	v_not_b32_e32 v1, v1
	v_ashrrev_i32_e32 v1, 31, v1
	v_mul_u32_u24_sdwa v22, v20, v53 dst_sel:DWORD dst_unused:UNUSED_PAD src0_sel:BYTE_0 src1_sel:DWORD
	v_xor_b32_e32 v20, vcc_hi, v1
	v_xor_b32_e32 v1, vcc_lo, v1
	v_and_b32_e32 v21, v23, v20
	v_and_b32_e32 v20, v24, v1
	v_mbcnt_lo_u32_b32 v1, v20, 0
	v_mbcnt_hi_u32_b32 v24, v21, v1
	v_cmp_ne_u64_e32 vcc, 0, v[20:21]
	v_mov_b32_e32 v2, v34
	v_mov_b32_e32 v4, v32
	;; [unrolled: 1-line block ×5, first 2 shown]
	v_cmp_eq_u32_e64 s[26:27], 0, v24
	v_mov_b32_e32 v3, v35
	v_mov_b32_e32 v5, v33
	;; [unrolled: 1-line block ×5, first 2 shown]
	s_and_b64 s[28:29], vcc, s[26:27]
	v_add_u32_e32 v25, v51, v22
	ds_write2_b32 v46, v0, v0 offset0:3 offset1:4
	ds_write2_b32 v46, v0, v0 offset0:5 offset1:6
	s_waitcnt lgkmcnt(0)
	s_barrier
	; wave barrier
	s_and_saveexec_b64 s[26:27], s[28:29]
; %bb.5:                                ;   in Loop: Header=BB310_4 Depth=2
	v_bcnt_u32_b32 v1, v20, 0
	v_bcnt_u32_b32 v1, v21, v1
	ds_write_b32 v25, v1 offset:12
; %bb.6:                                ;   in Loop: Header=BB310_4 Depth=2
	s_or_b64 exec, exec, s[26:27]
	v_lshrrev_b64 v[20:21], v8, v[16:17]
	v_and_b32_e32 v1, 0xff, v20
	v_mul_u32_u24_e32 v22, 12, v1
	v_mad_u32_u24 v1, v1, 12, v51
	; wave barrier
	ds_read_b32 v26, v1 offset:12
	v_and_b32_e32 v1, 1, v20
	v_add_co_u32_e32 v21, vcc, -1, v1
	v_addc_co_u32_e64 v23, s[26:27], 0, -1, vcc
	v_cmp_ne_u32_e32 vcc, 0, v1
	v_xor_b32_e32 v1, vcc_hi, v23
	v_and_b32_e32 v23, exec_hi, v1
	v_lshlrev_b32_e32 v1, 30, v20
	v_xor_b32_e32 v21, vcc_lo, v21
	v_cmp_gt_i64_e32 vcc, 0, v[0:1]
	v_not_b32_e32 v1, v1
	v_ashrrev_i32_e32 v1, 31, v1
	v_and_b32_e32 v21, exec_lo, v21
	v_xor_b32_e32 v27, vcc_hi, v1
	v_xor_b32_e32 v1, vcc_lo, v1
	v_and_b32_e32 v21, v21, v1
	v_lshlrev_b32_e32 v1, 29, v20
	v_cmp_gt_i64_e32 vcc, 0, v[0:1]
	v_not_b32_e32 v1, v1
	v_ashrrev_i32_e32 v1, 31, v1
	v_and_b32_e32 v23, v23, v27
	v_xor_b32_e32 v27, vcc_hi, v1
	v_xor_b32_e32 v1, vcc_lo, v1
	v_and_b32_e32 v21, v21, v1
	v_lshlrev_b32_e32 v1, 28, v20
	v_cmp_gt_i64_e32 vcc, 0, v[0:1]
	v_not_b32_e32 v1, v1
	v_ashrrev_i32_e32 v1, 31, v1
	v_and_b32_e32 v23, v23, v27
	;; [unrolled: 8-line block ×5, first 2 shown]
	v_xor_b32_e32 v27, vcc_hi, v1
	v_xor_b32_e32 v1, vcc_lo, v1
	v_and_b32_e32 v23, v23, v27
	v_and_b32_e32 v27, v21, v1
	v_lshlrev_b32_e32 v1, 24, v20
	v_cmp_gt_i64_e32 vcc, 0, v[0:1]
	v_not_b32_e32 v1, v1
	v_ashrrev_i32_e32 v1, 31, v1
	v_xor_b32_e32 v20, vcc_hi, v1
	v_xor_b32_e32 v1, vcc_lo, v1
	v_and_b32_e32 v21, v23, v20
	v_and_b32_e32 v20, v27, v1
	v_mbcnt_lo_u32_b32 v1, v20, 0
	v_mbcnt_hi_u32_b32 v27, v21, v1
	v_cmp_ne_u64_e32 vcc, 0, v[20:21]
	v_cmp_eq_u32_e64 s[26:27], 0, v27
	s_and_b64 s[28:29], vcc, s[26:27]
	v_add_u32_e32 v28, v51, v22
	; wave barrier
	s_and_saveexec_b64 s[26:27], s[28:29]
	s_cbranch_execz .LBB310_8
; %bb.7:                                ;   in Loop: Header=BB310_4 Depth=2
	v_bcnt_u32_b32 v1, v20, 0
	v_bcnt_u32_b32 v1, v21, v1
	s_waitcnt lgkmcnt(0)
	v_add_u32_e32 v1, v26, v1
	ds_write_b32 v28, v1 offset:12
.LBB310_8:                              ;   in Loop: Header=BB310_4 Depth=2
	s_or_b64 exec, exec, s[26:27]
	v_lshrrev_b64 v[20:21], v8, v[14:15]
	v_and_b32_e32 v1, 0xff, v20
	v_mul_u32_u24_e32 v22, 12, v1
	v_mad_u32_u24 v1, v1, 12, v51
	; wave barrier
	ds_read_b32 v29, v1 offset:12
	v_and_b32_e32 v1, 1, v20
	v_add_co_u32_e32 v21, vcc, -1, v1
	v_addc_co_u32_e64 v23, s[26:27], 0, -1, vcc
	v_cmp_ne_u32_e32 vcc, 0, v1
	v_xor_b32_e32 v1, vcc_hi, v23
	v_and_b32_e32 v23, exec_hi, v1
	v_lshlrev_b32_e32 v1, 30, v20
	v_xor_b32_e32 v21, vcc_lo, v21
	v_cmp_gt_i64_e32 vcc, 0, v[0:1]
	v_not_b32_e32 v1, v1
	v_ashrrev_i32_e32 v1, 31, v1
	v_and_b32_e32 v21, exec_lo, v21
	v_xor_b32_e32 v30, vcc_hi, v1
	v_xor_b32_e32 v1, vcc_lo, v1
	v_and_b32_e32 v21, v21, v1
	v_lshlrev_b32_e32 v1, 29, v20
	v_cmp_gt_i64_e32 vcc, 0, v[0:1]
	v_not_b32_e32 v1, v1
	v_ashrrev_i32_e32 v1, 31, v1
	v_and_b32_e32 v23, v23, v30
	v_xor_b32_e32 v30, vcc_hi, v1
	v_xor_b32_e32 v1, vcc_lo, v1
	v_and_b32_e32 v21, v21, v1
	v_lshlrev_b32_e32 v1, 28, v20
	v_cmp_gt_i64_e32 vcc, 0, v[0:1]
	v_not_b32_e32 v1, v1
	v_ashrrev_i32_e32 v1, 31, v1
	v_and_b32_e32 v23, v23, v30
	;; [unrolled: 8-line block ×5, first 2 shown]
	v_xor_b32_e32 v30, vcc_hi, v1
	v_xor_b32_e32 v1, vcc_lo, v1
	v_and_b32_e32 v23, v23, v30
	v_and_b32_e32 v30, v21, v1
	v_lshlrev_b32_e32 v1, 24, v20
	v_cmp_gt_i64_e32 vcc, 0, v[0:1]
	v_not_b32_e32 v1, v1
	v_ashrrev_i32_e32 v1, 31, v1
	v_xor_b32_e32 v20, vcc_hi, v1
	v_xor_b32_e32 v1, vcc_lo, v1
	v_and_b32_e32 v21, v23, v20
	v_and_b32_e32 v20, v30, v1
	v_mbcnt_lo_u32_b32 v1, v20, 0
	v_mbcnt_hi_u32_b32 v30, v21, v1
	v_cmp_ne_u64_e32 vcc, 0, v[20:21]
	v_cmp_eq_u32_e64 s[26:27], 0, v30
	s_and_b64 s[28:29], vcc, s[26:27]
	v_add_u32_e32 v31, v51, v22
	; wave barrier
	s_and_saveexec_b64 s[26:27], s[28:29]
	s_cbranch_execz .LBB310_10
; %bb.9:                                ;   in Loop: Header=BB310_4 Depth=2
	v_bcnt_u32_b32 v1, v20, 0
	v_bcnt_u32_b32 v1, v21, v1
	s_waitcnt lgkmcnt(0)
	v_add_u32_e32 v1, v29, v1
	ds_write_b32 v31, v1 offset:12
.LBB310_10:                             ;   in Loop: Header=BB310_4 Depth=2
	s_or_b64 exec, exec, s[26:27]
	v_lshrrev_b64 v[20:21], v8, v[12:13]
	v_and_b32_e32 v1, 0xff, v20
	v_mul_u32_u24_e32 v22, 12, v1
	v_mad_u32_u24 v1, v1, 12, v51
	; wave barrier
	ds_read_b32 v32, v1 offset:12
	v_and_b32_e32 v1, 1, v20
	v_add_co_u32_e32 v21, vcc, -1, v1
	v_addc_co_u32_e64 v23, s[26:27], 0, -1, vcc
	v_cmp_ne_u32_e32 vcc, 0, v1
	v_xor_b32_e32 v1, vcc_hi, v23
	v_and_b32_e32 v23, exec_hi, v1
	v_lshlrev_b32_e32 v1, 30, v20
	v_xor_b32_e32 v21, vcc_lo, v21
	v_cmp_gt_i64_e32 vcc, 0, v[0:1]
	v_not_b32_e32 v1, v1
	v_ashrrev_i32_e32 v1, 31, v1
	v_and_b32_e32 v21, exec_lo, v21
	v_xor_b32_e32 v33, vcc_hi, v1
	v_xor_b32_e32 v1, vcc_lo, v1
	v_and_b32_e32 v21, v21, v1
	v_lshlrev_b32_e32 v1, 29, v20
	v_cmp_gt_i64_e32 vcc, 0, v[0:1]
	v_not_b32_e32 v1, v1
	v_ashrrev_i32_e32 v1, 31, v1
	v_and_b32_e32 v23, v23, v33
	v_xor_b32_e32 v33, vcc_hi, v1
	v_xor_b32_e32 v1, vcc_lo, v1
	v_and_b32_e32 v21, v21, v1
	v_lshlrev_b32_e32 v1, 28, v20
	v_cmp_gt_i64_e32 vcc, 0, v[0:1]
	v_not_b32_e32 v1, v1
	v_ashrrev_i32_e32 v1, 31, v1
	v_and_b32_e32 v23, v23, v33
	;; [unrolled: 8-line block ×5, first 2 shown]
	v_xor_b32_e32 v33, vcc_hi, v1
	v_xor_b32_e32 v1, vcc_lo, v1
	v_and_b32_e32 v23, v23, v33
	v_and_b32_e32 v33, v21, v1
	v_lshlrev_b32_e32 v1, 24, v20
	v_cmp_gt_i64_e32 vcc, 0, v[0:1]
	v_not_b32_e32 v1, v1
	v_ashrrev_i32_e32 v1, 31, v1
	v_xor_b32_e32 v20, vcc_hi, v1
	v_xor_b32_e32 v1, vcc_lo, v1
	v_and_b32_e32 v21, v23, v20
	v_and_b32_e32 v20, v33, v1
	v_mbcnt_lo_u32_b32 v1, v20, 0
	v_mbcnt_hi_u32_b32 v33, v21, v1
	v_cmp_ne_u64_e32 vcc, 0, v[20:21]
	v_cmp_eq_u32_e64 s[26:27], 0, v33
	s_and_b64 s[28:29], vcc, s[26:27]
	v_add_u32_e32 v34, v51, v22
	; wave barrier
	s_and_saveexec_b64 s[26:27], s[28:29]
	s_cbranch_execz .LBB310_12
; %bb.11:                               ;   in Loop: Header=BB310_4 Depth=2
	v_bcnt_u32_b32 v1, v20, 0
	v_bcnt_u32_b32 v1, v21, v1
	s_waitcnt lgkmcnt(0)
	v_add_u32_e32 v1, v32, v1
	ds_write_b32 v34, v1 offset:12
.LBB310_12:                             ;   in Loop: Header=BB310_4 Depth=2
	s_or_b64 exec, exec, s[26:27]
	v_lshrrev_b64 v[20:21], v8, v[10:11]
	v_and_b32_e32 v1, 0xff, v20
	v_mul_u32_u24_e32 v22, 12, v1
	v_mad_u32_u24 v1, v1, 12, v51
	; wave barrier
	ds_read_b32 v35, v1 offset:12
	v_and_b32_e32 v1, 1, v20
	v_add_co_u32_e32 v21, vcc, -1, v1
	v_addc_co_u32_e64 v23, s[26:27], 0, -1, vcc
	v_cmp_ne_u32_e32 vcc, 0, v1
	v_xor_b32_e32 v1, vcc_hi, v23
	v_and_b32_e32 v23, exec_hi, v1
	v_lshlrev_b32_e32 v1, 30, v20
	v_xor_b32_e32 v21, vcc_lo, v21
	v_cmp_gt_i64_e32 vcc, 0, v[0:1]
	v_not_b32_e32 v1, v1
	v_ashrrev_i32_e32 v1, 31, v1
	v_and_b32_e32 v21, exec_lo, v21
	v_xor_b32_e32 v54, vcc_hi, v1
	v_xor_b32_e32 v1, vcc_lo, v1
	v_and_b32_e32 v21, v21, v1
	v_lshlrev_b32_e32 v1, 29, v20
	v_cmp_gt_i64_e32 vcc, 0, v[0:1]
	v_not_b32_e32 v1, v1
	v_ashrrev_i32_e32 v1, 31, v1
	v_and_b32_e32 v23, v23, v54
	v_xor_b32_e32 v54, vcc_hi, v1
	v_xor_b32_e32 v1, vcc_lo, v1
	v_and_b32_e32 v21, v21, v1
	v_lshlrev_b32_e32 v1, 28, v20
	v_cmp_gt_i64_e32 vcc, 0, v[0:1]
	v_not_b32_e32 v1, v1
	v_ashrrev_i32_e32 v1, 31, v1
	v_and_b32_e32 v23, v23, v54
	;; [unrolled: 8-line block ×5, first 2 shown]
	v_xor_b32_e32 v54, vcc_hi, v1
	v_xor_b32_e32 v1, vcc_lo, v1
	v_and_b32_e32 v23, v23, v54
	v_and_b32_e32 v54, v21, v1
	v_lshlrev_b32_e32 v1, 24, v20
	v_cmp_gt_i64_e32 vcc, 0, v[0:1]
	v_not_b32_e32 v1, v1
	v_ashrrev_i32_e32 v1, 31, v1
	v_xor_b32_e32 v20, vcc_hi, v1
	v_xor_b32_e32 v1, vcc_lo, v1
	v_and_b32_e32 v21, v23, v20
	v_and_b32_e32 v20, v54, v1
	v_mbcnt_lo_u32_b32 v1, v20, 0
	v_mbcnt_hi_u32_b32 v54, v21, v1
	v_cmp_ne_u64_e32 vcc, 0, v[20:21]
	v_cmp_eq_u32_e64 s[26:27], 0, v54
	s_and_b64 s[28:29], vcc, s[26:27]
	v_add_u32_e32 v55, v51, v22
	; wave barrier
	s_and_saveexec_b64 s[26:27], s[28:29]
	s_cbranch_execz .LBB310_14
; %bb.13:                               ;   in Loop: Header=BB310_4 Depth=2
	v_bcnt_u32_b32 v1, v20, 0
	v_bcnt_u32_b32 v1, v21, v1
	s_waitcnt lgkmcnt(0)
	v_add_u32_e32 v1, v35, v1
	ds_write_b32 v55, v1 offset:12
.LBB310_14:                             ;   in Loop: Header=BB310_4 Depth=2
	s_or_b64 exec, exec, s[26:27]
	v_lshrrev_b64 v[20:21], v8, v[6:7]
	v_and_b32_e32 v1, 0xff, v20
	v_mul_u32_u24_e32 v22, 12, v1
	v_mad_u32_u24 v1, v1, 12, v51
	; wave barrier
	ds_read_b32 v56, v1 offset:12
	v_and_b32_e32 v1, 1, v20
	v_add_co_u32_e32 v21, vcc, -1, v1
	v_addc_co_u32_e64 v23, s[26:27], 0, -1, vcc
	v_cmp_ne_u32_e32 vcc, 0, v1
	v_xor_b32_e32 v1, vcc_hi, v23
	v_and_b32_e32 v23, exec_hi, v1
	v_lshlrev_b32_e32 v1, 30, v20
	v_xor_b32_e32 v21, vcc_lo, v21
	v_cmp_gt_i64_e32 vcc, 0, v[0:1]
	v_not_b32_e32 v1, v1
	v_ashrrev_i32_e32 v1, 31, v1
	v_and_b32_e32 v21, exec_lo, v21
	v_xor_b32_e32 v57, vcc_hi, v1
	v_xor_b32_e32 v1, vcc_lo, v1
	v_and_b32_e32 v21, v21, v1
	v_lshlrev_b32_e32 v1, 29, v20
	v_cmp_gt_i64_e32 vcc, 0, v[0:1]
	v_not_b32_e32 v1, v1
	v_ashrrev_i32_e32 v1, 31, v1
	v_and_b32_e32 v23, v23, v57
	v_xor_b32_e32 v57, vcc_hi, v1
	v_xor_b32_e32 v1, vcc_lo, v1
	v_and_b32_e32 v21, v21, v1
	v_lshlrev_b32_e32 v1, 28, v20
	v_cmp_gt_i64_e32 vcc, 0, v[0:1]
	v_not_b32_e32 v1, v1
	v_ashrrev_i32_e32 v1, 31, v1
	v_and_b32_e32 v23, v23, v57
	;; [unrolled: 8-line block ×5, first 2 shown]
	v_xor_b32_e32 v57, vcc_hi, v1
	v_xor_b32_e32 v1, vcc_lo, v1
	v_and_b32_e32 v23, v23, v57
	v_and_b32_e32 v57, v21, v1
	v_lshlrev_b32_e32 v1, 24, v20
	v_cmp_gt_i64_e32 vcc, 0, v[0:1]
	v_not_b32_e32 v1, v1
	v_ashrrev_i32_e32 v1, 31, v1
	v_xor_b32_e32 v20, vcc_hi, v1
	v_xor_b32_e32 v1, vcc_lo, v1
	v_and_b32_e32 v21, v23, v20
	v_and_b32_e32 v20, v57, v1
	v_mbcnt_lo_u32_b32 v1, v20, 0
	v_mbcnt_hi_u32_b32 v57, v21, v1
	v_cmp_ne_u64_e32 vcc, 0, v[20:21]
	v_cmp_eq_u32_e64 s[26:27], 0, v57
	s_and_b64 s[28:29], vcc, s[26:27]
	v_add_u32_e32 v58, v51, v22
	; wave barrier
	s_and_saveexec_b64 s[26:27], s[28:29]
	s_cbranch_execz .LBB310_16
; %bb.15:                               ;   in Loop: Header=BB310_4 Depth=2
	v_bcnt_u32_b32 v1, v20, 0
	v_bcnt_u32_b32 v1, v21, v1
	s_waitcnt lgkmcnt(0)
	v_add_u32_e32 v1, v56, v1
	ds_write_b32 v58, v1 offset:12
.LBB310_16:                             ;   in Loop: Header=BB310_4 Depth=2
	s_or_b64 exec, exec, s[26:27]
	v_lshrrev_b64 v[20:21], v8, v[4:5]
	v_and_b32_e32 v1, 0xff, v20
	v_mul_u32_u24_e32 v22, 12, v1
	v_mad_u32_u24 v1, v1, 12, v51
	; wave barrier
	ds_read_b32 v59, v1 offset:12
	v_and_b32_e32 v1, 1, v20
	v_add_co_u32_e32 v21, vcc, -1, v1
	v_addc_co_u32_e64 v23, s[26:27], 0, -1, vcc
	v_cmp_ne_u32_e32 vcc, 0, v1
	v_xor_b32_e32 v1, vcc_hi, v23
	v_and_b32_e32 v23, exec_hi, v1
	v_lshlrev_b32_e32 v1, 30, v20
	v_xor_b32_e32 v21, vcc_lo, v21
	v_cmp_gt_i64_e32 vcc, 0, v[0:1]
	v_not_b32_e32 v1, v1
	v_ashrrev_i32_e32 v1, 31, v1
	v_and_b32_e32 v21, exec_lo, v21
	v_xor_b32_e32 v60, vcc_hi, v1
	v_xor_b32_e32 v1, vcc_lo, v1
	v_and_b32_e32 v21, v21, v1
	v_lshlrev_b32_e32 v1, 29, v20
	v_cmp_gt_i64_e32 vcc, 0, v[0:1]
	v_not_b32_e32 v1, v1
	v_ashrrev_i32_e32 v1, 31, v1
	v_and_b32_e32 v23, v23, v60
	v_xor_b32_e32 v60, vcc_hi, v1
	v_xor_b32_e32 v1, vcc_lo, v1
	v_and_b32_e32 v21, v21, v1
	v_lshlrev_b32_e32 v1, 28, v20
	v_cmp_gt_i64_e32 vcc, 0, v[0:1]
	v_not_b32_e32 v1, v1
	v_ashrrev_i32_e32 v1, 31, v1
	v_and_b32_e32 v23, v23, v60
	;; [unrolled: 8-line block ×5, first 2 shown]
	v_xor_b32_e32 v60, vcc_hi, v1
	v_xor_b32_e32 v1, vcc_lo, v1
	v_and_b32_e32 v23, v23, v60
	v_and_b32_e32 v60, v21, v1
	v_lshlrev_b32_e32 v1, 24, v20
	v_cmp_gt_i64_e32 vcc, 0, v[0:1]
	v_not_b32_e32 v1, v1
	v_ashrrev_i32_e32 v1, 31, v1
	v_xor_b32_e32 v20, vcc_hi, v1
	v_xor_b32_e32 v1, vcc_lo, v1
	v_and_b32_e32 v21, v23, v20
	v_and_b32_e32 v20, v60, v1
	v_mbcnt_lo_u32_b32 v1, v20, 0
	v_mbcnt_hi_u32_b32 v60, v21, v1
	v_cmp_ne_u64_e32 vcc, 0, v[20:21]
	v_cmp_eq_u32_e64 s[26:27], 0, v60
	s_and_b64 s[28:29], vcc, s[26:27]
	v_add_u32_e32 v61, v51, v22
	; wave barrier
	s_and_saveexec_b64 s[26:27], s[28:29]
	s_cbranch_execz .LBB310_18
; %bb.17:                               ;   in Loop: Header=BB310_4 Depth=2
	v_bcnt_u32_b32 v1, v20, 0
	v_bcnt_u32_b32 v1, v21, v1
	s_waitcnt lgkmcnt(0)
	v_add_u32_e32 v1, v59, v1
	ds_write_b32 v61, v1 offset:12
.LBB310_18:                             ;   in Loop: Header=BB310_4 Depth=2
	s_or_b64 exec, exec, s[26:27]
	v_lshrrev_b64 v[20:21], v8, v[2:3]
	v_and_b32_e32 v1, 0xff, v20
	v_mul_u32_u24_e32 v22, 12, v1
	v_mad_u32_u24 v1, v1, 12, v51
	; wave barrier
	ds_read_b32 v62, v1 offset:12
	v_and_b32_e32 v1, 1, v20
	v_add_co_u32_e32 v21, vcc, -1, v1
	v_addc_co_u32_e64 v23, s[26:27], 0, -1, vcc
	v_cmp_ne_u32_e32 vcc, 0, v1
	v_xor_b32_e32 v1, vcc_hi, v23
	v_and_b32_e32 v23, exec_hi, v1
	v_lshlrev_b32_e32 v1, 30, v20
	v_xor_b32_e32 v21, vcc_lo, v21
	v_cmp_gt_i64_e32 vcc, 0, v[0:1]
	v_not_b32_e32 v1, v1
	v_ashrrev_i32_e32 v1, 31, v1
	v_and_b32_e32 v21, exec_lo, v21
	v_xor_b32_e32 v63, vcc_hi, v1
	v_xor_b32_e32 v1, vcc_lo, v1
	v_and_b32_e32 v21, v21, v1
	v_lshlrev_b32_e32 v1, 29, v20
	v_cmp_gt_i64_e32 vcc, 0, v[0:1]
	v_not_b32_e32 v1, v1
	v_ashrrev_i32_e32 v1, 31, v1
	v_and_b32_e32 v23, v23, v63
	v_xor_b32_e32 v63, vcc_hi, v1
	v_xor_b32_e32 v1, vcc_lo, v1
	v_and_b32_e32 v21, v21, v1
	v_lshlrev_b32_e32 v1, 28, v20
	v_cmp_gt_i64_e32 vcc, 0, v[0:1]
	v_not_b32_e32 v1, v1
	v_ashrrev_i32_e32 v1, 31, v1
	v_and_b32_e32 v23, v23, v63
	;; [unrolled: 8-line block ×5, first 2 shown]
	v_xor_b32_e32 v63, vcc_hi, v1
	v_xor_b32_e32 v1, vcc_lo, v1
	v_and_b32_e32 v23, v23, v63
	v_and_b32_e32 v63, v21, v1
	v_lshlrev_b32_e32 v1, 24, v20
	v_cmp_gt_i64_e32 vcc, 0, v[0:1]
	v_not_b32_e32 v1, v1
	v_ashrrev_i32_e32 v1, 31, v1
	v_xor_b32_e32 v20, vcc_hi, v1
	v_xor_b32_e32 v1, vcc_lo, v1
	v_and_b32_e32 v21, v23, v20
	v_and_b32_e32 v20, v63, v1
	v_mbcnt_lo_u32_b32 v1, v20, 0
	v_mbcnt_hi_u32_b32 v65, v21, v1
	v_cmp_ne_u64_e32 vcc, 0, v[20:21]
	v_cmp_eq_u32_e64 s[26:27], 0, v65
	s_and_b64 s[28:29], vcc, s[26:27]
	v_add_u32_e32 v66, v51, v22
	; wave barrier
	s_and_saveexec_b64 s[26:27], s[28:29]
	s_cbranch_execz .LBB310_20
; %bb.19:                               ;   in Loop: Header=BB310_4 Depth=2
	v_bcnt_u32_b32 v1, v20, 0
	v_bcnt_u32_b32 v1, v21, v1
	s_waitcnt lgkmcnt(0)
	v_add_u32_e32 v1, v62, v1
	ds_write_b32 v66, v1 offset:12
.LBB310_20:                             ;   in Loop: Header=BB310_4 Depth=2
	s_or_b64 exec, exec, s[26:27]
	; wave barrier
	s_waitcnt lgkmcnt(0)
	s_barrier
	ds_read2_b32 v[22:23], v46 offset0:3 offset1:4
	ds_read2_b32 v[20:21], v46 offset0:5 offset1:6
	s_waitcnt lgkmcnt(1)
	v_add_u32_e32 v1, v23, v22
	s_waitcnt lgkmcnt(0)
	v_add3_u32 v1, v1, v20, v21
	s_nop 1
	v_mov_b32_dpp v21, v1 row_shr:1 row_mask:0xf bank_mask:0xf
	v_cndmask_b32_e64 v21, v21, 0, s[0:1]
	v_add_u32_e32 v1, v21, v1
	s_nop 1
	v_mov_b32_dpp v21, v1 row_shr:2 row_mask:0xf bank_mask:0xf
	v_cndmask_b32_e64 v21, 0, v21, s[2:3]
	v_add_u32_e32 v1, v1, v21
	;; [unrolled: 4-line block ×4, first 2 shown]
	s_nop 1
	v_mov_b32_dpp v21, v1 row_bcast:15 row_mask:0xf bank_mask:0xf
	v_cndmask_b32_e64 v21, v21, 0, s[8:9]
	v_add_u32_e32 v1, v1, v21
	s_nop 1
	v_mov_b32_dpp v21, v1 row_bcast:31 row_mask:0xf bank_mask:0xf
	v_cndmask_b32_e64 v21, 0, v21, s[10:11]
	v_add_u32_e32 v1, v1, v21
	s_and_saveexec_b64 s[26:27], s[12:13]
; %bb.21:                               ;   in Loop: Header=BB310_4 Depth=2
	ds_write_b32 v48, v1
; %bb.22:                               ;   in Loop: Header=BB310_4 Depth=2
	s_or_b64 exec, exec, s[26:27]
	s_waitcnt lgkmcnt(0)
	s_barrier
	s_and_saveexec_b64 s[26:27], s[14:15]
	s_cbranch_execz .LBB310_24
; %bb.23:                               ;   in Loop: Header=BB310_4 Depth=2
	ds_read_b32 v21, v49
	s_waitcnt lgkmcnt(0)
	s_nop 0
	v_mov_b32_dpp v63, v21 row_shr:1 row_mask:0xf bank_mask:0xf
	v_cndmask_b32_e64 v63, v63, 0, s[22:23]
	v_add_u32_e32 v21, v63, v21
	s_nop 1
	v_mov_b32_dpp v63, v21 row_shr:2 row_mask:0xf bank_mask:0xf
	v_cndmask_b32_e64 v63, 0, v63, s[24:25]
	v_add_u32_e32 v21, v21, v63
	ds_write_b32 v49, v21
.LBB310_24:                             ;   in Loop: Header=BB310_4 Depth=2
	s_or_b64 exec, exec, s[26:27]
	v_mov_b32_e32 v21, 0
	s_waitcnt lgkmcnt(0)
	s_barrier
	s_and_saveexec_b64 s[26:27], s[16:17]
; %bb.25:                               ;   in Loop: Header=BB310_4 Depth=2
	ds_read_b32 v21, v50
; %bb.26:                               ;   in Loop: Header=BB310_4 Depth=2
	s_or_b64 exec, exec, s[26:27]
	s_waitcnt lgkmcnt(0)
	v_add_u32_e32 v1, v21, v1
	ds_bpermute_b32 v1, v47, v1
	v_cmp_lt_u32_e32 vcc, 55, v8
	s_and_b64 vcc, exec, vcc
	s_mov_b64 s[26:27], -1
	s_waitcnt lgkmcnt(0)
	v_cndmask_b32_e64 v1, v1, v21, s[18:19]
	v_cndmask_b32_e64 v1, v1, 0, s[20:21]
	v_add_u32_e32 v21, v1, v22
	v_add_u32_e32 v22, v21, v23
	ds_write2_b32 v46, v1, v21 offset0:3 offset1:4
	v_add_u32_e32 v1, v22, v20
	ds_write2_b32 v46, v22, v1 offset0:5 offset1:6
	s_waitcnt lgkmcnt(0)
	s_barrier
	ds_read_b32 v1, v25 offset:12
	ds_read_b32 v20, v28 offset:12
	;; [unrolled: 1-line block ×3, first 2 shown]
	s_waitcnt lgkmcnt(2)
	v_add_u32_e32 v63, v1, v24
	s_waitcnt lgkmcnt(1)
	v_add3_u32 v1, v27, v26, v20
	ds_read_b32 v20, v34 offset:12
	s_waitcnt lgkmcnt(1)
	v_add3_u32 v64, v30, v29, v21
	ds_read_b32 v21, v55 offset:12
	ds_read_b32 v22, v58 offset:12
	ds_read_b32 v23, v61 offset:12
	ds_read_b32 v24, v66 offset:12
                                        ; implicit-def: $vgpr30_vgpr31
                                        ; implicit-def: $vgpr28_vgpr29
                                        ; implicit-def: $vgpr26_vgpr27
	s_waitcnt lgkmcnt(3)
	v_add3_u32 v58, v54, v35, v21
	v_add3_u32 v61, v33, v32, v20
	s_waitcnt lgkmcnt(2)
	v_add3_u32 v56, v57, v56, v22
	s_waitcnt lgkmcnt(1)
	;; [unrolled: 2-line block ×3, first 2 shown]
	v_add3_u32 v54, v65, v62, v24
                                        ; implicit-def: $vgpr34_vgpr35
                                        ; implicit-def: $vgpr32_vgpr33
                                        ; implicit-def: $vgpr24_vgpr25
                                        ; implicit-def: $vgpr22_vgpr23
                                        ; implicit-def: $vgpr20_vgpr21
	s_cbranch_vccnz .LBB310_3
; %bb.27:                               ;   in Loop: Header=BB310_4 Depth=2
	v_lshrrev_b32_e32 v20, 2, v63
	v_and_b32_e32 v20, 0x3ffffff8, v20
	v_lshl_add_u32 v20, v63, 3, v20
	s_barrier
	ds_write_b64 v20, v[18:19]
	v_lshrrev_b32_e32 v20, 2, v1
	v_and_b32_e32 v20, 0x3ffffff8, v20
	v_lshl_add_u32 v20, v1, 3, v20
	ds_write_b64 v20, v[16:17]
	v_lshrrev_b32_e32 v20, 2, v64
	v_and_b32_e32 v20, 0x3ffffff8, v20
	v_lshl_add_u32 v20, v64, 3, v20
	;; [unrolled: 4-line block ×7, first 2 shown]
	ds_write_b64 v20, v[2:3]
	s_waitcnt lgkmcnt(0)
	s_barrier
	ds_read_b64 v[20:21], v38
	ds_read_b64 v[22:23], v39 offset:512
	ds_read_b64 v[24:25], v40 offset:1024
	;; [unrolled: 1-line block ×7, first 2 shown]
	v_add_co_u32_e32 v8, vcc, 8, v8
	v_addc_co_u32_e32 v9, vcc, 0, v9, vcc
	s_mov_b64 s[26:27], 0
	s_waitcnt lgkmcnt(0)
	s_barrier
	s_branch .LBB310_3
.LBB310_28:
	s_add_u32 s0, s30, s36
	s_addc_u32 s1, s31, s37
	v_mov_b32_e32 v0, s1
	v_add_co_u32_e32 v2, vcc, s0, v36
	v_addc_co_u32_e32 v19, vcc, 0, v0, vcc
	v_add_co_u32_e32 v0, vcc, 0x1000, v2
	v_addc_co_u32_e32 v1, vcc, 0, v19, vcc
	global_store_dwordx2 v36, v[15:16], s[0:1]
	global_store_dwordx2 v36, v[17:18], s[0:1] offset:1536
	global_store_dwordx2 v36, v[11:12], s[0:1] offset:3072
	global_store_dwordx2 v[0:1], v[13:14], off offset:512
	global_store_dwordx2 v[0:1], v[7:8], off offset:2048
	;; [unrolled: 1-line block ×3, first 2 shown]
	v_add_co_u32_e32 v0, vcc, 0x2000, v2
	v_addc_co_u32_e32 v1, vcc, 0, v19, vcc
	global_store_dwordx2 v[0:1], v[3:4], off offset:1024
	global_store_dwordx2 v[0:1], v[5:6], off offset:2560
	s_endpgm
	.section	.rodata,"a",@progbits
	.p2align	6, 0x0
	.amdhsa_kernel _Z16sort_keys_kernelI22helper_blocked_stripedxLj192ELj8ELj10EEvPKT0_PS1_
		.amdhsa_group_segment_fixed_size 12672
		.amdhsa_private_segment_fixed_size 0
		.amdhsa_kernarg_size 272
		.amdhsa_user_sgpr_count 6
		.amdhsa_user_sgpr_private_segment_buffer 1
		.amdhsa_user_sgpr_dispatch_ptr 0
		.amdhsa_user_sgpr_queue_ptr 0
		.amdhsa_user_sgpr_kernarg_segment_ptr 1
		.amdhsa_user_sgpr_dispatch_id 0
		.amdhsa_user_sgpr_flat_scratch_init 0
		.amdhsa_user_sgpr_private_segment_size 0
		.amdhsa_uses_dynamic_stack 0
		.amdhsa_system_sgpr_private_segment_wavefront_offset 0
		.amdhsa_system_sgpr_workgroup_id_x 1
		.amdhsa_system_sgpr_workgroup_id_y 0
		.amdhsa_system_sgpr_workgroup_id_z 0
		.amdhsa_system_sgpr_workgroup_info 0
		.amdhsa_system_vgpr_workitem_id 2
		.amdhsa_next_free_vgpr 67
		.amdhsa_next_free_sgpr 98
		.amdhsa_reserve_vcc 1
		.amdhsa_reserve_flat_scratch 0
		.amdhsa_float_round_mode_32 0
		.amdhsa_float_round_mode_16_64 0
		.amdhsa_float_denorm_mode_32 3
		.amdhsa_float_denorm_mode_16_64 3
		.amdhsa_dx10_clamp 1
		.amdhsa_ieee_mode 1
		.amdhsa_fp16_overflow 0
		.amdhsa_exception_fp_ieee_invalid_op 0
		.amdhsa_exception_fp_denorm_src 0
		.amdhsa_exception_fp_ieee_div_zero 0
		.amdhsa_exception_fp_ieee_overflow 0
		.amdhsa_exception_fp_ieee_underflow 0
		.amdhsa_exception_fp_ieee_inexact 0
		.amdhsa_exception_int_div_zero 0
	.end_amdhsa_kernel
	.section	.text._Z16sort_keys_kernelI22helper_blocked_stripedxLj192ELj8ELj10EEvPKT0_PS1_,"axG",@progbits,_Z16sort_keys_kernelI22helper_blocked_stripedxLj192ELj8ELj10EEvPKT0_PS1_,comdat
.Lfunc_end310:
	.size	_Z16sort_keys_kernelI22helper_blocked_stripedxLj192ELj8ELj10EEvPKT0_PS1_, .Lfunc_end310-_Z16sort_keys_kernelI22helper_blocked_stripedxLj192ELj8ELj10EEvPKT0_PS1_
                                        ; -- End function
	.set _Z16sort_keys_kernelI22helper_blocked_stripedxLj192ELj8ELj10EEvPKT0_PS1_.num_vgpr, 67
	.set _Z16sort_keys_kernelI22helper_blocked_stripedxLj192ELj8ELj10EEvPKT0_PS1_.num_agpr, 0
	.set _Z16sort_keys_kernelI22helper_blocked_stripedxLj192ELj8ELj10EEvPKT0_PS1_.numbered_sgpr, 38
	.set _Z16sort_keys_kernelI22helper_blocked_stripedxLj192ELj8ELj10EEvPKT0_PS1_.num_named_barrier, 0
	.set _Z16sort_keys_kernelI22helper_blocked_stripedxLj192ELj8ELj10EEvPKT0_PS1_.private_seg_size, 0
	.set _Z16sort_keys_kernelI22helper_blocked_stripedxLj192ELj8ELj10EEvPKT0_PS1_.uses_vcc, 1
	.set _Z16sort_keys_kernelI22helper_blocked_stripedxLj192ELj8ELj10EEvPKT0_PS1_.uses_flat_scratch, 0
	.set _Z16sort_keys_kernelI22helper_blocked_stripedxLj192ELj8ELj10EEvPKT0_PS1_.has_dyn_sized_stack, 0
	.set _Z16sort_keys_kernelI22helper_blocked_stripedxLj192ELj8ELj10EEvPKT0_PS1_.has_recursion, 0
	.set _Z16sort_keys_kernelI22helper_blocked_stripedxLj192ELj8ELj10EEvPKT0_PS1_.has_indirect_call, 0
	.section	.AMDGPU.csdata,"",@progbits
; Kernel info:
; codeLenInByte = 5044
; TotalNumSgprs: 42
; NumVgprs: 67
; ScratchSize: 0
; MemoryBound: 0
; FloatMode: 240
; IeeeMode: 1
; LDSByteSize: 12672 bytes/workgroup (compile time only)
; SGPRBlocks: 12
; VGPRBlocks: 16
; NumSGPRsForWavesPerEU: 102
; NumVGPRsForWavesPerEU: 67
; Occupancy: 3
; WaveLimiterHint : 1
; COMPUTE_PGM_RSRC2:SCRATCH_EN: 0
; COMPUTE_PGM_RSRC2:USER_SGPR: 6
; COMPUTE_PGM_RSRC2:TRAP_HANDLER: 0
; COMPUTE_PGM_RSRC2:TGID_X_EN: 1
; COMPUTE_PGM_RSRC2:TGID_Y_EN: 0
; COMPUTE_PGM_RSRC2:TGID_Z_EN: 0
; COMPUTE_PGM_RSRC2:TIDIG_COMP_CNT: 2
	.section	.text._Z17sort_pairs_kernelI22helper_blocked_stripedxLj192ELj8ELj10EEvPKT0_PS1_,"axG",@progbits,_Z17sort_pairs_kernelI22helper_blocked_stripedxLj192ELj8ELj10EEvPKT0_PS1_,comdat
	.protected	_Z17sort_pairs_kernelI22helper_blocked_stripedxLj192ELj8ELj10EEvPKT0_PS1_ ; -- Begin function _Z17sort_pairs_kernelI22helper_blocked_stripedxLj192ELj8ELj10EEvPKT0_PS1_
	.globl	_Z17sort_pairs_kernelI22helper_blocked_stripedxLj192ELj8ELj10EEvPKT0_PS1_
	.p2align	8
	.type	_Z17sort_pairs_kernelI22helper_blocked_stripedxLj192ELj8ELj10EEvPKT0_PS1_,@function
_Z17sort_pairs_kernelI22helper_blocked_stripedxLj192ELj8ELj10EEvPKT0_PS1_: ; @_Z17sort_pairs_kernelI22helper_blocked_stripedxLj192ELj8ELj10EEvPKT0_PS1_
; %bb.0:
	s_load_dwordx4 s[28:31], s[4:5], 0x0
	s_load_dword s2, s[4:5], 0x1c
	s_mul_i32 s36, s6, 0x600
	s_mov_b32 s37, 0
	s_lshl_b64 s[34:35], s[36:37], 3
	s_waitcnt lgkmcnt(0)
	s_add_u32 s0, s28, s34
	s_addc_u32 s1, s29, s35
	v_lshlrev_b32_e32 v19, 6, v0
	global_load_dwordx4 v[15:18], v19, s[0:1]
	global_load_dwordx4 v[11:14], v19, s[0:1] offset:16
	global_load_dwordx4 v[7:10], v19, s[0:1] offset:32
	;; [unrolled: 1-line block ×3, first 2 shown]
	v_mbcnt_lo_u32_b32 v19, -1, 0
	s_movk_i32 s0, 0x600
	v_lshlrev_b32_e32 v69, 3, v0
	v_mbcnt_hi_u32_b32 v35, -1, v19
	v_and_b32_e32 v36, 0xc0, v0
	v_add_u32_e32 v19, v35, v36
	v_and_or_b32 v20, v69, s0, v35
	v_lshlrev_b32_e32 v21, 1, v19
	v_add_u32_e32 v23, 64, v20
	v_add_u32_e32 v27, 0x140, v20
	v_or_b32_e32 v24, 0x80, v20
	v_or_b32_e32 v28, 0x180, v20
	v_and_b32_e32 v21, 0x3f8, v21
	v_lshrrev_b32_e32 v23, 2, v23
	v_lshrrev_b32_e32 v27, 2, v27
	;; [unrolled: 1-line block ×3, first 2 shown]
	v_lshlrev_b32_e32 v37, 3, v20
	v_add_u32_e32 v25, 0xc0, v20
	v_or_b32_e32 v26, 0x100, v20
	v_add_u32_e32 v20, 0x1c0, v20
	v_lshrrev_b32_e32 v24, 2, v24
	v_lshrrev_b32_e32 v28, 2, v28
	v_lshl_add_u32 v70, v19, 6, v21
	v_and_b32_e32 v19, 0x1b8, v23
	v_and_b32_e32 v23, 0x1f8, v27
	v_lshrrev_b32_e32 v38, 2, v20
	v_and_b32_e32 v20, 0x1b8, v24
	v_and_b32_e32 v24, 0x1f8, v28
	v_add_u32_e32 v76, v23, v37
	s_lshr_b32 s0, s2, 16
	v_lshrrev_b32_e32 v25, 2, v25
	v_add_u32_e32 v77, v24, v37
	s_and_b32 s1, s2, 0xffff
	v_mad_u32_u24 v1, v2, s0, v1
	v_and_b32_e32 v22, 0x198, v22
	v_lshrrev_b32_e32 v26, 2, v26
	v_and_b32_e32 v21, 0x1f8, v25
	v_mad_u64_u32 v[1:2], s[0:1], v1, s1, v[0:1]
	v_add_u32_e32 v71, v22, v37
	v_and_b32_e32 v22, 0x1d8, v26
	v_and_b32_e32 v2, 15, v35
	v_add_u32_e32 v72, v19, v37
	v_cmp_eq_u32_e64 s[0:1], 0, v2
	v_cmp_lt_u32_e64 s[2:3], 1, v2
	v_cmp_lt_u32_e64 s[4:5], 3, v2
	;; [unrolled: 1-line block ×3, first 2 shown]
	v_and_b32_e32 v2, 16, v35
	v_add_u32_e32 v73, v20, v37
	v_cmp_eq_u32_e64 s[8:9], 0, v2
	v_min_u32_e32 v2, 0x80, v36
	v_add_u32_e32 v74, v21, v37
	v_or_b32_e32 v2, 63, v2
	v_add_u32_e32 v75, v22, v37
	v_cmp_eq_u32_e64 s[12:13], v0, v2
	v_subrev_co_u32_e64 v2, s[18:19], 1, v35
	v_and_b32_e32 v36, 64, v35
	v_lshlrev_b32_e32 v79, 4, v0
	v_lshrrev_b32_e32 v1, 4, v1
	v_and_b32_e32 v38, 0x3f8, v38
	v_mad_i32_i24 v82, v0, -12, v79
	v_and_b32_e32 v84, 0xffffffc, v1
	v_lshlrev_b32_e32 v1, 2, v0
	v_add_u32_e32 v78, v38, v37
	v_cmp_lt_u32_e64 s[10:11], 31, v35
	v_cmp_gt_u32_e64 s[14:15], 3, v0
	v_cmp_lt_u32_e64 s[16:17], 63, v0
	v_cmp_eq_u32_e64 s[20:21], 0, v0
	v_add_u32_e32 v85, v82, v1
	v_mov_b32_e32 v86, 12
	s_waitcnt vmcnt(3)
	v_add_co_u32_e32 v31, vcc, 1, v15
	v_addc_co_u32_e32 v32, vcc, 0, v16, vcc
	v_add_co_u32_e32 v33, vcc, 1, v17
	v_addc_co_u32_e32 v34, vcc, 0, v18, vcc
	s_waitcnt vmcnt(2)
	v_add_co_u32_e32 v27, vcc, 1, v11
	v_addc_co_u32_e32 v28, vcc, 0, v12, vcc
	v_add_co_u32_e32 v29, vcc, 1, v13
	v_addc_co_u32_e32 v30, vcc, 0, v14, vcc
	;; [unrolled: 5-line block ×4, first 2 shown]
	v_cmp_lt_i32_e32 vcc, v2, v36
	v_cndmask_b32_e32 v2, v2, v35, vcc
	v_lshlrev_b32_e32 v80, 2, v2
	v_lshrrev_b32_e32 v2, 4, v0
	v_and_b32_e32 v81, 12, v2
	v_and_b32_e32 v2, 3, v35
	v_cmp_eq_u32_e64 s[22:23], 0, v2
	v_cmp_lt_u32_e64 s[24:25], 1, v2
	v_add_u32_e32 v83, -4, v81
	v_mov_b32_e32 v0, 0
	s_branch .LBB311_2
.LBB311_1:                              ;   in Loop: Header=BB311_2 Depth=1
	v_lshlrev_b32_e32 v2, 3, v18
	s_barrier
	ds_write_b64 v2, v[35:36]
	v_lshlrev_b32_e32 v1, 3, v1
	v_lshlrev_b32_e32 v35, 3, v87
	;; [unrolled: 1-line block ×7, first 2 shown]
	ds_write_b64 v1, v[16:17]
	ds_write_b64 v35, v[14:15]
	;; [unrolled: 1-line block ×7, first 2 shown]
	s_waitcnt lgkmcnt(0)
	s_barrier
	ds_read2st64_b64 v[15:18], v85 offset1:3
	ds_read2st64_b64 v[11:14], v85 offset0:6 offset1:9
	ds_read2st64_b64 v[7:10], v85 offset0:12 offset1:15
	;; [unrolled: 1-line block ×3, first 2 shown]
	s_waitcnt lgkmcnt(0)
	s_barrier
	ds_write_b64 v2, v[33:34]
	ds_write_b64 v1, v[31:32]
	;; [unrolled: 1-line block ×8, first 2 shown]
	s_waitcnt lgkmcnt(0)
	s_barrier
	ds_read2st64_b64 v[31:34], v85 offset1:3
	ds_read2st64_b64 v[27:30], v85 offset0:6 offset1:9
	ds_read2st64_b64 v[23:26], v85 offset0:12 offset1:15
	;; [unrolled: 1-line block ×3, first 2 shown]
	s_add_i32 s37, s37, 1
	v_xor_b32_e32 v16, 0x80000000, v16
	v_xor_b32_e32 v18, 0x80000000, v18
	;; [unrolled: 1-line block ×7, first 2 shown]
	s_cmp_eq_u32 s37, 10
	v_xor_b32_e32 v6, 0x80000000, v6
	s_cbranch_scc1 .LBB311_28
.LBB311_2:                              ; =>This Loop Header: Depth=1
                                        ;     Child Loop BB311_4 Depth 2
	v_xor_b32_e32 v16, 0x80000000, v16
	v_xor_b32_e32 v18, 0x80000000, v18
	;; [unrolled: 1-line block ×8, first 2 shown]
	ds_write2_b64 v70, v[15:16], v[17:18] offset1:1
	ds_write2_b64 v70, v[11:12], v[13:14] offset0:2 offset1:3
	ds_write2_b64 v70, v[7:8], v[9:10] offset0:4 offset1:5
	;; [unrolled: 1-line block ×3, first 2 shown]
	; wave barrier
	ds_read_b64 v[37:38], v71
	ds_read_b64 v[39:40], v72 offset:512
	ds_read_b64 v[41:42], v73 offset:1024
	;; [unrolled: 1-line block ×7, first 2 shown]
	; wave barrier
	s_waitcnt lgkmcnt(14)
	ds_write2_b64 v70, v[31:32], v[33:34] offset1:1
	ds_write2_b64 v70, v[27:28], v[29:30] offset0:2 offset1:3
	s_waitcnt lgkmcnt(14)
	ds_write2_b64 v70, v[23:24], v[25:26] offset0:4 offset1:5
	ds_write2_b64 v70, v[19:20], v[21:22] offset0:6 offset1:7
	; wave barrier
	ds_read_b64 v[53:54], v71
	ds_read_b64 v[55:56], v72 offset:512
	ds_read_b64 v[57:58], v73 offset:1024
	ds_read_b64 v[59:60], v74 offset:1536
	ds_read_b64 v[61:62], v75 offset:2048
	ds_read_b64 v[63:64], v76 offset:2560
	ds_read_b64 v[65:66], v77 offset:3072
	ds_read_b64 v[67:68], v78 offset:3584
	v_mov_b32_e32 v2, 0
	v_mov_b32_e32 v3, 0
	s_waitcnt lgkmcnt(0)
	s_barrier
	s_branch .LBB311_4
.LBB311_3:                              ;   in Loop: Header=BB311_4 Depth=2
	s_andn2_b64 vcc, exec, s[26:27]
	s_cbranch_vccz .LBB311_1
.LBB311_4:                              ;   Parent Loop BB311_2 Depth=1
                                        ; =>  This Inner Loop Header: Depth=2
	v_mov_b32_e32 v35, v37
	v_mov_b32_e32 v36, v38
	v_lshrrev_b64 v[37:38], v2, v[35:36]
	v_mov_b32_e32 v16, v39
	v_and_b32_e32 v1, 1, v37
	v_add_co_u32_e32 v18, vcc, -1, v1
	v_addc_co_u32_e64 v38, s[26:27], 0, -1, vcc
	v_cmp_ne_u32_e32 vcc, 0, v1
	v_xor_b32_e32 v1, vcc_hi, v38
	v_and_b32_e32 v38, exec_hi, v1
	v_lshlrev_b32_e32 v1, 30, v37
	v_xor_b32_e32 v18, vcc_lo, v18
	v_cmp_gt_i64_e32 vcc, 0, v[0:1]
	v_not_b32_e32 v1, v1
	v_ashrrev_i32_e32 v1, 31, v1
	v_mov_b32_e32 v17, v40
	v_and_b32_e32 v18, exec_lo, v18
	v_xor_b32_e32 v40, vcc_hi, v1
	v_xor_b32_e32 v1, vcc_lo, v1
	v_and_b32_e32 v18, v18, v1
	v_lshlrev_b32_e32 v1, 29, v37
	v_cmp_gt_i64_e32 vcc, 0, v[0:1]
	v_not_b32_e32 v1, v1
	v_ashrrev_i32_e32 v1, 31, v1
	v_and_b32_e32 v38, v38, v40
	v_xor_b32_e32 v40, vcc_hi, v1
	v_xor_b32_e32 v1, vcc_lo, v1
	v_and_b32_e32 v18, v18, v1
	v_lshlrev_b32_e32 v1, 28, v37
	v_cmp_gt_i64_e32 vcc, 0, v[0:1]
	v_not_b32_e32 v1, v1
	v_ashrrev_i32_e32 v1, 31, v1
	v_and_b32_e32 v38, v38, v40
	;; [unrolled: 8-line block ×5, first 2 shown]
	v_xor_b32_e32 v40, vcc_hi, v1
	v_xor_b32_e32 v1, vcc_lo, v1
	v_and_b32_e32 v18, v18, v1
	v_lshlrev_b32_e32 v1, 24, v37
	v_cmp_gt_i64_e32 vcc, 0, v[0:1]
	v_not_b32_e32 v1, v1
	v_ashrrev_i32_e32 v1, 31, v1
	v_mul_u32_u24_sdwa v39, v37, v86 dst_sel:DWORD dst_unused:UNUSED_PAD src0_sel:BYTE_0 src1_sel:DWORD
	v_and_b32_e32 v38, v38, v40
	v_xor_b32_e32 v37, vcc_hi, v1
	v_xor_b32_e32 v1, vcc_lo, v1
	v_and_b32_e32 v38, v38, v37
	v_and_b32_e32 v37, v18, v1
	v_mbcnt_lo_u32_b32 v1, v37, 0
	v_mbcnt_hi_u32_b32 v18, v38, v1
	v_cmp_ne_u64_e32 vcc, 0, v[37:38]
	v_mov_b32_e32 v4, v51
	v_mov_b32_e32 v6, v49
	;; [unrolled: 1-line block ×14, first 2 shown]
	v_cmp_eq_u32_e64 s[26:27], 0, v18
	v_mov_b32_e32 v5, v52
	v_mov_b32_e32 v7, v50
	;; [unrolled: 1-line block ×14, first 2 shown]
	s_and_b64 s[28:29], vcc, s[26:27]
	v_add_u32_e32 v41, v84, v39
	ds_write2_b32 v79, v0, v0 offset0:3 offset1:4
	ds_write2_b32 v79, v0, v0 offset0:5 offset1:6
	s_waitcnt lgkmcnt(0)
	s_barrier
	; wave barrier
	s_and_saveexec_b64 s[26:27], s[28:29]
; %bb.5:                                ;   in Loop: Header=BB311_4 Depth=2
	v_bcnt_u32_b32 v1, v37, 0
	v_bcnt_u32_b32 v1, v38, v1
	ds_write_b32 v41, v1 offset:12
; %bb.6:                                ;   in Loop: Header=BB311_4 Depth=2
	s_or_b64 exec, exec, s[26:27]
	v_lshrrev_b64 v[37:38], v2, v[16:17]
	v_and_b32_e32 v1, 0xff, v37
	v_mul_u32_u24_e32 v39, 12, v1
	v_mad_u32_u24 v1, v1, 12, v84
	; wave barrier
	ds_read_b32 v42, v1 offset:12
	v_and_b32_e32 v1, 1, v37
	v_add_co_u32_e32 v38, vcc, -1, v1
	v_addc_co_u32_e64 v40, s[26:27], 0, -1, vcc
	v_cmp_ne_u32_e32 vcc, 0, v1
	v_xor_b32_e32 v1, vcc_hi, v40
	v_and_b32_e32 v40, exec_hi, v1
	v_lshlrev_b32_e32 v1, 30, v37
	v_xor_b32_e32 v38, vcc_lo, v38
	v_cmp_gt_i64_e32 vcc, 0, v[0:1]
	v_not_b32_e32 v1, v1
	v_ashrrev_i32_e32 v1, 31, v1
	v_and_b32_e32 v38, exec_lo, v38
	v_xor_b32_e32 v43, vcc_hi, v1
	v_xor_b32_e32 v1, vcc_lo, v1
	v_and_b32_e32 v38, v38, v1
	v_lshlrev_b32_e32 v1, 29, v37
	v_cmp_gt_i64_e32 vcc, 0, v[0:1]
	v_not_b32_e32 v1, v1
	v_ashrrev_i32_e32 v1, 31, v1
	v_and_b32_e32 v40, v40, v43
	v_xor_b32_e32 v43, vcc_hi, v1
	v_xor_b32_e32 v1, vcc_lo, v1
	v_and_b32_e32 v38, v38, v1
	v_lshlrev_b32_e32 v1, 28, v37
	v_cmp_gt_i64_e32 vcc, 0, v[0:1]
	v_not_b32_e32 v1, v1
	v_ashrrev_i32_e32 v1, 31, v1
	v_and_b32_e32 v40, v40, v43
	;; [unrolled: 8-line block ×5, first 2 shown]
	v_xor_b32_e32 v43, vcc_hi, v1
	v_xor_b32_e32 v1, vcc_lo, v1
	v_and_b32_e32 v40, v40, v43
	v_and_b32_e32 v43, v38, v1
	v_lshlrev_b32_e32 v1, 24, v37
	v_cmp_gt_i64_e32 vcc, 0, v[0:1]
	v_not_b32_e32 v1, v1
	v_ashrrev_i32_e32 v1, 31, v1
	v_xor_b32_e32 v37, vcc_hi, v1
	v_xor_b32_e32 v1, vcc_lo, v1
	v_and_b32_e32 v38, v40, v37
	v_and_b32_e32 v37, v43, v1
	v_mbcnt_lo_u32_b32 v1, v37, 0
	v_mbcnt_hi_u32_b32 v43, v38, v1
	v_cmp_ne_u64_e32 vcc, 0, v[37:38]
	v_cmp_eq_u32_e64 s[26:27], 0, v43
	s_and_b64 s[28:29], vcc, s[26:27]
	v_add_u32_e32 v44, v84, v39
	; wave barrier
	s_and_saveexec_b64 s[26:27], s[28:29]
	s_cbranch_execz .LBB311_8
; %bb.7:                                ;   in Loop: Header=BB311_4 Depth=2
	v_bcnt_u32_b32 v1, v37, 0
	v_bcnt_u32_b32 v1, v38, v1
	s_waitcnt lgkmcnt(0)
	v_add_u32_e32 v1, v42, v1
	ds_write_b32 v44, v1 offset:12
.LBB311_8:                              ;   in Loop: Header=BB311_4 Depth=2
	s_or_b64 exec, exec, s[26:27]
	v_lshrrev_b64 v[37:38], v2, v[14:15]
	v_and_b32_e32 v1, 0xff, v37
	v_mul_u32_u24_e32 v39, 12, v1
	v_mad_u32_u24 v1, v1, 12, v84
	; wave barrier
	ds_read_b32 v45, v1 offset:12
	v_and_b32_e32 v1, 1, v37
	v_add_co_u32_e32 v38, vcc, -1, v1
	v_addc_co_u32_e64 v40, s[26:27], 0, -1, vcc
	v_cmp_ne_u32_e32 vcc, 0, v1
	v_xor_b32_e32 v1, vcc_hi, v40
	v_and_b32_e32 v40, exec_hi, v1
	v_lshlrev_b32_e32 v1, 30, v37
	v_xor_b32_e32 v38, vcc_lo, v38
	v_cmp_gt_i64_e32 vcc, 0, v[0:1]
	v_not_b32_e32 v1, v1
	v_ashrrev_i32_e32 v1, 31, v1
	v_and_b32_e32 v38, exec_lo, v38
	v_xor_b32_e32 v46, vcc_hi, v1
	v_xor_b32_e32 v1, vcc_lo, v1
	v_and_b32_e32 v38, v38, v1
	v_lshlrev_b32_e32 v1, 29, v37
	v_cmp_gt_i64_e32 vcc, 0, v[0:1]
	v_not_b32_e32 v1, v1
	v_ashrrev_i32_e32 v1, 31, v1
	v_and_b32_e32 v40, v40, v46
	v_xor_b32_e32 v46, vcc_hi, v1
	v_xor_b32_e32 v1, vcc_lo, v1
	v_and_b32_e32 v38, v38, v1
	v_lshlrev_b32_e32 v1, 28, v37
	v_cmp_gt_i64_e32 vcc, 0, v[0:1]
	v_not_b32_e32 v1, v1
	v_ashrrev_i32_e32 v1, 31, v1
	v_and_b32_e32 v40, v40, v46
	;; [unrolled: 8-line block ×5, first 2 shown]
	v_xor_b32_e32 v46, vcc_hi, v1
	v_xor_b32_e32 v1, vcc_lo, v1
	v_and_b32_e32 v40, v40, v46
	v_and_b32_e32 v46, v38, v1
	v_lshlrev_b32_e32 v1, 24, v37
	v_cmp_gt_i64_e32 vcc, 0, v[0:1]
	v_not_b32_e32 v1, v1
	v_ashrrev_i32_e32 v1, 31, v1
	v_xor_b32_e32 v37, vcc_hi, v1
	v_xor_b32_e32 v1, vcc_lo, v1
	v_and_b32_e32 v38, v40, v37
	v_and_b32_e32 v37, v46, v1
	v_mbcnt_lo_u32_b32 v1, v37, 0
	v_mbcnt_hi_u32_b32 v46, v38, v1
	v_cmp_ne_u64_e32 vcc, 0, v[37:38]
	v_cmp_eq_u32_e64 s[26:27], 0, v46
	s_and_b64 s[28:29], vcc, s[26:27]
	v_add_u32_e32 v47, v84, v39
	; wave barrier
	s_and_saveexec_b64 s[26:27], s[28:29]
	s_cbranch_execz .LBB311_10
; %bb.9:                                ;   in Loop: Header=BB311_4 Depth=2
	v_bcnt_u32_b32 v1, v37, 0
	v_bcnt_u32_b32 v1, v38, v1
	s_waitcnt lgkmcnt(0)
	v_add_u32_e32 v1, v45, v1
	ds_write_b32 v47, v1 offset:12
.LBB311_10:                             ;   in Loop: Header=BB311_4 Depth=2
	s_or_b64 exec, exec, s[26:27]
	v_lshrrev_b64 v[37:38], v2, v[12:13]
	v_and_b32_e32 v1, 0xff, v37
	v_mul_u32_u24_e32 v39, 12, v1
	v_mad_u32_u24 v1, v1, 12, v84
	; wave barrier
	ds_read_b32 v48, v1 offset:12
	v_and_b32_e32 v1, 1, v37
	v_add_co_u32_e32 v38, vcc, -1, v1
	v_addc_co_u32_e64 v40, s[26:27], 0, -1, vcc
	v_cmp_ne_u32_e32 vcc, 0, v1
	v_xor_b32_e32 v1, vcc_hi, v40
	v_and_b32_e32 v40, exec_hi, v1
	v_lshlrev_b32_e32 v1, 30, v37
	v_xor_b32_e32 v38, vcc_lo, v38
	v_cmp_gt_i64_e32 vcc, 0, v[0:1]
	v_not_b32_e32 v1, v1
	v_ashrrev_i32_e32 v1, 31, v1
	v_and_b32_e32 v38, exec_lo, v38
	v_xor_b32_e32 v49, vcc_hi, v1
	v_xor_b32_e32 v1, vcc_lo, v1
	v_and_b32_e32 v38, v38, v1
	v_lshlrev_b32_e32 v1, 29, v37
	v_cmp_gt_i64_e32 vcc, 0, v[0:1]
	v_not_b32_e32 v1, v1
	v_ashrrev_i32_e32 v1, 31, v1
	v_and_b32_e32 v40, v40, v49
	v_xor_b32_e32 v49, vcc_hi, v1
	v_xor_b32_e32 v1, vcc_lo, v1
	v_and_b32_e32 v38, v38, v1
	v_lshlrev_b32_e32 v1, 28, v37
	v_cmp_gt_i64_e32 vcc, 0, v[0:1]
	v_not_b32_e32 v1, v1
	v_ashrrev_i32_e32 v1, 31, v1
	v_and_b32_e32 v40, v40, v49
	;; [unrolled: 8-line block ×5, first 2 shown]
	v_xor_b32_e32 v49, vcc_hi, v1
	v_xor_b32_e32 v1, vcc_lo, v1
	v_and_b32_e32 v40, v40, v49
	v_and_b32_e32 v49, v38, v1
	v_lshlrev_b32_e32 v1, 24, v37
	v_cmp_gt_i64_e32 vcc, 0, v[0:1]
	v_not_b32_e32 v1, v1
	v_ashrrev_i32_e32 v1, 31, v1
	v_xor_b32_e32 v37, vcc_hi, v1
	v_xor_b32_e32 v1, vcc_lo, v1
	v_and_b32_e32 v38, v40, v37
	v_and_b32_e32 v37, v49, v1
	v_mbcnt_lo_u32_b32 v1, v37, 0
	v_mbcnt_hi_u32_b32 v49, v38, v1
	v_cmp_ne_u64_e32 vcc, 0, v[37:38]
	v_cmp_eq_u32_e64 s[26:27], 0, v49
	s_and_b64 s[28:29], vcc, s[26:27]
	v_add_u32_e32 v50, v84, v39
	; wave barrier
	s_and_saveexec_b64 s[26:27], s[28:29]
	s_cbranch_execz .LBB311_12
; %bb.11:                               ;   in Loop: Header=BB311_4 Depth=2
	v_bcnt_u32_b32 v1, v37, 0
	v_bcnt_u32_b32 v1, v38, v1
	s_waitcnt lgkmcnt(0)
	v_add_u32_e32 v1, v48, v1
	ds_write_b32 v50, v1 offset:12
.LBB311_12:                             ;   in Loop: Header=BB311_4 Depth=2
	s_or_b64 exec, exec, s[26:27]
	v_lshrrev_b64 v[37:38], v2, v[10:11]
	v_and_b32_e32 v1, 0xff, v37
	v_mul_u32_u24_e32 v39, 12, v1
	v_mad_u32_u24 v1, v1, 12, v84
	; wave barrier
	ds_read_b32 v51, v1 offset:12
	v_and_b32_e32 v1, 1, v37
	v_add_co_u32_e32 v38, vcc, -1, v1
	v_addc_co_u32_e64 v40, s[26:27], 0, -1, vcc
	v_cmp_ne_u32_e32 vcc, 0, v1
	v_xor_b32_e32 v1, vcc_hi, v40
	v_and_b32_e32 v40, exec_hi, v1
	v_lshlrev_b32_e32 v1, 30, v37
	v_xor_b32_e32 v38, vcc_lo, v38
	v_cmp_gt_i64_e32 vcc, 0, v[0:1]
	v_not_b32_e32 v1, v1
	v_ashrrev_i32_e32 v1, 31, v1
	v_and_b32_e32 v38, exec_lo, v38
	v_xor_b32_e32 v52, vcc_hi, v1
	v_xor_b32_e32 v1, vcc_lo, v1
	v_and_b32_e32 v38, v38, v1
	v_lshlrev_b32_e32 v1, 29, v37
	v_cmp_gt_i64_e32 vcc, 0, v[0:1]
	v_not_b32_e32 v1, v1
	v_ashrrev_i32_e32 v1, 31, v1
	v_and_b32_e32 v40, v40, v52
	v_xor_b32_e32 v52, vcc_hi, v1
	v_xor_b32_e32 v1, vcc_lo, v1
	v_and_b32_e32 v38, v38, v1
	v_lshlrev_b32_e32 v1, 28, v37
	v_cmp_gt_i64_e32 vcc, 0, v[0:1]
	v_not_b32_e32 v1, v1
	v_ashrrev_i32_e32 v1, 31, v1
	v_and_b32_e32 v40, v40, v52
	v_xor_b32_e32 v52, vcc_hi, v1
	v_xor_b32_e32 v1, vcc_lo, v1
	v_and_b32_e32 v38, v38, v1
	v_lshlrev_b32_e32 v1, 27, v37
	v_cmp_gt_i64_e32 vcc, 0, v[0:1]
	v_not_b32_e32 v1, v1
	v_ashrrev_i32_e32 v1, 31, v1
	v_and_b32_e32 v40, v40, v52
	v_xor_b32_e32 v52, vcc_hi, v1
	v_xor_b32_e32 v1, vcc_lo, v1
	v_and_b32_e32 v38, v38, v1
	v_lshlrev_b32_e32 v1, 26, v37
	v_cmp_gt_i64_e32 vcc, 0, v[0:1]
	v_not_b32_e32 v1, v1
	v_ashrrev_i32_e32 v1, 31, v1
	v_and_b32_e32 v40, v40, v52
	v_xor_b32_e32 v52, vcc_hi, v1
	v_xor_b32_e32 v1, vcc_lo, v1
	v_and_b32_e32 v38, v38, v1
	v_lshlrev_b32_e32 v1, 25, v37
	v_cmp_gt_i64_e32 vcc, 0, v[0:1]
	v_not_b32_e32 v1, v1
	v_ashrrev_i32_e32 v1, 31, v1
	v_and_b32_e32 v40, v40, v52
	v_xor_b32_e32 v52, vcc_hi, v1
	v_xor_b32_e32 v1, vcc_lo, v1
	v_and_b32_e32 v40, v40, v52
	v_and_b32_e32 v52, v38, v1
	v_lshlrev_b32_e32 v1, 24, v37
	v_cmp_gt_i64_e32 vcc, 0, v[0:1]
	v_not_b32_e32 v1, v1
	v_ashrrev_i32_e32 v1, 31, v1
	v_xor_b32_e32 v37, vcc_hi, v1
	v_xor_b32_e32 v1, vcc_lo, v1
	v_and_b32_e32 v38, v40, v37
	v_and_b32_e32 v37, v52, v1
	v_mbcnt_lo_u32_b32 v1, v37, 0
	v_mbcnt_hi_u32_b32 v52, v38, v1
	v_cmp_ne_u64_e32 vcc, 0, v[37:38]
	v_cmp_eq_u32_e64 s[26:27], 0, v52
	s_and_b64 s[28:29], vcc, s[26:27]
	v_add_u32_e32 v53, v84, v39
	; wave barrier
	s_and_saveexec_b64 s[26:27], s[28:29]
	s_cbranch_execz .LBB311_14
; %bb.13:                               ;   in Loop: Header=BB311_4 Depth=2
	v_bcnt_u32_b32 v1, v37, 0
	v_bcnt_u32_b32 v1, v38, v1
	s_waitcnt lgkmcnt(0)
	v_add_u32_e32 v1, v51, v1
	ds_write_b32 v53, v1 offset:12
.LBB311_14:                             ;   in Loop: Header=BB311_4 Depth=2
	s_or_b64 exec, exec, s[26:27]
	v_lshrrev_b64 v[37:38], v2, v[8:9]
	v_and_b32_e32 v1, 0xff, v37
	v_mul_u32_u24_e32 v39, 12, v1
	v_mad_u32_u24 v1, v1, 12, v84
	; wave barrier
	ds_read_b32 v54, v1 offset:12
	v_and_b32_e32 v1, 1, v37
	v_add_co_u32_e32 v38, vcc, -1, v1
	v_addc_co_u32_e64 v40, s[26:27], 0, -1, vcc
	v_cmp_ne_u32_e32 vcc, 0, v1
	v_xor_b32_e32 v1, vcc_hi, v40
	v_and_b32_e32 v40, exec_hi, v1
	v_lshlrev_b32_e32 v1, 30, v37
	v_xor_b32_e32 v38, vcc_lo, v38
	v_cmp_gt_i64_e32 vcc, 0, v[0:1]
	v_not_b32_e32 v1, v1
	v_ashrrev_i32_e32 v1, 31, v1
	v_and_b32_e32 v38, exec_lo, v38
	v_xor_b32_e32 v55, vcc_hi, v1
	v_xor_b32_e32 v1, vcc_lo, v1
	v_and_b32_e32 v38, v38, v1
	v_lshlrev_b32_e32 v1, 29, v37
	v_cmp_gt_i64_e32 vcc, 0, v[0:1]
	v_not_b32_e32 v1, v1
	v_ashrrev_i32_e32 v1, 31, v1
	v_and_b32_e32 v40, v40, v55
	v_xor_b32_e32 v55, vcc_hi, v1
	v_xor_b32_e32 v1, vcc_lo, v1
	v_and_b32_e32 v38, v38, v1
	v_lshlrev_b32_e32 v1, 28, v37
	v_cmp_gt_i64_e32 vcc, 0, v[0:1]
	v_not_b32_e32 v1, v1
	v_ashrrev_i32_e32 v1, 31, v1
	v_and_b32_e32 v40, v40, v55
	;; [unrolled: 8-line block ×5, first 2 shown]
	v_xor_b32_e32 v55, vcc_hi, v1
	v_xor_b32_e32 v1, vcc_lo, v1
	v_and_b32_e32 v40, v40, v55
	v_and_b32_e32 v55, v38, v1
	v_lshlrev_b32_e32 v1, 24, v37
	v_cmp_gt_i64_e32 vcc, 0, v[0:1]
	v_not_b32_e32 v1, v1
	v_ashrrev_i32_e32 v1, 31, v1
	v_xor_b32_e32 v37, vcc_hi, v1
	v_xor_b32_e32 v1, vcc_lo, v1
	v_and_b32_e32 v38, v40, v37
	v_and_b32_e32 v37, v55, v1
	v_mbcnt_lo_u32_b32 v1, v37, 0
	v_mbcnt_hi_u32_b32 v55, v38, v1
	v_cmp_ne_u64_e32 vcc, 0, v[37:38]
	v_cmp_eq_u32_e64 s[26:27], 0, v55
	s_and_b64 s[28:29], vcc, s[26:27]
	v_add_u32_e32 v56, v84, v39
	; wave barrier
	s_and_saveexec_b64 s[26:27], s[28:29]
	s_cbranch_execz .LBB311_16
; %bb.15:                               ;   in Loop: Header=BB311_4 Depth=2
	v_bcnt_u32_b32 v1, v37, 0
	v_bcnt_u32_b32 v1, v38, v1
	s_waitcnt lgkmcnt(0)
	v_add_u32_e32 v1, v54, v1
	ds_write_b32 v56, v1 offset:12
.LBB311_16:                             ;   in Loop: Header=BB311_4 Depth=2
	s_or_b64 exec, exec, s[26:27]
	v_lshrrev_b64 v[37:38], v2, v[6:7]
	v_and_b32_e32 v1, 0xff, v37
	v_mul_u32_u24_e32 v39, 12, v1
	v_mad_u32_u24 v1, v1, 12, v84
	; wave barrier
	ds_read_b32 v57, v1 offset:12
	v_and_b32_e32 v1, 1, v37
	v_add_co_u32_e32 v38, vcc, -1, v1
	v_addc_co_u32_e64 v40, s[26:27], 0, -1, vcc
	v_cmp_ne_u32_e32 vcc, 0, v1
	v_xor_b32_e32 v1, vcc_hi, v40
	v_and_b32_e32 v40, exec_hi, v1
	v_lshlrev_b32_e32 v1, 30, v37
	v_xor_b32_e32 v38, vcc_lo, v38
	v_cmp_gt_i64_e32 vcc, 0, v[0:1]
	v_not_b32_e32 v1, v1
	v_ashrrev_i32_e32 v1, 31, v1
	v_and_b32_e32 v38, exec_lo, v38
	v_xor_b32_e32 v58, vcc_hi, v1
	v_xor_b32_e32 v1, vcc_lo, v1
	v_and_b32_e32 v38, v38, v1
	v_lshlrev_b32_e32 v1, 29, v37
	v_cmp_gt_i64_e32 vcc, 0, v[0:1]
	v_not_b32_e32 v1, v1
	v_ashrrev_i32_e32 v1, 31, v1
	v_and_b32_e32 v40, v40, v58
	v_xor_b32_e32 v58, vcc_hi, v1
	v_xor_b32_e32 v1, vcc_lo, v1
	v_and_b32_e32 v38, v38, v1
	v_lshlrev_b32_e32 v1, 28, v37
	v_cmp_gt_i64_e32 vcc, 0, v[0:1]
	v_not_b32_e32 v1, v1
	v_ashrrev_i32_e32 v1, 31, v1
	v_and_b32_e32 v40, v40, v58
	;; [unrolled: 8-line block ×5, first 2 shown]
	v_xor_b32_e32 v58, vcc_hi, v1
	v_xor_b32_e32 v1, vcc_lo, v1
	v_and_b32_e32 v40, v40, v58
	v_and_b32_e32 v58, v38, v1
	v_lshlrev_b32_e32 v1, 24, v37
	v_cmp_gt_i64_e32 vcc, 0, v[0:1]
	v_not_b32_e32 v1, v1
	v_ashrrev_i32_e32 v1, 31, v1
	v_xor_b32_e32 v37, vcc_hi, v1
	v_xor_b32_e32 v1, vcc_lo, v1
	v_and_b32_e32 v38, v40, v37
	v_and_b32_e32 v37, v58, v1
	v_mbcnt_lo_u32_b32 v1, v37, 0
	v_mbcnt_hi_u32_b32 v58, v38, v1
	v_cmp_ne_u64_e32 vcc, 0, v[37:38]
	v_cmp_eq_u32_e64 s[26:27], 0, v58
	s_and_b64 s[28:29], vcc, s[26:27]
	v_add_u32_e32 v59, v84, v39
	; wave barrier
	s_and_saveexec_b64 s[26:27], s[28:29]
	s_cbranch_execz .LBB311_18
; %bb.17:                               ;   in Loop: Header=BB311_4 Depth=2
	v_bcnt_u32_b32 v1, v37, 0
	v_bcnt_u32_b32 v1, v38, v1
	s_waitcnt lgkmcnt(0)
	v_add_u32_e32 v1, v57, v1
	ds_write_b32 v59, v1 offset:12
.LBB311_18:                             ;   in Loop: Header=BB311_4 Depth=2
	s_or_b64 exec, exec, s[26:27]
	v_lshrrev_b64 v[37:38], v2, v[4:5]
	v_and_b32_e32 v1, 0xff, v37
	v_mul_u32_u24_e32 v39, 12, v1
	v_mad_u32_u24 v1, v1, 12, v84
	; wave barrier
	ds_read_b32 v60, v1 offset:12
	v_and_b32_e32 v1, 1, v37
	v_add_co_u32_e32 v38, vcc, -1, v1
	v_addc_co_u32_e64 v40, s[26:27], 0, -1, vcc
	v_cmp_ne_u32_e32 vcc, 0, v1
	v_xor_b32_e32 v1, vcc_hi, v40
	v_and_b32_e32 v40, exec_hi, v1
	v_lshlrev_b32_e32 v1, 30, v37
	v_xor_b32_e32 v38, vcc_lo, v38
	v_cmp_gt_i64_e32 vcc, 0, v[0:1]
	v_not_b32_e32 v1, v1
	v_ashrrev_i32_e32 v1, 31, v1
	v_and_b32_e32 v38, exec_lo, v38
	v_xor_b32_e32 v61, vcc_hi, v1
	v_xor_b32_e32 v1, vcc_lo, v1
	v_and_b32_e32 v38, v38, v1
	v_lshlrev_b32_e32 v1, 29, v37
	v_cmp_gt_i64_e32 vcc, 0, v[0:1]
	v_not_b32_e32 v1, v1
	v_ashrrev_i32_e32 v1, 31, v1
	v_and_b32_e32 v40, v40, v61
	v_xor_b32_e32 v61, vcc_hi, v1
	v_xor_b32_e32 v1, vcc_lo, v1
	v_and_b32_e32 v38, v38, v1
	v_lshlrev_b32_e32 v1, 28, v37
	v_cmp_gt_i64_e32 vcc, 0, v[0:1]
	v_not_b32_e32 v1, v1
	v_ashrrev_i32_e32 v1, 31, v1
	v_and_b32_e32 v40, v40, v61
	;; [unrolled: 8-line block ×5, first 2 shown]
	v_xor_b32_e32 v61, vcc_hi, v1
	v_xor_b32_e32 v1, vcc_lo, v1
	v_and_b32_e32 v40, v40, v61
	v_and_b32_e32 v61, v38, v1
	v_lshlrev_b32_e32 v1, 24, v37
	v_cmp_gt_i64_e32 vcc, 0, v[0:1]
	v_not_b32_e32 v1, v1
	v_ashrrev_i32_e32 v1, 31, v1
	v_xor_b32_e32 v37, vcc_hi, v1
	v_xor_b32_e32 v1, vcc_lo, v1
	v_and_b32_e32 v38, v40, v37
	v_and_b32_e32 v37, v61, v1
	v_mbcnt_lo_u32_b32 v1, v37, 0
	v_mbcnt_hi_u32_b32 v61, v38, v1
	v_cmp_ne_u64_e32 vcc, 0, v[37:38]
	v_cmp_eq_u32_e64 s[26:27], 0, v61
	s_and_b64 s[28:29], vcc, s[26:27]
	v_add_u32_e32 v62, v84, v39
	; wave barrier
	s_and_saveexec_b64 s[26:27], s[28:29]
	s_cbranch_execz .LBB311_20
; %bb.19:                               ;   in Loop: Header=BB311_4 Depth=2
	v_bcnt_u32_b32 v1, v37, 0
	v_bcnt_u32_b32 v1, v38, v1
	s_waitcnt lgkmcnt(0)
	v_add_u32_e32 v1, v60, v1
	ds_write_b32 v62, v1 offset:12
.LBB311_20:                             ;   in Loop: Header=BB311_4 Depth=2
	s_or_b64 exec, exec, s[26:27]
	; wave barrier
	s_waitcnt lgkmcnt(0)
	s_barrier
	ds_read2_b32 v[39:40], v79 offset0:3 offset1:4
	ds_read2_b32 v[37:38], v79 offset0:5 offset1:6
	s_waitcnt lgkmcnt(1)
	v_add_u32_e32 v1, v40, v39
	s_waitcnt lgkmcnt(0)
	v_add3_u32 v1, v1, v37, v38
	s_nop 1
	v_mov_b32_dpp v38, v1 row_shr:1 row_mask:0xf bank_mask:0xf
	v_cndmask_b32_e64 v38, v38, 0, s[0:1]
	v_add_u32_e32 v1, v38, v1
	s_nop 1
	v_mov_b32_dpp v38, v1 row_shr:2 row_mask:0xf bank_mask:0xf
	v_cndmask_b32_e64 v38, 0, v38, s[2:3]
	v_add_u32_e32 v1, v1, v38
	;; [unrolled: 4-line block ×4, first 2 shown]
	s_nop 1
	v_mov_b32_dpp v38, v1 row_bcast:15 row_mask:0xf bank_mask:0xf
	v_cndmask_b32_e64 v38, v38, 0, s[8:9]
	v_add_u32_e32 v1, v1, v38
	s_nop 1
	v_mov_b32_dpp v38, v1 row_bcast:31 row_mask:0xf bank_mask:0xf
	v_cndmask_b32_e64 v38, 0, v38, s[10:11]
	v_add_u32_e32 v1, v1, v38
	s_and_saveexec_b64 s[26:27], s[12:13]
; %bb.21:                               ;   in Loop: Header=BB311_4 Depth=2
	ds_write_b32 v81, v1
; %bb.22:                               ;   in Loop: Header=BB311_4 Depth=2
	s_or_b64 exec, exec, s[26:27]
	s_waitcnt lgkmcnt(0)
	s_barrier
	s_and_saveexec_b64 s[26:27], s[14:15]
	s_cbranch_execz .LBB311_24
; %bb.23:                               ;   in Loop: Header=BB311_4 Depth=2
	ds_read_b32 v38, v82
	s_waitcnt lgkmcnt(0)
	s_nop 0
	v_mov_b32_dpp v63, v38 row_shr:1 row_mask:0xf bank_mask:0xf
	v_cndmask_b32_e64 v63, v63, 0, s[22:23]
	v_add_u32_e32 v38, v63, v38
	s_nop 1
	v_mov_b32_dpp v63, v38 row_shr:2 row_mask:0xf bank_mask:0xf
	v_cndmask_b32_e64 v63, 0, v63, s[24:25]
	v_add_u32_e32 v38, v38, v63
	ds_write_b32 v82, v38
.LBB311_24:                             ;   in Loop: Header=BB311_4 Depth=2
	s_or_b64 exec, exec, s[26:27]
	v_mov_b32_e32 v38, 0
	s_waitcnt lgkmcnt(0)
	s_barrier
	s_and_saveexec_b64 s[26:27], s[16:17]
; %bb.25:                               ;   in Loop: Header=BB311_4 Depth=2
	ds_read_b32 v38, v83
; %bb.26:                               ;   in Loop: Header=BB311_4 Depth=2
	s_or_b64 exec, exec, s[26:27]
	s_waitcnt lgkmcnt(0)
	v_add_u32_e32 v1, v38, v1
	ds_bpermute_b32 v1, v80, v1
	v_cmp_lt_u32_e32 vcc, 55, v2
	s_and_b64 vcc, exec, vcc
	s_mov_b64 s[26:27], -1
                                        ; implicit-def: $vgpr67_vgpr68
                                        ; implicit-def: $vgpr65_vgpr66
                                        ; implicit-def: $vgpr63_vgpr64
	s_waitcnt lgkmcnt(0)
	v_cndmask_b32_e64 v1, v1, v38, s[18:19]
	v_cndmask_b32_e64 v1, v1, 0, s[20:21]
	v_add_u32_e32 v38, v1, v39
	v_add_u32_e32 v39, v38, v40
	ds_write2_b32 v79, v1, v38 offset0:3 offset1:4
	v_add_u32_e32 v1, v39, v37
	ds_write2_b32 v79, v39, v1 offset0:5 offset1:6
	s_waitcnt lgkmcnt(0)
	s_barrier
	ds_read_b32 v1, v41 offset:12
	ds_read_b32 v37, v44 offset:12
	;; [unrolled: 1-line block ×3, first 2 shown]
	s_waitcnt lgkmcnt(2)
	v_add_u32_e32 v18, v1, v18
	s_waitcnt lgkmcnt(1)
	v_add3_u32 v1, v43, v42, v37
	ds_read_b32 v37, v50 offset:12
	s_waitcnt lgkmcnt(1)
	v_add3_u32 v87, v46, v45, v38
	ds_read_b32 v38, v53 offset:12
	ds_read_b32 v39, v56 offset:12
	;; [unrolled: 1-line block ×4, first 2 shown]
                                        ; implicit-def: $vgpr45_vgpr46
                                        ; implicit-def: $vgpr43_vgpr44
	s_waitcnt lgkmcnt(3)
	v_add3_u32 v91, v52, v51, v38
	v_add3_u32 v92, v49, v48, v37
	s_waitcnt lgkmcnt(2)
	v_add3_u32 v90, v55, v54, v39
	s_waitcnt lgkmcnt(1)
	;; [unrolled: 2-line block ×3, first 2 shown]
	v_add3_u32 v88, v61, v60, v41
                                        ; implicit-def: $vgpr51_vgpr52
                                        ; implicit-def: $vgpr49_vgpr50
                                        ; implicit-def: $vgpr47_vgpr48
                                        ; implicit-def: $vgpr41_vgpr42
                                        ; implicit-def: $vgpr39_vgpr40
                                        ; implicit-def: $vgpr37_vgpr38
                                        ; implicit-def: $vgpr61_vgpr62
                                        ; implicit-def: $vgpr59_vgpr60
                                        ; implicit-def: $vgpr57_vgpr58
                                        ; implicit-def: $vgpr55_vgpr56
                                        ; implicit-def: $vgpr53_vgpr54
	s_cbranch_vccnz .LBB311_3
; %bb.27:                               ;   in Loop: Header=BB311_4 Depth=2
	v_lshrrev_b32_e32 v37, 2, v18
	v_and_b32_e32 v37, 0x3ffffff8, v37
	v_lshl_add_u32 v53, v18, 3, v37
	v_lshrrev_b32_e32 v37, 2, v1
	v_and_b32_e32 v37, 0x3ffffff8, v37
	v_lshl_add_u32 v54, v1, 3, v37
	;; [unrolled: 3-line block ×8, first 2 shown]
	s_barrier
	ds_write_b64 v53, v[35:36]
	ds_write_b64 v54, v[16:17]
	;; [unrolled: 1-line block ×8, first 2 shown]
	s_waitcnt lgkmcnt(0)
	s_barrier
	ds_read_b64 v[37:38], v71
	ds_read_b64 v[39:40], v72 offset:512
	ds_read_b64 v[41:42], v73 offset:1024
	;; [unrolled: 1-line block ×7, first 2 shown]
	s_waitcnt lgkmcnt(0)
	s_barrier
	ds_write_b64 v53, v[33:34]
	ds_write_b64 v54, v[31:32]
	ds_write_b64 v55, v[29:30]
	ds_write_b64 v56, v[27:28]
	ds_write_b64 v57, v[25:26]
	ds_write_b64 v58, v[23:24]
	ds_write_b64 v59, v[21:22]
	ds_write_b64 v60, v[19:20]
	s_waitcnt lgkmcnt(0)
	s_barrier
	ds_read_b64 v[53:54], v71
	ds_read_b64 v[55:56], v72 offset:512
	ds_read_b64 v[57:58], v73 offset:1024
	;; [unrolled: 1-line block ×7, first 2 shown]
	v_add_co_u32_e32 v2, vcc, 8, v2
	v_addc_co_u32_e32 v3, vcc, 0, v3, vcc
	s_mov_b64 s[26:27], 0
	s_waitcnt lgkmcnt(0)
	s_barrier
	s_branch .LBB311_3
.LBB311_28:
	s_waitcnt lgkmcnt(3)
	v_add_co_u32_e32 v0, vcc, v15, v31
	v_addc_co_u32_e32 v1, vcc, v16, v32, vcc
	v_add_co_u32_e32 v15, vcc, v17, v33
	v_addc_co_u32_e32 v16, vcc, v18, v34, vcc
	s_waitcnt lgkmcnt(2)
	v_add_co_u32_e32 v11, vcc, v11, v27
	v_addc_co_u32_e32 v12, vcc, v12, v28, vcc
	v_add_co_u32_e32 v13, vcc, v13, v29
	v_addc_co_u32_e32 v14, vcc, v14, v30, vcc
	;; [unrolled: 5-line block ×3, first 2 shown]
	s_waitcnt lgkmcnt(0)
	v_add_co_u32_e32 v2, vcc, v3, v19
	v_addc_co_u32_e32 v3, vcc, v4, v20, vcc
	v_add_co_u32_e32 v4, vcc, v5, v21
	s_add_u32 s0, s30, s34
	v_addc_co_u32_e32 v5, vcc, v6, v22, vcc
	s_addc_u32 s1, s31, s35
	v_mov_b32_e32 v6, s1
	v_add_co_u32_e32 v17, vcc, s0, v69
	v_addc_co_u32_e32 v6, vcc, 0, v6, vcc
	global_store_dwordx2 v69, v[0:1], s[0:1]
	global_store_dwordx2 v69, v[15:16], s[0:1] offset:1536
	global_store_dwordx2 v69, v[11:12], s[0:1] offset:3072
	v_add_co_u32_e32 v0, vcc, 0x1000, v17
	v_addc_co_u32_e32 v1, vcc, 0, v6, vcc
	global_store_dwordx2 v[0:1], v[13:14], off offset:512
	global_store_dwordx2 v[0:1], v[7:8], off offset:2048
	;; [unrolled: 1-line block ×3, first 2 shown]
	v_add_co_u32_e32 v0, vcc, 0x2000, v17
	v_addc_co_u32_e32 v1, vcc, 0, v6, vcc
	global_store_dwordx2 v[0:1], v[2:3], off offset:1024
	global_store_dwordx2 v[0:1], v[4:5], off offset:2560
	s_endpgm
	.section	.rodata,"a",@progbits
	.p2align	6, 0x0
	.amdhsa_kernel _Z17sort_pairs_kernelI22helper_blocked_stripedxLj192ELj8ELj10EEvPKT0_PS1_
		.amdhsa_group_segment_fixed_size 12672
		.amdhsa_private_segment_fixed_size 0
		.amdhsa_kernarg_size 272
		.amdhsa_user_sgpr_count 6
		.amdhsa_user_sgpr_private_segment_buffer 1
		.amdhsa_user_sgpr_dispatch_ptr 0
		.amdhsa_user_sgpr_queue_ptr 0
		.amdhsa_user_sgpr_kernarg_segment_ptr 1
		.amdhsa_user_sgpr_dispatch_id 0
		.amdhsa_user_sgpr_flat_scratch_init 0
		.amdhsa_user_sgpr_private_segment_size 0
		.amdhsa_uses_dynamic_stack 0
		.amdhsa_system_sgpr_private_segment_wavefront_offset 0
		.amdhsa_system_sgpr_workgroup_id_x 1
		.amdhsa_system_sgpr_workgroup_id_y 0
		.amdhsa_system_sgpr_workgroup_id_z 0
		.amdhsa_system_sgpr_workgroup_info 0
		.amdhsa_system_vgpr_workitem_id 2
		.amdhsa_next_free_vgpr 93
		.amdhsa_next_free_sgpr 98
		.amdhsa_reserve_vcc 1
		.amdhsa_reserve_flat_scratch 0
		.amdhsa_float_round_mode_32 0
		.amdhsa_float_round_mode_16_64 0
		.amdhsa_float_denorm_mode_32 3
		.amdhsa_float_denorm_mode_16_64 3
		.amdhsa_dx10_clamp 1
		.amdhsa_ieee_mode 1
		.amdhsa_fp16_overflow 0
		.amdhsa_exception_fp_ieee_invalid_op 0
		.amdhsa_exception_fp_denorm_src 0
		.amdhsa_exception_fp_ieee_div_zero 0
		.amdhsa_exception_fp_ieee_overflow 0
		.amdhsa_exception_fp_ieee_underflow 0
		.amdhsa_exception_fp_ieee_inexact 0
		.amdhsa_exception_int_div_zero 0
	.end_amdhsa_kernel
	.section	.text._Z17sort_pairs_kernelI22helper_blocked_stripedxLj192ELj8ELj10EEvPKT0_PS1_,"axG",@progbits,_Z17sort_pairs_kernelI22helper_blocked_stripedxLj192ELj8ELj10EEvPKT0_PS1_,comdat
.Lfunc_end311:
	.size	_Z17sort_pairs_kernelI22helper_blocked_stripedxLj192ELj8ELj10EEvPKT0_PS1_, .Lfunc_end311-_Z17sort_pairs_kernelI22helper_blocked_stripedxLj192ELj8ELj10EEvPKT0_PS1_
                                        ; -- End function
	.set _Z17sort_pairs_kernelI22helper_blocked_stripedxLj192ELj8ELj10EEvPKT0_PS1_.num_vgpr, 93
	.set _Z17sort_pairs_kernelI22helper_blocked_stripedxLj192ELj8ELj10EEvPKT0_PS1_.num_agpr, 0
	.set _Z17sort_pairs_kernelI22helper_blocked_stripedxLj192ELj8ELj10EEvPKT0_PS1_.numbered_sgpr, 38
	.set _Z17sort_pairs_kernelI22helper_blocked_stripedxLj192ELj8ELj10EEvPKT0_PS1_.num_named_barrier, 0
	.set _Z17sort_pairs_kernelI22helper_blocked_stripedxLj192ELj8ELj10EEvPKT0_PS1_.private_seg_size, 0
	.set _Z17sort_pairs_kernelI22helper_blocked_stripedxLj192ELj8ELj10EEvPKT0_PS1_.uses_vcc, 1
	.set _Z17sort_pairs_kernelI22helper_blocked_stripedxLj192ELj8ELj10EEvPKT0_PS1_.uses_flat_scratch, 0
	.set _Z17sort_pairs_kernelI22helper_blocked_stripedxLj192ELj8ELj10EEvPKT0_PS1_.has_dyn_sized_stack, 0
	.set _Z17sort_pairs_kernelI22helper_blocked_stripedxLj192ELj8ELj10EEvPKT0_PS1_.has_recursion, 0
	.set _Z17sort_pairs_kernelI22helper_blocked_stripedxLj192ELj8ELj10EEvPKT0_PS1_.has_indirect_call, 0
	.section	.AMDGPU.csdata,"",@progbits
; Kernel info:
; codeLenInByte = 5604
; TotalNumSgprs: 42
; NumVgprs: 93
; ScratchSize: 0
; MemoryBound: 0
; FloatMode: 240
; IeeeMode: 1
; LDSByteSize: 12672 bytes/workgroup (compile time only)
; SGPRBlocks: 12
; VGPRBlocks: 23
; NumSGPRsForWavesPerEU: 102
; NumVGPRsForWavesPerEU: 93
; Occupancy: 2
; WaveLimiterHint : 1
; COMPUTE_PGM_RSRC2:SCRATCH_EN: 0
; COMPUTE_PGM_RSRC2:USER_SGPR: 6
; COMPUTE_PGM_RSRC2:TRAP_HANDLER: 0
; COMPUTE_PGM_RSRC2:TGID_X_EN: 1
; COMPUTE_PGM_RSRC2:TGID_Y_EN: 0
; COMPUTE_PGM_RSRC2:TGID_Z_EN: 0
; COMPUTE_PGM_RSRC2:TIDIG_COMP_CNT: 2
	.section	.text._Z16sort_keys_kernelI22helper_blocked_stripedxLj256ELj1ELj10EEvPKT0_PS1_,"axG",@progbits,_Z16sort_keys_kernelI22helper_blocked_stripedxLj256ELj1ELj10EEvPKT0_PS1_,comdat
	.protected	_Z16sort_keys_kernelI22helper_blocked_stripedxLj256ELj1ELj10EEvPKT0_PS1_ ; -- Begin function _Z16sort_keys_kernelI22helper_blocked_stripedxLj256ELj1ELj10EEvPKT0_PS1_
	.globl	_Z16sort_keys_kernelI22helper_blocked_stripedxLj256ELj1ELj10EEvPKT0_PS1_
	.p2align	8
	.type	_Z16sort_keys_kernelI22helper_blocked_stripedxLj256ELj1ELj10EEvPKT0_PS1_,@function
_Z16sort_keys_kernelI22helper_blocked_stripedxLj256ELj1ELj10EEvPKT0_PS1_: ; @_Z16sort_keys_kernelI22helper_blocked_stripedxLj256ELj1ELj10EEvPKT0_PS1_
; %bb.0:
	s_load_dwordx4 s[28:31], s[4:5], 0x0
	s_load_dword s26, s[4:5], 0x1c
	s_lshl_b32 s36, s6, 8
	s_mov_b32 s37, 0
	s_lshl_b64 s[34:35], s[36:37], 3
	s_waitcnt lgkmcnt(0)
	s_add_u32 s0, s28, s34
	s_addc_u32 s1, s29, s35
	v_lshlrev_b32_e32 v3, 3, v0
	global_load_dwordx2 v[3:4], v3, s[0:1]
	s_lshr_b32 s27, s26, 16
	s_and_b32 s26, s26, 0xffff
	v_mad_u32_u24 v1, v2, s27, v1
	v_mbcnt_lo_u32_b32 v6, -1, 0
	v_mad_u64_u32 v[1:2], s[26:27], v1, s26, v[0:1]
	v_mbcnt_hi_u32_b32 v6, -1, v6
	v_and_b32_e32 v7, 0xc0, v0
	v_lshrrev_b32_e32 v8, 4, v0
	s_mov_b32 s10, s37
	v_subrev_co_u32_e64 v13, s[8:9], 1, v6
	v_and_b32_e32 v14, 64, v6
	v_lshlrev_b32_e32 v15, 4, v0
	s_mov_b32 s11, s37
	v_and_b32_e32 v9, 15, v6
	v_and_b32_e32 v10, 16, v6
	v_or_b32_e32 v12, 63, v7
	v_and_b32_e32 v16, 12, v8
	v_lshlrev_b32_e32 v19, 3, v7
	s_mov_b32 s36, s37
	v_mov_b32_e32 v7, s10
	v_cmp_lt_i32_e32 vcc, v13, v14
	v_lshlrev_b32_e32 v11, 2, v0
	v_mad_i32_i24 v17, v0, -12, v15
	v_and_b32_e32 v18, 3, v6
	v_mov_b32_e32 v8, s11
	v_cmp_eq_u32_e64 s[10:11], 0, v9
	v_cmp_lt_u32_e64 s[12:13], 1, v9
	v_cmp_lt_u32_e64 s[14:15], 3, v9
	;; [unrolled: 1-line block ×3, first 2 shown]
	v_cmp_eq_u32_e64 s[18:19], 0, v10
	v_cmp_eq_u32_e64 s[20:21], v0, v12
	v_cndmask_b32_e32 v12, v13, v6, vcc
	v_mov_b32_e32 v9, s36
	v_lshrrev_b32_e32 v1, 4, v1
	v_mov_b32_e32 v5, 0
	v_cmp_gt_u32_e64 s[0:1], 4, v0
	v_cmp_lt_u32_e64 s[2:3], 63, v0
	v_cmp_eq_u32_e64 s[4:5], 0, v0
	v_cmp_lt_u32_e64 s[6:7], 31, v6
	v_cmp_eq_u32_e64 s[22:23], 0, v18
	v_cmp_lt_u32_e64 s[24:25], 1, v18
	v_add_u32_e32 v18, -4, v16
	v_lshl_add_u32 v19, v6, 3, v19
	v_mov_b32_e32 v10, s37
	v_lshlrev_b32_e32 v20, 2, v12
	v_and_b32_e32 v21, 0xffffffc, v1
	v_add_u32_e32 v22, v17, v11
	s_waitcnt vmcnt(0)
	v_xor_b32_e32 v4, 0x80000000, v4
	s_branch .LBB312_2
.LBB312_1:                              ;   in Loop: Header=BB312_2 Depth=1
	v_lshlrev_b32_e32 v1, 3, v1
	s_barrier
	ds_write_b64 v1, v[13:14]
	s_waitcnt lgkmcnt(0)
	s_barrier
	ds_read_b64 v[3:4], v22
	s_add_i32 s37, s37, 1
	s_cmp_eq_u32 s37, 10
	s_cbranch_scc1 .LBB312_14
.LBB312_2:                              ; =>This Loop Header: Depth=1
                                        ;     Child Loop BB312_4 Depth 2
	v_mov_b32_e32 v11, 0
	v_mov_b32_e32 v12, 0
	s_branch .LBB312_4
.LBB312_3:                              ;   in Loop: Header=BB312_4 Depth=2
	s_andn2_b64 vcc, exec, s[26:27]
	s_cbranch_vccz .LBB312_1
.LBB312_4:                              ;   Parent Loop BB312_2 Depth=1
                                        ; =>  This Inner Loop Header: Depth=2
	s_waitcnt lgkmcnt(0)
	v_mov_b32_e32 v14, v4
	v_mov_b32_e32 v13, v3
	v_lshrrev_b64 v[3:4], v11, v[13:14]
	ds_write2_b64 v15, v[9:10], v[7:8] offset0:2 offset1:3
	v_and_b32_e32 v1, 1, v3
	v_cmp_ne_u32_e32 vcc, 0, v1
	v_add_co_u32_e64 v1, s[26:27], -1, v1
	v_addc_co_u32_e64 v2, s[26:27], 0, -1, s[26:27]
	v_lshlrev_b32_e32 v6, 30, v3
	v_cmp_gt_i64_e64 s[26:27], 0, v[5:6]
	v_not_b32_e32 v4, v6
	v_xor_b32_e32 v2, vcc_hi, v2
	v_ashrrev_i32_e32 v4, 31, v4
	v_and_b32_e32 v2, exec_hi, v2
	v_xor_b32_e32 v6, s27, v4
	v_xor_b32_e32 v1, vcc_lo, v1
	v_and_b32_e32 v2, v2, v6
	v_and_b32_e32 v1, exec_lo, v1
	v_xor_b32_e32 v4, s26, v4
	v_lshlrev_b32_e32 v6, 29, v3
	v_and_b32_e32 v1, v1, v4
	v_cmp_gt_i64_e32 vcc, 0, v[5:6]
	v_not_b32_e32 v4, v6
	v_ashrrev_i32_e32 v4, 31, v4
	v_xor_b32_e32 v6, vcc_hi, v4
	v_and_b32_e32 v2, v2, v6
	v_xor_b32_e32 v4, vcc_lo, v4
	v_lshlrev_b32_e32 v6, 28, v3
	v_and_b32_e32 v1, v1, v4
	v_cmp_gt_i64_e32 vcc, 0, v[5:6]
	v_not_b32_e32 v4, v6
	v_ashrrev_i32_e32 v4, 31, v4
	v_xor_b32_e32 v6, vcc_hi, v4
	v_and_b32_e32 v2, v2, v6
	v_xor_b32_e32 v4, vcc_lo, v4
	;; [unrolled: 8-line block ×5, first 2 shown]
	v_lshlrev_b32_e32 v6, 24, v3
	v_and_b32_e32 v1, v1, v4
	v_cmp_gt_i64_e32 vcc, 0, v[5:6]
	v_not_b32_e32 v4, v6
	v_ashrrev_i32_e32 v4, 31, v4
	v_xor_b32_e32 v6, vcc_hi, v4
	v_xor_b32_e32 v4, vcc_lo, v4
	v_lshlrev_b32_e32 v3, 4, v3
	v_and_b32_e32 v1, v1, v4
	v_and_b32_e32 v3, 0xff0, v3
	;; [unrolled: 1-line block ×3, first 2 shown]
	v_add_u32_e32 v6, v21, v3
	v_mbcnt_lo_u32_b32 v3, v1, 0
	v_mbcnt_hi_u32_b32 v23, v2, v3
	v_cmp_ne_u64_e32 vcc, 0, v[1:2]
	v_cmp_eq_u32_e64 s[26:27], 0, v23
	s_and_b64 s[28:29], vcc, s[26:27]
	s_waitcnt lgkmcnt(0)
	s_barrier
	; wave barrier
	s_and_saveexec_b64 s[26:27], s[28:29]
; %bb.5:                                ;   in Loop: Header=BB312_4 Depth=2
	v_bcnt_u32_b32 v1, v1, 0
	v_bcnt_u32_b32 v1, v2, v1
	ds_write_b32 v6, v1 offset:16
; %bb.6:                                ;   in Loop: Header=BB312_4 Depth=2
	s_or_b64 exec, exec, s[26:27]
	; wave barrier
	s_waitcnt lgkmcnt(0)
	s_barrier
	ds_read2_b64 v[1:4], v15 offset0:2 offset1:3
	s_waitcnt lgkmcnt(0)
	v_add_u32_e32 v24, v2, v1
	v_add3_u32 v4, v24, v3, v4
	s_nop 1
	v_mov_b32_dpp v24, v4 row_shr:1 row_mask:0xf bank_mask:0xf
	v_cndmask_b32_e64 v24, v24, 0, s[10:11]
	v_add_u32_e32 v4, v24, v4
	s_nop 1
	v_mov_b32_dpp v24, v4 row_shr:2 row_mask:0xf bank_mask:0xf
	v_cndmask_b32_e64 v24, 0, v24, s[12:13]
	v_add_u32_e32 v4, v4, v24
	;; [unrolled: 4-line block ×4, first 2 shown]
	s_nop 1
	v_mov_b32_dpp v24, v4 row_bcast:15 row_mask:0xf bank_mask:0xf
	v_cndmask_b32_e64 v24, v24, 0, s[18:19]
	v_add_u32_e32 v4, v4, v24
	s_nop 1
	v_mov_b32_dpp v24, v4 row_bcast:31 row_mask:0xf bank_mask:0xf
	v_cndmask_b32_e64 v24, 0, v24, s[6:7]
	v_add_u32_e32 v4, v4, v24
	s_and_saveexec_b64 s[26:27], s[20:21]
; %bb.7:                                ;   in Loop: Header=BB312_4 Depth=2
	ds_write_b32 v16, v4
; %bb.8:                                ;   in Loop: Header=BB312_4 Depth=2
	s_or_b64 exec, exec, s[26:27]
	s_waitcnt lgkmcnt(0)
	s_barrier
	s_and_saveexec_b64 s[26:27], s[0:1]
	s_cbranch_execz .LBB312_10
; %bb.9:                                ;   in Loop: Header=BB312_4 Depth=2
	ds_read_b32 v24, v17
	s_waitcnt lgkmcnt(0)
	s_nop 0
	v_mov_b32_dpp v25, v24 row_shr:1 row_mask:0xf bank_mask:0xf
	v_cndmask_b32_e64 v25, v25, 0, s[22:23]
	v_add_u32_e32 v24, v25, v24
	s_nop 1
	v_mov_b32_dpp v25, v24 row_shr:2 row_mask:0xf bank_mask:0xf
	v_cndmask_b32_e64 v25, 0, v25, s[24:25]
	v_add_u32_e32 v24, v24, v25
	ds_write_b32 v17, v24
.LBB312_10:                             ;   in Loop: Header=BB312_4 Depth=2
	s_or_b64 exec, exec, s[26:27]
	v_mov_b32_e32 v24, 0
	s_waitcnt lgkmcnt(0)
	s_barrier
	s_and_saveexec_b64 s[26:27], s[2:3]
; %bb.11:                               ;   in Loop: Header=BB312_4 Depth=2
	ds_read_b32 v24, v18
; %bb.12:                               ;   in Loop: Header=BB312_4 Depth=2
	s_or_b64 exec, exec, s[26:27]
	s_waitcnt lgkmcnt(0)
	v_add_u32_e32 v4, v24, v4
	ds_bpermute_b32 v4, v20, v4
	v_cmp_lt_u32_e32 vcc, 55, v11
	s_and_b64 vcc, exec, vcc
	s_mov_b64 s[26:27], -1
	s_waitcnt lgkmcnt(0)
	v_cndmask_b32_e64 v4, v4, v24, s[8:9]
	v_cndmask_b32_e64 v24, v4, 0, s[4:5]
	v_add_u32_e32 v25, v24, v1
	v_add_u32_e32 v1, v25, v2
	;; [unrolled: 1-line block ×3, first 2 shown]
	ds_write2_b64 v15, v[24:25], v[1:2] offset0:2 offset1:3
	s_waitcnt lgkmcnt(0)
	s_barrier
	ds_read_b32 v1, v6 offset:16
                                        ; implicit-def: $vgpr3_vgpr4
	s_waitcnt lgkmcnt(0)
	v_add_u32_e32 v1, v1, v23
	s_cbranch_vccnz .LBB312_3
; %bb.13:                               ;   in Loop: Header=BB312_4 Depth=2
	v_lshlrev_b32_e32 v2, 3, v1
	s_barrier
	ds_write_b64 v2, v[13:14]
	s_waitcnt lgkmcnt(0)
	s_barrier
	ds_read_b64 v[3:4], v19
	v_add_co_u32_e32 v11, vcc, 8, v11
	v_addc_co_u32_e32 v12, vcc, 0, v12, vcc
	s_mov_b64 s[26:27], 0
	s_waitcnt lgkmcnt(0)
	s_barrier
	s_branch .LBB312_3
.LBB312_14:
	s_add_u32 s0, s30, s34
	s_waitcnt lgkmcnt(0)
	v_xor_b32_e32 v4, 0x80000000, v4
	s_addc_u32 s1, s31, s35
	v_lshlrev_b32_e32 v0, 3, v0
	global_store_dwordx2 v0, v[3:4], s[0:1]
	s_endpgm
	.section	.rodata,"a",@progbits
	.p2align	6, 0x0
	.amdhsa_kernel _Z16sort_keys_kernelI22helper_blocked_stripedxLj256ELj1ELj10EEvPKT0_PS1_
		.amdhsa_group_segment_fixed_size 4112
		.amdhsa_private_segment_fixed_size 0
		.amdhsa_kernarg_size 272
		.amdhsa_user_sgpr_count 6
		.amdhsa_user_sgpr_private_segment_buffer 1
		.amdhsa_user_sgpr_dispatch_ptr 0
		.amdhsa_user_sgpr_queue_ptr 0
		.amdhsa_user_sgpr_kernarg_segment_ptr 1
		.amdhsa_user_sgpr_dispatch_id 0
		.amdhsa_user_sgpr_flat_scratch_init 0
		.amdhsa_user_sgpr_private_segment_size 0
		.amdhsa_uses_dynamic_stack 0
		.amdhsa_system_sgpr_private_segment_wavefront_offset 0
		.amdhsa_system_sgpr_workgroup_id_x 1
		.amdhsa_system_sgpr_workgroup_id_y 0
		.amdhsa_system_sgpr_workgroup_id_z 0
		.amdhsa_system_sgpr_workgroup_info 0
		.amdhsa_system_vgpr_workitem_id 2
		.amdhsa_next_free_vgpr 26
		.amdhsa_next_free_sgpr 38
		.amdhsa_reserve_vcc 1
		.amdhsa_reserve_flat_scratch 0
		.amdhsa_float_round_mode_32 0
		.amdhsa_float_round_mode_16_64 0
		.amdhsa_float_denorm_mode_32 3
		.amdhsa_float_denorm_mode_16_64 3
		.amdhsa_dx10_clamp 1
		.amdhsa_ieee_mode 1
		.amdhsa_fp16_overflow 0
		.amdhsa_exception_fp_ieee_invalid_op 0
		.amdhsa_exception_fp_denorm_src 0
		.amdhsa_exception_fp_ieee_div_zero 0
		.amdhsa_exception_fp_ieee_overflow 0
		.amdhsa_exception_fp_ieee_underflow 0
		.amdhsa_exception_fp_ieee_inexact 0
		.amdhsa_exception_int_div_zero 0
	.end_amdhsa_kernel
	.section	.text._Z16sort_keys_kernelI22helper_blocked_stripedxLj256ELj1ELj10EEvPKT0_PS1_,"axG",@progbits,_Z16sort_keys_kernelI22helper_blocked_stripedxLj256ELj1ELj10EEvPKT0_PS1_,comdat
.Lfunc_end312:
	.size	_Z16sort_keys_kernelI22helper_blocked_stripedxLj256ELj1ELj10EEvPKT0_PS1_, .Lfunc_end312-_Z16sort_keys_kernelI22helper_blocked_stripedxLj256ELj1ELj10EEvPKT0_PS1_
                                        ; -- End function
	.set _Z16sort_keys_kernelI22helper_blocked_stripedxLj256ELj1ELj10EEvPKT0_PS1_.num_vgpr, 26
	.set _Z16sort_keys_kernelI22helper_blocked_stripedxLj256ELj1ELj10EEvPKT0_PS1_.num_agpr, 0
	.set _Z16sort_keys_kernelI22helper_blocked_stripedxLj256ELj1ELj10EEvPKT0_PS1_.numbered_sgpr, 38
	.set _Z16sort_keys_kernelI22helper_blocked_stripedxLj256ELj1ELj10EEvPKT0_PS1_.num_named_barrier, 0
	.set _Z16sort_keys_kernelI22helper_blocked_stripedxLj256ELj1ELj10EEvPKT0_PS1_.private_seg_size, 0
	.set _Z16sort_keys_kernelI22helper_blocked_stripedxLj256ELj1ELj10EEvPKT0_PS1_.uses_vcc, 1
	.set _Z16sort_keys_kernelI22helper_blocked_stripedxLj256ELj1ELj10EEvPKT0_PS1_.uses_flat_scratch, 0
	.set _Z16sort_keys_kernelI22helper_blocked_stripedxLj256ELj1ELj10EEvPKT0_PS1_.has_dyn_sized_stack, 0
	.set _Z16sort_keys_kernelI22helper_blocked_stripedxLj256ELj1ELj10EEvPKT0_PS1_.has_recursion, 0
	.set _Z16sort_keys_kernelI22helper_blocked_stripedxLj256ELj1ELj10EEvPKT0_PS1_.has_indirect_call, 0
	.section	.AMDGPU.csdata,"",@progbits
; Kernel info:
; codeLenInByte = 1288
; TotalNumSgprs: 42
; NumVgprs: 26
; ScratchSize: 0
; MemoryBound: 0
; FloatMode: 240
; IeeeMode: 1
; LDSByteSize: 4112 bytes/workgroup (compile time only)
; SGPRBlocks: 5
; VGPRBlocks: 6
; NumSGPRsForWavesPerEU: 42
; NumVGPRsForWavesPerEU: 26
; Occupancy: 9
; WaveLimiterHint : 0
; COMPUTE_PGM_RSRC2:SCRATCH_EN: 0
; COMPUTE_PGM_RSRC2:USER_SGPR: 6
; COMPUTE_PGM_RSRC2:TRAP_HANDLER: 0
; COMPUTE_PGM_RSRC2:TGID_X_EN: 1
; COMPUTE_PGM_RSRC2:TGID_Y_EN: 0
; COMPUTE_PGM_RSRC2:TGID_Z_EN: 0
; COMPUTE_PGM_RSRC2:TIDIG_COMP_CNT: 2
	.section	.text._Z17sort_pairs_kernelI22helper_blocked_stripedxLj256ELj1ELj10EEvPKT0_PS1_,"axG",@progbits,_Z17sort_pairs_kernelI22helper_blocked_stripedxLj256ELj1ELj10EEvPKT0_PS1_,comdat
	.protected	_Z17sort_pairs_kernelI22helper_blocked_stripedxLj256ELj1ELj10EEvPKT0_PS1_ ; -- Begin function _Z17sort_pairs_kernelI22helper_blocked_stripedxLj256ELj1ELj10EEvPKT0_PS1_
	.globl	_Z17sort_pairs_kernelI22helper_blocked_stripedxLj256ELj1ELj10EEvPKT0_PS1_
	.p2align	8
	.type	_Z17sort_pairs_kernelI22helper_blocked_stripedxLj256ELj1ELj10EEvPKT0_PS1_,@function
_Z17sort_pairs_kernelI22helper_blocked_stripedxLj256ELj1ELj10EEvPKT0_PS1_: ; @_Z17sort_pairs_kernelI22helper_blocked_stripedxLj256ELj1ELj10EEvPKT0_PS1_
; %bb.0:
	s_load_dwordx4 s[28:31], s[4:5], 0x0
	s_load_dword s26, s[4:5], 0x1c
	s_lshl_b32 s36, s6, 8
	s_mov_b32 s37, 0
	s_lshl_b64 s[34:35], s[36:37], 3
	s_waitcnt lgkmcnt(0)
	s_add_u32 s0, s28, s34
	s_addc_u32 s1, s29, s35
	v_lshlrev_b32_e32 v3, 3, v0
	global_load_dwordx2 v[3:4], v3, s[0:1]
	s_lshr_b32 s27, s26, 16
	s_and_b32 s26, s26, 0xffff
	v_mad_u32_u24 v1, v2, s27, v1
	v_mad_u64_u32 v[1:2], s[26:27], v1, s26, v[0:1]
	v_mbcnt_lo_u32_b32 v6, -1, 0
	v_mbcnt_hi_u32_b32 v6, -1, v6
	v_and_b32_e32 v7, 0xc0, v0
	v_lshrrev_b32_e32 v8, 4, v0
	s_mov_b32 s20, s37
	v_subrev_co_u32_e64 v13, s[8:9], 1, v6
	v_and_b32_e32 v14, 64, v6
	v_lshlrev_b32_e32 v17, 4, v0
	s_mov_b32 s21, s37
	v_and_b32_e32 v9, 15, v6
	v_and_b32_e32 v10, 16, v6
	v_or_b32_e32 v12, 63, v7
	v_and_b32_e32 v18, 12, v8
	v_lshlrev_b32_e32 v16, 3, v7
	s_mov_b32 s36, s37
	v_mov_b32_e32 v7, s20
	v_cmp_lt_i32_e32 vcc, v13, v14
	v_lshrrev_b32_e32 v1, 4, v1
	v_lshlrev_b32_e32 v11, 2, v0
	v_mad_i32_i24 v19, v0, -12, v17
	v_and_b32_e32 v15, 3, v6
	v_cmp_eq_u32_e64 s[10:11], 0, v9
	v_cmp_lt_u32_e64 s[12:13], 1, v9
	v_cmp_lt_u32_e64 s[14:15], 3, v9
	;; [unrolled: 1-line block ×3, first 2 shown]
	v_cmp_eq_u32_e64 s[18:19], 0, v10
	v_mov_b32_e32 v8, s21
	v_cmp_eq_u32_e64 s[20:21], v0, v12
	v_cndmask_b32_e32 v12, v13, v6, vcc
	v_mov_b32_e32 v9, s36
	v_and_b32_e32 v22, 0xffffffc, v1
	v_mov_b32_e32 v5, 0
	v_cmp_gt_u32_e64 s[0:1], 4, v0
	v_cmp_lt_u32_e64 s[2:3], 63, v0
	v_cmp_eq_u32_e64 s[4:5], 0, v0
	v_cmp_lt_u32_e64 s[6:7], 31, v6
	v_cmp_eq_u32_e64 s[22:23], 0, v15
	v_cmp_lt_u32_e64 s[24:25], 1, v15
	v_lshl_add_u32 v20, v6, 3, v16
	v_mov_b32_e32 v10, s37
	v_lshlrev_b32_e32 v21, 2, v12
	v_add_u32_e32 v23, v19, v11
	s_waitcnt vmcnt(0)
	v_add_co_u32_e32 v1, vcc, 1, v3
	v_addc_co_u32_e32 v2, vcc, 0, v4, vcc
	v_xor_b32_e32 v4, 0x80000000, v4
	s_branch .LBB313_2
.LBB313_1:                              ;   in Loop: Header=BB313_2 Depth=1
	v_lshlrev_b32_e32 v1, 3, v6
	s_barrier
	ds_write_b64 v1, v[15:16]
	s_waitcnt lgkmcnt(0)
	s_barrier
	ds_read_b64 v[3:4], v23
	s_waitcnt lgkmcnt(0)
	s_barrier
	ds_write_b64 v1, v[11:12]
	s_waitcnt lgkmcnt(0)
	s_barrier
	ds_read_b64 v[1:2], v23
	s_add_i32 s37, s37, 1
	s_cmp_eq_u32 s37, 10
	s_cbranch_scc1 .LBB313_14
.LBB313_2:                              ; =>This Loop Header: Depth=1
                                        ;     Child Loop BB313_4 Depth 2
	v_mov_b32_e32 v13, 0
	v_mov_b32_e32 v14, 0
	s_branch .LBB313_4
.LBB313_3:                              ;   in Loop: Header=BB313_4 Depth=2
	s_andn2_b64 vcc, exec, s[26:27]
	s_cbranch_vccz .LBB313_1
.LBB313_4:                              ;   Parent Loop BB313_2 Depth=1
                                        ; =>  This Inner Loop Header: Depth=2
	v_mov_b32_e32 v16, v4
	s_waitcnt lgkmcnt(0)
	v_mov_b32_e32 v12, v2
	v_mov_b32_e32 v15, v3
	;; [unrolled: 1-line block ×3, first 2 shown]
	v_lshrrev_b64 v[1:2], v13, v[15:16]
	ds_write2_b64 v17, v[9:10], v[7:8] offset0:2 offset1:3
	v_and_b32_e32 v2, 1, v1
	v_add_co_u32_e32 v3, vcc, -1, v2
	v_addc_co_u32_e64 v4, s[26:27], 0, -1, vcc
	v_cmp_ne_u32_e32 vcc, 0, v2
	v_lshlrev_b32_e32 v6, 30, v1
	v_xor_b32_e32 v2, vcc_hi, v4
	v_xor_b32_e32 v3, vcc_lo, v3
	v_cmp_gt_i64_e32 vcc, 0, v[5:6]
	v_not_b32_e32 v4, v6
	v_ashrrev_i32_e32 v4, 31, v4
	v_and_b32_e32 v2, exec_hi, v2
	v_xor_b32_e32 v6, vcc_hi, v4
	v_and_b32_e32 v3, exec_lo, v3
	v_xor_b32_e32 v4, vcc_lo, v4
	v_and_b32_e32 v2, v2, v6
	v_lshlrev_b32_e32 v6, 29, v1
	v_and_b32_e32 v3, v3, v4
	v_cmp_gt_i64_e32 vcc, 0, v[5:6]
	v_not_b32_e32 v4, v6
	v_ashrrev_i32_e32 v4, 31, v4
	v_xor_b32_e32 v6, vcc_hi, v4
	v_xor_b32_e32 v4, vcc_lo, v4
	v_and_b32_e32 v2, v2, v6
	v_lshlrev_b32_e32 v6, 28, v1
	v_and_b32_e32 v3, v3, v4
	v_cmp_gt_i64_e32 vcc, 0, v[5:6]
	v_not_b32_e32 v4, v6
	v_ashrrev_i32_e32 v4, 31, v4
	v_xor_b32_e32 v6, vcc_hi, v4
	;; [unrolled: 8-line block ×5, first 2 shown]
	v_and_b32_e32 v2, v2, v6
	v_lshlrev_b32_e32 v6, 4, v1
	v_and_b32_e32 v6, 0xff0, v6
	v_add_u32_e32 v24, v22, v6
	v_lshlrev_b32_e32 v6, 24, v1
	v_xor_b32_e32 v4, vcc_lo, v4
	v_cmp_gt_i64_e32 vcc, 0, v[5:6]
	v_not_b32_e32 v1, v6
	v_ashrrev_i32_e32 v1, 31, v1
	v_and_b32_e32 v3, v3, v4
	v_xor_b32_e32 v4, vcc_hi, v1
	v_xor_b32_e32 v1, vcc_lo, v1
	v_and_b32_e32 v1, v3, v1
	v_and_b32_e32 v2, v2, v4
	v_mbcnt_lo_u32_b32 v3, v1, 0
	v_mbcnt_hi_u32_b32 v6, v2, v3
	v_cmp_ne_u64_e32 vcc, 0, v[1:2]
	v_cmp_eq_u32_e64 s[26:27], 0, v6
	s_and_b64 s[28:29], vcc, s[26:27]
	s_waitcnt lgkmcnt(0)
	s_barrier
	; wave barrier
	s_and_saveexec_b64 s[26:27], s[28:29]
; %bb.5:                                ;   in Loop: Header=BB313_4 Depth=2
	v_bcnt_u32_b32 v1, v1, 0
	v_bcnt_u32_b32 v1, v2, v1
	ds_write_b32 v24, v1 offset:16
; %bb.6:                                ;   in Loop: Header=BB313_4 Depth=2
	s_or_b64 exec, exec, s[26:27]
	; wave barrier
	s_waitcnt lgkmcnt(0)
	s_barrier
	ds_read2_b64 v[1:4], v17 offset0:2 offset1:3
	s_waitcnt lgkmcnt(0)
	v_add_u32_e32 v25, v2, v1
	v_add3_u32 v4, v25, v3, v4
	s_nop 1
	v_mov_b32_dpp v25, v4 row_shr:1 row_mask:0xf bank_mask:0xf
	v_cndmask_b32_e64 v25, v25, 0, s[10:11]
	v_add_u32_e32 v4, v25, v4
	s_nop 1
	v_mov_b32_dpp v25, v4 row_shr:2 row_mask:0xf bank_mask:0xf
	v_cndmask_b32_e64 v25, 0, v25, s[12:13]
	v_add_u32_e32 v4, v4, v25
	;; [unrolled: 4-line block ×4, first 2 shown]
	s_nop 1
	v_mov_b32_dpp v25, v4 row_bcast:15 row_mask:0xf bank_mask:0xf
	v_cndmask_b32_e64 v25, v25, 0, s[18:19]
	v_add_u32_e32 v4, v4, v25
	s_nop 1
	v_mov_b32_dpp v25, v4 row_bcast:31 row_mask:0xf bank_mask:0xf
	v_cndmask_b32_e64 v25, 0, v25, s[6:7]
	v_add_u32_e32 v4, v4, v25
	s_and_saveexec_b64 s[26:27], s[20:21]
; %bb.7:                                ;   in Loop: Header=BB313_4 Depth=2
	ds_write_b32 v18, v4
; %bb.8:                                ;   in Loop: Header=BB313_4 Depth=2
	s_or_b64 exec, exec, s[26:27]
	s_waitcnt lgkmcnt(0)
	s_barrier
	s_and_saveexec_b64 s[26:27], s[0:1]
	s_cbranch_execz .LBB313_10
; %bb.9:                                ;   in Loop: Header=BB313_4 Depth=2
	ds_read_b32 v25, v19
	s_waitcnt lgkmcnt(0)
	s_nop 0
	v_mov_b32_dpp v26, v25 row_shr:1 row_mask:0xf bank_mask:0xf
	v_cndmask_b32_e64 v26, v26, 0, s[22:23]
	v_add_u32_e32 v25, v26, v25
	s_nop 1
	v_mov_b32_dpp v26, v25 row_shr:2 row_mask:0xf bank_mask:0xf
	v_cndmask_b32_e64 v26, 0, v26, s[24:25]
	v_add_u32_e32 v25, v25, v26
	ds_write_b32 v19, v25
.LBB313_10:                             ;   in Loop: Header=BB313_4 Depth=2
	s_or_b64 exec, exec, s[26:27]
	v_mov_b32_e32 v25, 0
	s_waitcnt lgkmcnt(0)
	s_barrier
	s_and_saveexec_b64 s[26:27], s[2:3]
; %bb.11:                               ;   in Loop: Header=BB313_4 Depth=2
	v_add_u32_e32 v25, -4, v18
	ds_read_b32 v25, v25
; %bb.12:                               ;   in Loop: Header=BB313_4 Depth=2
	s_or_b64 exec, exec, s[26:27]
	s_waitcnt lgkmcnt(0)
	v_add_u32_e32 v4, v25, v4
	ds_bpermute_b32 v4, v21, v4
	v_cmp_lt_u32_e32 vcc, 55, v13
	s_and_b64 vcc, exec, vcc
	s_mov_b64 s[26:27], -1
	s_waitcnt lgkmcnt(0)
	v_cndmask_b32_e64 v4, v4, v25, s[8:9]
	v_cndmask_b32_e64 v25, v4, 0, s[4:5]
	v_add_u32_e32 v26, v25, v1
	v_add_u32_e32 v1, v26, v2
	;; [unrolled: 1-line block ×3, first 2 shown]
	ds_write2_b64 v17, v[25:26], v[1:2] offset0:2 offset1:3
	s_waitcnt lgkmcnt(0)
	s_barrier
	ds_read_b32 v1, v24 offset:16
                                        ; implicit-def: $vgpr3_vgpr4
	s_waitcnt lgkmcnt(0)
	v_add_u32_e32 v6, v1, v6
                                        ; implicit-def: $vgpr1_vgpr2
	s_cbranch_vccnz .LBB313_3
; %bb.13:                               ;   in Loop: Header=BB313_4 Depth=2
	v_lshlrev_b32_e32 v1, 3, v6
	s_barrier
	ds_write_b64 v1, v[15:16]
	s_waitcnt lgkmcnt(0)
	s_barrier
	ds_read_b64 v[3:4], v20
	s_waitcnt lgkmcnt(0)
	s_barrier
	ds_write_b64 v1, v[11:12]
	s_waitcnt lgkmcnt(0)
	s_barrier
	ds_read_b64 v[1:2], v20
	v_add_co_u32_e32 v13, vcc, 8, v13
	v_addc_co_u32_e32 v14, vcc, 0, v14, vcc
	s_mov_b64 s[26:27], 0
	s_waitcnt lgkmcnt(0)
	s_barrier
	s_branch .LBB313_3
.LBB313_14:
	s_waitcnt lgkmcnt(0)
	v_add_co_u32_e32 v1, vcc, v1, v3
	v_addc_co_u32_e32 v2, vcc, v2, v4, vcc
	s_add_u32 s0, s30, s34
	v_add_u32_e32 v2, 0x80000000, v2
	s_addc_u32 s1, s31, s35
	v_lshlrev_b32_e32 v0, 3, v0
	global_store_dwordx2 v0, v[1:2], s[0:1]
	s_endpgm
	.section	.rodata,"a",@progbits
	.p2align	6, 0x0
	.amdhsa_kernel _Z17sort_pairs_kernelI22helper_blocked_stripedxLj256ELj1ELj10EEvPKT0_PS1_
		.amdhsa_group_segment_fixed_size 4112
		.amdhsa_private_segment_fixed_size 0
		.amdhsa_kernarg_size 272
		.amdhsa_user_sgpr_count 6
		.amdhsa_user_sgpr_private_segment_buffer 1
		.amdhsa_user_sgpr_dispatch_ptr 0
		.amdhsa_user_sgpr_queue_ptr 0
		.amdhsa_user_sgpr_kernarg_segment_ptr 1
		.amdhsa_user_sgpr_dispatch_id 0
		.amdhsa_user_sgpr_flat_scratch_init 0
		.amdhsa_user_sgpr_private_segment_size 0
		.amdhsa_uses_dynamic_stack 0
		.amdhsa_system_sgpr_private_segment_wavefront_offset 0
		.amdhsa_system_sgpr_workgroup_id_x 1
		.amdhsa_system_sgpr_workgroup_id_y 0
		.amdhsa_system_sgpr_workgroup_id_z 0
		.amdhsa_system_sgpr_workgroup_info 0
		.amdhsa_system_vgpr_workitem_id 2
		.amdhsa_next_free_vgpr 27
		.amdhsa_next_free_sgpr 38
		.amdhsa_reserve_vcc 1
		.amdhsa_reserve_flat_scratch 0
		.amdhsa_float_round_mode_32 0
		.amdhsa_float_round_mode_16_64 0
		.amdhsa_float_denorm_mode_32 3
		.amdhsa_float_denorm_mode_16_64 3
		.amdhsa_dx10_clamp 1
		.amdhsa_ieee_mode 1
		.amdhsa_fp16_overflow 0
		.amdhsa_exception_fp_ieee_invalid_op 0
		.amdhsa_exception_fp_denorm_src 0
		.amdhsa_exception_fp_ieee_div_zero 0
		.amdhsa_exception_fp_ieee_overflow 0
		.amdhsa_exception_fp_ieee_underflow 0
		.amdhsa_exception_fp_ieee_inexact 0
		.amdhsa_exception_int_div_zero 0
	.end_amdhsa_kernel
	.section	.text._Z17sort_pairs_kernelI22helper_blocked_stripedxLj256ELj1ELj10EEvPKT0_PS1_,"axG",@progbits,_Z17sort_pairs_kernelI22helper_blocked_stripedxLj256ELj1ELj10EEvPKT0_PS1_,comdat
.Lfunc_end313:
	.size	_Z17sort_pairs_kernelI22helper_blocked_stripedxLj256ELj1ELj10EEvPKT0_PS1_, .Lfunc_end313-_Z17sort_pairs_kernelI22helper_blocked_stripedxLj256ELj1ELj10EEvPKT0_PS1_
                                        ; -- End function
	.set _Z17sort_pairs_kernelI22helper_blocked_stripedxLj256ELj1ELj10EEvPKT0_PS1_.num_vgpr, 27
	.set _Z17sort_pairs_kernelI22helper_blocked_stripedxLj256ELj1ELj10EEvPKT0_PS1_.num_agpr, 0
	.set _Z17sort_pairs_kernelI22helper_blocked_stripedxLj256ELj1ELj10EEvPKT0_PS1_.numbered_sgpr, 38
	.set _Z17sort_pairs_kernelI22helper_blocked_stripedxLj256ELj1ELj10EEvPKT0_PS1_.num_named_barrier, 0
	.set _Z17sort_pairs_kernelI22helper_blocked_stripedxLj256ELj1ELj10EEvPKT0_PS1_.private_seg_size, 0
	.set _Z17sort_pairs_kernelI22helper_blocked_stripedxLj256ELj1ELj10EEvPKT0_PS1_.uses_vcc, 1
	.set _Z17sort_pairs_kernelI22helper_blocked_stripedxLj256ELj1ELj10EEvPKT0_PS1_.uses_flat_scratch, 0
	.set _Z17sort_pairs_kernelI22helper_blocked_stripedxLj256ELj1ELj10EEvPKT0_PS1_.has_dyn_sized_stack, 0
	.set _Z17sort_pairs_kernelI22helper_blocked_stripedxLj256ELj1ELj10EEvPKT0_PS1_.has_recursion, 0
	.set _Z17sort_pairs_kernelI22helper_blocked_stripedxLj256ELj1ELj10EEvPKT0_PS1_.has_indirect_call, 0
	.section	.AMDGPU.csdata,"",@progbits
; Kernel info:
; codeLenInByte = 1368
; TotalNumSgprs: 42
; NumVgprs: 27
; ScratchSize: 0
; MemoryBound: 0
; FloatMode: 240
; IeeeMode: 1
; LDSByteSize: 4112 bytes/workgroup (compile time only)
; SGPRBlocks: 5
; VGPRBlocks: 6
; NumSGPRsForWavesPerEU: 42
; NumVGPRsForWavesPerEU: 27
; Occupancy: 9
; WaveLimiterHint : 0
; COMPUTE_PGM_RSRC2:SCRATCH_EN: 0
; COMPUTE_PGM_RSRC2:USER_SGPR: 6
; COMPUTE_PGM_RSRC2:TRAP_HANDLER: 0
; COMPUTE_PGM_RSRC2:TGID_X_EN: 1
; COMPUTE_PGM_RSRC2:TGID_Y_EN: 0
; COMPUTE_PGM_RSRC2:TGID_Z_EN: 0
; COMPUTE_PGM_RSRC2:TIDIG_COMP_CNT: 2
	.section	.text._Z16sort_keys_kernelI22helper_blocked_stripedxLj256ELj3ELj10EEvPKT0_PS1_,"axG",@progbits,_Z16sort_keys_kernelI22helper_blocked_stripedxLj256ELj3ELj10EEvPKT0_PS1_,comdat
	.protected	_Z16sort_keys_kernelI22helper_blocked_stripedxLj256ELj3ELj10EEvPKT0_PS1_ ; -- Begin function _Z16sort_keys_kernelI22helper_blocked_stripedxLj256ELj3ELj10EEvPKT0_PS1_
	.globl	_Z16sort_keys_kernelI22helper_blocked_stripedxLj256ELj3ELj10EEvPKT0_PS1_
	.p2align	8
	.type	_Z16sort_keys_kernelI22helper_blocked_stripedxLj256ELj3ELj10EEvPKT0_PS1_,@function
_Z16sort_keys_kernelI22helper_blocked_stripedxLj256ELj3ELj10EEvPKT0_PS1_: ; @_Z16sort_keys_kernelI22helper_blocked_stripedxLj256ELj3ELj10EEvPKT0_PS1_
; %bb.0:
	s_load_dwordx4 s[28:31], s[4:5], 0x0
	s_load_dword s2, s[4:5], 0x1c
	s_mul_i32 s34, s6, 0x300
	s_mov_b32 s35, 0
	s_lshl_b64 s[36:37], s[34:35], 3
	s_waitcnt lgkmcnt(0)
	s_add_u32 s0, s28, s36
	v_mul_u32_u24_e32 v3, 3, v0
	s_addc_u32 s1, s29, s37
	v_lshlrev_b32_e32 v7, 3, v3
	global_load_dwordx2 v[12:13], v7, s[0:1] offset:16
	global_load_dwordx4 v[3:6], v7, s[0:1]
	s_lshr_b32 s0, s2, 16
	v_mbcnt_lo_u32_b32 v7, -1, 0
	s_and_b32 s1, s2, 0xffff
	v_mad_u32_u24 v1, v2, s0, v1
	v_mbcnt_hi_u32_b32 v7, -1, v7
	v_mad_u64_u32 v[1:2], s[0:1], v1, s1, v[0:1]
	v_lshrrev_b32_e32 v8, 6, v0
	v_and_b32_e32 v2, 15, v7
	v_mul_u32_u24_e32 v9, 0xc0, v8
	v_cmp_eq_u32_e64 s[0:1], 0, v2
	v_cmp_lt_u32_e64 s[2:3], 1, v2
	v_cmp_lt_u32_e64 s[4:5], 3, v2
	v_cmp_lt_u32_e64 s[6:7], 7, v2
	v_and_b32_e32 v2, 16, v7
	v_lshlrev_b32_e32 v9, 3, v9
	v_lshlrev_b32_e32 v14, 3, v7
	v_cmp_eq_u32_e64 s[8:9], 0, v2
	v_and_b32_e32 v2, 0xc0, v0
	v_mad_u32_u24 v21, v7, 24, v9
	v_add_u32_e32 v22, v14, v9
	v_or_b32_e32 v9, 63, v2
	v_cmp_eq_u32_e64 s[12:13], v0, v9
	v_subrev_co_u32_e64 v9, s[18:19], 1, v7
	v_and_b32_e32 v10, 64, v7
	v_cmp_lt_i32_e32 vcc, v9, v10
	v_lshlrev_b32_e32 v23, 4, v0
	v_cmp_lt_u32_e64 s[10:11], 31, v7
	v_cndmask_b32_e32 v9, v9, v7, vcc
	v_and_b32_e32 v7, 3, v7
	v_lshrrev_b32_e32 v1, 4, v1
	s_mov_b32 s34, s35
	s_mov_b32 s26, s35
	v_lshlrev_b32_e32 v24, 2, v9
	v_lshlrev_b32_e32 v25, 2, v8
	v_mad_i32_i24 v26, v0, -12, v23
	v_cmp_eq_u32_e64 s[22:23], 0, v7
	v_cmp_lt_u32_e64 s[24:25], 1, v7
	v_mul_u32_u24_e32 v2, 24, v2
	v_and_b32_e32 v28, 0xffffffc, v1
	v_lshlrev_b32_e32 v1, 2, v0
	s_mov_b32 s27, s35
	v_mov_b32_e32 v7, s34
	v_mov_b32_e32 v9, s26
	v_cmp_gt_u32_e64 s[14:15], 4, v0
	v_cmp_lt_u32_e64 s[16:17], 63, v0
	v_cmp_eq_u32_e64 s[20:21], 0, v0
	v_add_u32_e32 v27, -4, v25
	v_mov_b32_e32 v8, s35
	v_mov_b32_e32 v10, s27
	;; [unrolled: 1-line block ×3, first 2 shown]
	v_add_u32_e32 v29, v14, v2
	v_add_u32_e32 v30, v26, v1
	s_branch .LBB314_2
.LBB314_1:                              ;   in Loop: Header=BB314_2 Depth=1
	v_lshlrev_b32_e32 v1, 3, v32
	s_barrier
	ds_write_b64 v1, v[13:14]
	v_lshlrev_b32_e32 v1, 3, v31
	ds_write_b64 v1, v[15:16]
	v_lshlrev_b32_e32 v1, 3, v12
	ds_write_b64 v1, v[17:18]
	s_waitcnt lgkmcnt(0)
	s_barrier
	ds_read2st64_b64 v[3:6], v30 offset1:4
	ds_read_b64 v[12:13], v30 offset:4096
	s_add_i32 s35, s35, 1
	s_cmp_eq_u32 s35, 10
	s_waitcnt lgkmcnt(1)
	v_xor_b32_e32 v4, 0x80000000, v4
	v_xor_b32_e32 v6, 0x80000000, v6
	s_waitcnt lgkmcnt(0)
	v_xor_b32_e32 v13, 0x80000000, v13
	s_cbranch_scc1 .LBB314_18
.LBB314_2:                              ; =>This Loop Header: Depth=1
                                        ;     Child Loop BB314_4 Depth 2
	s_waitcnt vmcnt(0)
	v_xor_b32_e32 v4, 0x80000000, v4
	v_xor_b32_e32 v6, 0x80000000, v6
	;; [unrolled: 1-line block ×3, first 2 shown]
	ds_write2_b64 v21, v[3:4], v[5:6] offset1:1
	ds_write_b64 v21, v[12:13] offset:16
	; wave barrier
	ds_read2st64_b64 v[1:4], v22 offset1:1
	ds_read_b64 v[19:20], v22 offset:1024
	v_mov_b32_e32 v5, 0
	v_mov_b32_e32 v6, 0
	s_waitcnt lgkmcnt(0)
	s_barrier
	; wave barrier
	s_barrier
	s_branch .LBB314_4
.LBB314_3:                              ;   in Loop: Header=BB314_4 Depth=2
	s_andn2_b64 vcc, exec, s[26:27]
	s_cbranch_vccz .LBB314_1
.LBB314_4:                              ;   Parent Loop BB314_2 Depth=1
                                        ; =>  This Inner Loop Header: Depth=2
	v_mov_b32_e32 v14, v2
	v_mov_b32_e32 v13, v1
	v_lshrrev_b64 v[31:32], v5, v[13:14]
	v_mov_b32_e32 v16, v4
	v_and_b32_e32 v1, 1, v31
	v_cmp_ne_u32_e32 vcc, 0, v1
	v_add_co_u32_e64 v1, s[26:27], -1, v1
	v_addc_co_u32_e64 v2, s[26:27], 0, -1, s[26:27]
	v_lshlrev_b32_e32 v12, 30, v31
	v_mov_b32_e32 v15, v3
	v_cmp_gt_i64_e64 s[26:27], 0, v[11:12]
	v_not_b32_e32 v3, v12
	v_ashrrev_i32_e32 v3, 31, v3
	v_xor_b32_e32 v1, vcc_lo, v1
	v_xor_b32_e32 v4, s27, v3
	v_and_b32_e32 v1, exec_lo, v1
	v_xor_b32_e32 v3, s26, v3
	v_lshlrev_b32_e32 v12, 29, v31
	v_xor_b32_e32 v2, vcc_hi, v2
	v_and_b32_e32 v1, v1, v3
	v_cmp_gt_i64_e32 vcc, 0, v[11:12]
	v_not_b32_e32 v3, v12
	v_and_b32_e32 v2, exec_hi, v2
	v_ashrrev_i32_e32 v3, 31, v3
	v_and_b32_e32 v2, v2, v4
	v_xor_b32_e32 v4, vcc_hi, v3
	v_xor_b32_e32 v3, vcc_lo, v3
	v_lshlrev_b32_e32 v12, 28, v31
	v_and_b32_e32 v1, v1, v3
	v_cmp_gt_i64_e32 vcc, 0, v[11:12]
	v_not_b32_e32 v3, v12
	v_ashrrev_i32_e32 v3, 31, v3
	v_and_b32_e32 v2, v2, v4
	v_xor_b32_e32 v4, vcc_hi, v3
	v_xor_b32_e32 v3, vcc_lo, v3
	v_lshlrev_b32_e32 v12, 27, v31
	v_and_b32_e32 v1, v1, v3
	v_cmp_gt_i64_e32 vcc, 0, v[11:12]
	v_not_b32_e32 v3, v12
	v_ashrrev_i32_e32 v3, 31, v3
	v_and_b32_e32 v2, v2, v4
	v_xor_b32_e32 v4, vcc_hi, v3
	v_xor_b32_e32 v3, vcc_lo, v3
	v_lshlrev_b32_e32 v12, 26, v31
	v_and_b32_e32 v1, v1, v3
	v_cmp_gt_i64_e32 vcc, 0, v[11:12]
	v_not_b32_e32 v3, v12
	v_ashrrev_i32_e32 v3, 31, v3
	v_and_b32_e32 v2, v2, v4
	v_xor_b32_e32 v4, vcc_hi, v3
	v_xor_b32_e32 v3, vcc_lo, v3
	v_lshlrev_b32_e32 v12, 25, v31
	v_and_b32_e32 v1, v1, v3
	v_cmp_gt_i64_e32 vcc, 0, v[11:12]
	v_not_b32_e32 v3, v12
	v_ashrrev_i32_e32 v3, 31, v3
	v_and_b32_e32 v2, v2, v4
	v_xor_b32_e32 v4, vcc_hi, v3
	v_xor_b32_e32 v3, vcc_lo, v3
	v_lshlrev_b32_e32 v12, 24, v31
	v_and_b32_e32 v1, v1, v3
	v_cmp_gt_i64_e32 vcc, 0, v[11:12]
	v_not_b32_e32 v3, v12
	v_ashrrev_i32_e32 v3, 31, v3
	v_and_b32_e32 v2, v2, v4
	v_xor_b32_e32 v4, vcc_hi, v3
	v_xor_b32_e32 v3, vcc_lo, v3
	v_and_b32_e32 v1, v1, v3
	v_lshlrev_b32_e32 v3, 4, v31
	v_mov_b32_e32 v17, v19
	v_and_b32_e32 v3, 0xff0, v3
	v_and_b32_e32 v2, v2, v4
	v_mov_b32_e32 v18, v20
	v_add_u32_e32 v19, v28, v3
	v_mbcnt_lo_u32_b32 v3, v1, 0
	v_mbcnt_hi_u32_b32 v20, v2, v3
	v_cmp_ne_u64_e32 vcc, 0, v[1:2]
	v_cmp_eq_u32_e64 s[26:27], 0, v20
	s_and_b64 s[28:29], vcc, s[26:27]
	ds_write2_b64 v23, v[7:8], v[9:10] offset0:2 offset1:3
	s_waitcnt lgkmcnt(0)
	s_barrier
	; wave barrier
	s_and_saveexec_b64 s[26:27], s[28:29]
; %bb.5:                                ;   in Loop: Header=BB314_4 Depth=2
	v_bcnt_u32_b32 v1, v1, 0
	v_bcnt_u32_b32 v1, v2, v1
	ds_write_b32 v19, v1 offset:16
; %bb.6:                                ;   in Loop: Header=BB314_4 Depth=2
	s_or_b64 exec, exec, s[26:27]
	v_lshrrev_b64 v[1:2], v5, v[15:16]
	v_lshlrev_b32_e32 v2, 4, v1
	v_and_b32_e32 v2, 0xff0, v2
	v_add_u32_e32 v32, v28, v2
	v_and_b32_e32 v2, 1, v1
	v_add_co_u32_e32 v3, vcc, -1, v2
	v_addc_co_u32_e64 v4, s[26:27], 0, -1, vcc
	v_cmp_ne_u32_e32 vcc, 0, v2
	v_lshlrev_b32_e32 v12, 30, v1
	v_xor_b32_e32 v2, vcc_hi, v4
	v_xor_b32_e32 v3, vcc_lo, v3
	v_cmp_gt_i64_e32 vcc, 0, v[11:12]
	v_not_b32_e32 v4, v12
	v_ashrrev_i32_e32 v4, 31, v4
	v_and_b32_e32 v2, exec_hi, v2
	v_xor_b32_e32 v12, vcc_hi, v4
	v_and_b32_e32 v3, exec_lo, v3
	v_xor_b32_e32 v4, vcc_lo, v4
	v_and_b32_e32 v2, v2, v12
	v_lshlrev_b32_e32 v12, 29, v1
	v_and_b32_e32 v3, v3, v4
	v_cmp_gt_i64_e32 vcc, 0, v[11:12]
	v_not_b32_e32 v4, v12
	v_ashrrev_i32_e32 v4, 31, v4
	v_xor_b32_e32 v12, vcc_hi, v4
	v_xor_b32_e32 v4, vcc_lo, v4
	v_and_b32_e32 v2, v2, v12
	v_lshlrev_b32_e32 v12, 28, v1
	v_and_b32_e32 v3, v3, v4
	v_cmp_gt_i64_e32 vcc, 0, v[11:12]
	v_not_b32_e32 v4, v12
	v_ashrrev_i32_e32 v4, 31, v4
	v_xor_b32_e32 v12, vcc_hi, v4
	;; [unrolled: 8-line block ×5, first 2 shown]
	v_and_b32_e32 v2, v2, v12
	v_lshlrev_b32_e32 v12, 24, v1
	v_xor_b32_e32 v4, vcc_lo, v4
	v_cmp_gt_i64_e32 vcc, 0, v[11:12]
	v_not_b32_e32 v1, v12
	v_ashrrev_i32_e32 v1, 31, v1
	v_and_b32_e32 v3, v3, v4
	v_xor_b32_e32 v4, vcc_hi, v1
	v_xor_b32_e32 v1, vcc_lo, v1
	; wave barrier
	ds_read_b32 v31, v32 offset:16
	v_and_b32_e32 v1, v3, v1
	v_and_b32_e32 v2, v2, v4
	v_mbcnt_lo_u32_b32 v3, v1, 0
	v_mbcnt_hi_u32_b32 v33, v2, v3
	v_cmp_ne_u64_e32 vcc, 0, v[1:2]
	v_cmp_eq_u32_e64 s[26:27], 0, v33
	s_and_b64 s[28:29], vcc, s[26:27]
	; wave barrier
	s_and_saveexec_b64 s[26:27], s[28:29]
	s_cbranch_execz .LBB314_8
; %bb.7:                                ;   in Loop: Header=BB314_4 Depth=2
	v_bcnt_u32_b32 v1, v1, 0
	v_bcnt_u32_b32 v1, v2, v1
	s_waitcnt lgkmcnt(0)
	v_add_u32_e32 v1, v31, v1
	ds_write_b32 v32, v1 offset:16
.LBB314_8:                              ;   in Loop: Header=BB314_4 Depth=2
	s_or_b64 exec, exec, s[26:27]
	v_lshrrev_b64 v[1:2], v5, v[17:18]
	v_lshlrev_b32_e32 v2, 4, v1
	v_and_b32_e32 v2, 0xff0, v2
	v_add_u32_e32 v35, v28, v2
	v_and_b32_e32 v2, 1, v1
	v_add_co_u32_e32 v3, vcc, -1, v2
	v_addc_co_u32_e64 v4, s[26:27], 0, -1, vcc
	v_cmp_ne_u32_e32 vcc, 0, v2
	v_lshlrev_b32_e32 v12, 30, v1
	v_xor_b32_e32 v2, vcc_hi, v4
	v_xor_b32_e32 v3, vcc_lo, v3
	v_cmp_gt_i64_e32 vcc, 0, v[11:12]
	v_not_b32_e32 v4, v12
	v_ashrrev_i32_e32 v4, 31, v4
	v_and_b32_e32 v2, exec_hi, v2
	v_xor_b32_e32 v12, vcc_hi, v4
	v_and_b32_e32 v3, exec_lo, v3
	v_xor_b32_e32 v4, vcc_lo, v4
	v_and_b32_e32 v2, v2, v12
	v_lshlrev_b32_e32 v12, 29, v1
	v_and_b32_e32 v3, v3, v4
	v_cmp_gt_i64_e32 vcc, 0, v[11:12]
	v_not_b32_e32 v4, v12
	v_ashrrev_i32_e32 v4, 31, v4
	v_xor_b32_e32 v12, vcc_hi, v4
	v_xor_b32_e32 v4, vcc_lo, v4
	v_and_b32_e32 v2, v2, v12
	v_lshlrev_b32_e32 v12, 28, v1
	v_and_b32_e32 v3, v3, v4
	v_cmp_gt_i64_e32 vcc, 0, v[11:12]
	v_not_b32_e32 v4, v12
	v_ashrrev_i32_e32 v4, 31, v4
	v_xor_b32_e32 v12, vcc_hi, v4
	;; [unrolled: 8-line block ×5, first 2 shown]
	v_and_b32_e32 v2, v2, v12
	v_lshlrev_b32_e32 v12, 24, v1
	v_xor_b32_e32 v4, vcc_lo, v4
	v_cmp_gt_i64_e32 vcc, 0, v[11:12]
	v_not_b32_e32 v1, v12
	v_ashrrev_i32_e32 v1, 31, v1
	v_and_b32_e32 v3, v3, v4
	v_xor_b32_e32 v4, vcc_hi, v1
	v_xor_b32_e32 v1, vcc_lo, v1
	; wave barrier
	ds_read_b32 v34, v35 offset:16
	v_and_b32_e32 v1, v3, v1
	v_and_b32_e32 v2, v2, v4
	v_mbcnt_lo_u32_b32 v3, v1, 0
	v_mbcnt_hi_u32_b32 v12, v2, v3
	v_cmp_ne_u64_e32 vcc, 0, v[1:2]
	v_cmp_eq_u32_e64 s[26:27], 0, v12
	s_and_b64 s[28:29], vcc, s[26:27]
	; wave barrier
	s_and_saveexec_b64 s[26:27], s[28:29]
	s_cbranch_execz .LBB314_10
; %bb.9:                                ;   in Loop: Header=BB314_4 Depth=2
	v_bcnt_u32_b32 v1, v1, 0
	v_bcnt_u32_b32 v1, v2, v1
	s_waitcnt lgkmcnt(0)
	v_add_u32_e32 v1, v34, v1
	ds_write_b32 v35, v1 offset:16
.LBB314_10:                             ;   in Loop: Header=BB314_4 Depth=2
	s_or_b64 exec, exec, s[26:27]
	; wave barrier
	s_waitcnt lgkmcnt(0)
	s_barrier
	ds_read2_b64 v[1:4], v23 offset0:2 offset1:3
	s_waitcnt lgkmcnt(0)
	v_add_u32_e32 v36, v2, v1
	v_add3_u32 v4, v36, v3, v4
	s_nop 1
	v_mov_b32_dpp v36, v4 row_shr:1 row_mask:0xf bank_mask:0xf
	v_cndmask_b32_e64 v36, v36, 0, s[0:1]
	v_add_u32_e32 v4, v36, v4
	s_nop 1
	v_mov_b32_dpp v36, v4 row_shr:2 row_mask:0xf bank_mask:0xf
	v_cndmask_b32_e64 v36, 0, v36, s[2:3]
	v_add_u32_e32 v4, v4, v36
	;; [unrolled: 4-line block ×4, first 2 shown]
	s_nop 1
	v_mov_b32_dpp v36, v4 row_bcast:15 row_mask:0xf bank_mask:0xf
	v_cndmask_b32_e64 v36, v36, 0, s[8:9]
	v_add_u32_e32 v4, v4, v36
	s_nop 1
	v_mov_b32_dpp v36, v4 row_bcast:31 row_mask:0xf bank_mask:0xf
	v_cndmask_b32_e64 v36, 0, v36, s[10:11]
	v_add_u32_e32 v4, v4, v36
	s_and_saveexec_b64 s[26:27], s[12:13]
; %bb.11:                               ;   in Loop: Header=BB314_4 Depth=2
	ds_write_b32 v25, v4
; %bb.12:                               ;   in Loop: Header=BB314_4 Depth=2
	s_or_b64 exec, exec, s[26:27]
	s_waitcnt lgkmcnt(0)
	s_barrier
	s_and_saveexec_b64 s[26:27], s[14:15]
	s_cbranch_execz .LBB314_14
; %bb.13:                               ;   in Loop: Header=BB314_4 Depth=2
	ds_read_b32 v36, v26
	s_waitcnt lgkmcnt(0)
	s_nop 0
	v_mov_b32_dpp v37, v36 row_shr:1 row_mask:0xf bank_mask:0xf
	v_cndmask_b32_e64 v37, v37, 0, s[22:23]
	v_add_u32_e32 v36, v37, v36
	s_nop 1
	v_mov_b32_dpp v37, v36 row_shr:2 row_mask:0xf bank_mask:0xf
	v_cndmask_b32_e64 v37, 0, v37, s[24:25]
	v_add_u32_e32 v36, v36, v37
	ds_write_b32 v26, v36
.LBB314_14:                             ;   in Loop: Header=BB314_4 Depth=2
	s_or_b64 exec, exec, s[26:27]
	v_mov_b32_e32 v36, 0
	s_waitcnt lgkmcnt(0)
	s_barrier
	s_and_saveexec_b64 s[26:27], s[16:17]
; %bb.15:                               ;   in Loop: Header=BB314_4 Depth=2
	ds_read_b32 v36, v27
; %bb.16:                               ;   in Loop: Header=BB314_4 Depth=2
	s_or_b64 exec, exec, s[26:27]
	s_waitcnt lgkmcnt(0)
	v_add_u32_e32 v4, v36, v4
	ds_bpermute_b32 v4, v24, v4
	v_cmp_lt_u32_e32 vcc, 55, v5
	s_and_b64 vcc, exec, vcc
	s_mov_b64 s[26:27], -1
	s_waitcnt lgkmcnt(0)
	v_cndmask_b32_e64 v4, v4, v36, s[18:19]
	v_cndmask_b32_e64 v36, v4, 0, s[20:21]
	v_add_u32_e32 v37, v36, v1
	v_add_u32_e32 v1, v37, v2
	;; [unrolled: 1-line block ×3, first 2 shown]
	ds_write2_b64 v23, v[36:37], v[1:2] offset0:2 offset1:3
	s_waitcnt lgkmcnt(0)
	s_barrier
	ds_read_b32 v1, v19 offset:16
	ds_read_b32 v2, v32 offset:16
	;; [unrolled: 1-line block ×3, first 2 shown]
	s_waitcnt lgkmcnt(2)
	v_add_u32_e32 v32, v1, v20
	s_waitcnt lgkmcnt(1)
	v_add3_u32 v31, v33, v31, v2
	s_waitcnt lgkmcnt(0)
	v_add3_u32 v12, v12, v34, v3
                                        ; implicit-def: $vgpr19_vgpr20
                                        ; implicit-def: $vgpr3_vgpr4
	s_cbranch_vccnz .LBB314_3
; %bb.17:                               ;   in Loop: Header=BB314_4 Depth=2
	v_lshlrev_b32_e32 v1, 3, v32
	s_barrier
	ds_write_b64 v1, v[13:14]
	v_lshlrev_b32_e32 v1, 3, v31
	ds_write_b64 v1, v[15:16]
	v_lshlrev_b32_e32 v1, 3, v12
	ds_write_b64 v1, v[17:18]
	s_waitcnt lgkmcnt(0)
	s_barrier
	ds_read2st64_b64 v[1:4], v29 offset1:1
	ds_read_b64 v[19:20], v29 offset:1024
	v_add_co_u32_e32 v5, vcc, 8, v5
	v_addc_co_u32_e32 v6, vcc, 0, v6, vcc
	s_mov_b64 s[26:27], 0
	s_waitcnt lgkmcnt(0)
	s_barrier
	s_branch .LBB314_3
.LBB314_18:
	s_add_u32 s0, s30, s36
	s_addc_u32 s1, s31, s37
	v_lshlrev_b32_e32 v0, 3, v0
	v_mov_b32_e32 v1, s1
	v_add_co_u32_e32 v2, vcc, s0, v0
	v_addc_co_u32_e32 v1, vcc, 0, v1, vcc
	global_store_dwordx2 v0, v[3:4], s[0:1]
	global_store_dwordx2 v0, v[5:6], s[0:1] offset:2048
	v_add_co_u32_e32 v0, vcc, 0x1000, v2
	v_addc_co_u32_e32 v1, vcc, 0, v1, vcc
	global_store_dwordx2 v[0:1], v[12:13], off
	s_endpgm
	.section	.rodata,"a",@progbits
	.p2align	6, 0x0
	.amdhsa_kernel _Z16sort_keys_kernelI22helper_blocked_stripedxLj256ELj3ELj10EEvPKT0_PS1_
		.amdhsa_group_segment_fixed_size 6144
		.amdhsa_private_segment_fixed_size 0
		.amdhsa_kernarg_size 272
		.amdhsa_user_sgpr_count 6
		.amdhsa_user_sgpr_private_segment_buffer 1
		.amdhsa_user_sgpr_dispatch_ptr 0
		.amdhsa_user_sgpr_queue_ptr 0
		.amdhsa_user_sgpr_kernarg_segment_ptr 1
		.amdhsa_user_sgpr_dispatch_id 0
		.amdhsa_user_sgpr_flat_scratch_init 0
		.amdhsa_user_sgpr_private_segment_size 0
		.amdhsa_uses_dynamic_stack 0
		.amdhsa_system_sgpr_private_segment_wavefront_offset 0
		.amdhsa_system_sgpr_workgroup_id_x 1
		.amdhsa_system_sgpr_workgroup_id_y 0
		.amdhsa_system_sgpr_workgroup_id_z 0
		.amdhsa_system_sgpr_workgroup_info 0
		.amdhsa_system_vgpr_workitem_id 2
		.amdhsa_next_free_vgpr 38
		.amdhsa_next_free_sgpr 38
		.amdhsa_reserve_vcc 1
		.amdhsa_reserve_flat_scratch 0
		.amdhsa_float_round_mode_32 0
		.amdhsa_float_round_mode_16_64 0
		.amdhsa_float_denorm_mode_32 3
		.amdhsa_float_denorm_mode_16_64 3
		.amdhsa_dx10_clamp 1
		.amdhsa_ieee_mode 1
		.amdhsa_fp16_overflow 0
		.amdhsa_exception_fp_ieee_invalid_op 0
		.amdhsa_exception_fp_denorm_src 0
		.amdhsa_exception_fp_ieee_div_zero 0
		.amdhsa_exception_fp_ieee_overflow 0
		.amdhsa_exception_fp_ieee_underflow 0
		.amdhsa_exception_fp_ieee_inexact 0
		.amdhsa_exception_int_div_zero 0
	.end_amdhsa_kernel
	.section	.text._Z16sort_keys_kernelI22helper_blocked_stripedxLj256ELj3ELj10EEvPKT0_PS1_,"axG",@progbits,_Z16sort_keys_kernelI22helper_blocked_stripedxLj256ELj3ELj10EEvPKT0_PS1_,comdat
.Lfunc_end314:
	.size	_Z16sort_keys_kernelI22helper_blocked_stripedxLj256ELj3ELj10EEvPKT0_PS1_, .Lfunc_end314-_Z16sort_keys_kernelI22helper_blocked_stripedxLj256ELj3ELj10EEvPKT0_PS1_
                                        ; -- End function
	.set _Z16sort_keys_kernelI22helper_blocked_stripedxLj256ELj3ELj10EEvPKT0_PS1_.num_vgpr, 38
	.set _Z16sort_keys_kernelI22helper_blocked_stripedxLj256ELj3ELj10EEvPKT0_PS1_.num_agpr, 0
	.set _Z16sort_keys_kernelI22helper_blocked_stripedxLj256ELj3ELj10EEvPKT0_PS1_.numbered_sgpr, 38
	.set _Z16sort_keys_kernelI22helper_blocked_stripedxLj256ELj3ELj10EEvPKT0_PS1_.num_named_barrier, 0
	.set _Z16sort_keys_kernelI22helper_blocked_stripedxLj256ELj3ELj10EEvPKT0_PS1_.private_seg_size, 0
	.set _Z16sort_keys_kernelI22helper_blocked_stripedxLj256ELj3ELj10EEvPKT0_PS1_.uses_vcc, 1
	.set _Z16sort_keys_kernelI22helper_blocked_stripedxLj256ELj3ELj10EEvPKT0_PS1_.uses_flat_scratch, 0
	.set _Z16sort_keys_kernelI22helper_blocked_stripedxLj256ELj3ELj10EEvPKT0_PS1_.has_dyn_sized_stack, 0
	.set _Z16sort_keys_kernelI22helper_blocked_stripedxLj256ELj3ELj10EEvPKT0_PS1_.has_recursion, 0
	.set _Z16sort_keys_kernelI22helper_blocked_stripedxLj256ELj3ELj10EEvPKT0_PS1_.has_indirect_call, 0
	.section	.AMDGPU.csdata,"",@progbits
; Kernel info:
; codeLenInByte = 2300
; TotalNumSgprs: 42
; NumVgprs: 38
; ScratchSize: 0
; MemoryBound: 0
; FloatMode: 240
; IeeeMode: 1
; LDSByteSize: 6144 bytes/workgroup (compile time only)
; SGPRBlocks: 5
; VGPRBlocks: 9
; NumSGPRsForWavesPerEU: 42
; NumVGPRsForWavesPerEU: 38
; Occupancy: 6
; WaveLimiterHint : 1
; COMPUTE_PGM_RSRC2:SCRATCH_EN: 0
; COMPUTE_PGM_RSRC2:USER_SGPR: 6
; COMPUTE_PGM_RSRC2:TRAP_HANDLER: 0
; COMPUTE_PGM_RSRC2:TGID_X_EN: 1
; COMPUTE_PGM_RSRC2:TGID_Y_EN: 0
; COMPUTE_PGM_RSRC2:TGID_Z_EN: 0
; COMPUTE_PGM_RSRC2:TIDIG_COMP_CNT: 2
	.section	.text._Z17sort_pairs_kernelI22helper_blocked_stripedxLj256ELj3ELj10EEvPKT0_PS1_,"axG",@progbits,_Z17sort_pairs_kernelI22helper_blocked_stripedxLj256ELj3ELj10EEvPKT0_PS1_,comdat
	.protected	_Z17sort_pairs_kernelI22helper_blocked_stripedxLj256ELj3ELj10EEvPKT0_PS1_ ; -- Begin function _Z17sort_pairs_kernelI22helper_blocked_stripedxLj256ELj3ELj10EEvPKT0_PS1_
	.globl	_Z17sort_pairs_kernelI22helper_blocked_stripedxLj256ELj3ELj10EEvPKT0_PS1_
	.p2align	8
	.type	_Z17sort_pairs_kernelI22helper_blocked_stripedxLj256ELj3ELj10EEvPKT0_PS1_,@function
_Z17sort_pairs_kernelI22helper_blocked_stripedxLj256ELj3ELj10EEvPKT0_PS1_: ; @_Z17sort_pairs_kernelI22helper_blocked_stripedxLj256ELj3ELj10EEvPKT0_PS1_
; %bb.0:
	s_load_dwordx4 s[28:31], s[4:5], 0x0
	s_load_dword s26, s[4:5], 0x1c
	s_mul_i32 s36, s6, 0x300
	s_mov_b32 s37, 0
	s_lshl_b64 s[34:35], s[36:37], 3
	s_waitcnt lgkmcnt(0)
	s_add_u32 s0, s28, s34
	v_mul_u32_u24_e32 v3, 3, v0
	s_addc_u32 s1, s29, s35
	v_lshlrev_b32_e32 v7, 3, v3
	global_load_dwordx4 v[3:6], v7, s[0:1]
	global_load_dwordx2 v[21:22], v7, s[0:1] offset:16
	v_mbcnt_lo_u32_b32 v7, -1, 0
	v_mbcnt_hi_u32_b32 v7, -1, v7
	v_lshrrev_b32_e32 v8, 6, v0
	v_and_b32_e32 v9, 0xc0, v0
	v_mul_u32_u24_e32 v13, 0xc0, v8
	v_and_b32_e32 v16, 16, v7
	v_subrev_co_u32_e64 v18, s[8:9], 1, v7
	v_and_b32_e32 v19, 64, v7
	s_lshr_b32 s27, s26, 16
	v_or_b32_e32 v17, 63, v9
	v_cmp_eq_u32_e64 s[18:19], 0, v16
	v_lshlrev_b32_e32 v16, 3, v13
	v_cmp_lt_i32_e32 vcc, v18, v19
	s_and_b32 s26, s26, 0xffff
	v_mad_u32_u24 v1, v2, s27, v1
	v_lshlrev_b32_e32 v15, 3, v7
	v_and_b32_e32 v14, 15, v7
	v_cmp_lt_u32_e64 s[6:7], 31, v7
	v_lshlrev_b32_e32 v34, 2, v8
	v_and_b32_e32 v8, 3, v7
	v_cmp_eq_u32_e64 s[20:21], v0, v17
	v_cndmask_b32_e32 v17, v18, v7, vcc
	v_mad_u64_u32 v[1:2], s[26:27], v1, s26, v[0:1]
	v_mad_u32_u24 v39, v7, 24, v16
	v_lshlrev_b32_e32 v33, 4, v0
	v_mul_u32_u24_e32 v9, 24, v9
	v_cmp_eq_u32_e64 s[22:23], 0, v8
	v_cmp_lt_u32_e64 s[24:25], 1, v8
	v_lshlrev_b32_e32 v10, 2, v0
	s_mov_b32 s11, s37
	v_mad_i32_i24 v35, v0, -12, v33
	v_add_u32_e32 v36, v15, v9
	s_mov_b32 s10, s37
	s_mov_b32 s36, s37
	v_mov_b32_e32 v12, s11
	v_add_u32_e32 v37, v35, v10
	v_mov_b32_e32 v11, s10
	v_cmp_eq_u32_e64 s[10:11], 0, v14
	v_cmp_lt_u32_e64 s[12:13], 1, v14
	v_cmp_lt_u32_e64 s[14:15], 3, v14
	;; [unrolled: 1-line block ×3, first 2 shown]
	v_mov_b32_e32 v13, s36
	v_add_u32_e32 v40, v15, v16
	v_lshrrev_b32_e32 v1, 4, v1
	v_cmp_gt_u32_e64 s[0:1], 4, v0
	v_cmp_lt_u32_e64 s[2:3], 63, v0
	v_cmp_eq_u32_e64 s[4:5], 0, v0
	v_add_u32_e32 v38, -4, v34
	v_mov_b32_e32 v14, s37
	v_lshlrev_b32_e32 v41, 2, v17
	v_and_b32_e32 v42, 0xffffffc, v1
	v_mov_b32_e32 v15, 0
	s_waitcnt vmcnt(1)
	v_add_co_u32_e32 v7, vcc, 1, v3
	v_addc_co_u32_e32 v8, vcc, 0, v4, vcc
	v_add_co_u32_e32 v9, vcc, 1, v5
	v_addc_co_u32_e32 v10, vcc, 0, v6, vcc
	s_waitcnt vmcnt(0)
	v_add_co_u32_e32 v16, vcc, 1, v21
	v_addc_co_u32_e32 v17, vcc, 0, v22, vcc
	s_branch .LBB315_2
.LBB315_1:                              ;   in Loop: Header=BB315_2 Depth=1
	v_lshlrev_b32_e32 v1, 3, v44
	v_lshlrev_b32_e32 v2, 3, v43
	;; [unrolled: 1-line block ×3, first 2 shown]
	s_barrier
	ds_write_b64 v1, v[27:28]
	ds_write_b64 v2, v[25:26]
	;; [unrolled: 1-line block ×3, first 2 shown]
	s_waitcnt lgkmcnt(0)
	s_barrier
	ds_read2st64_b64 v[3:6], v37 offset1:4
	ds_read_b64 v[21:22], v37 offset:4096
	s_waitcnt lgkmcnt(0)
	s_barrier
	ds_write_b64 v1, v[19:20]
	ds_write_b64 v2, v[17:18]
	;; [unrolled: 1-line block ×3, first 2 shown]
	s_waitcnt lgkmcnt(0)
	s_barrier
	ds_read2st64_b64 v[7:10], v37 offset1:4
	ds_read_b64 v[16:17], v37 offset:4096
	s_add_i32 s37, s37, 1
	v_xor_b32_e32 v4, 0x80000000, v4
	v_xor_b32_e32 v6, 0x80000000, v6
	s_cmp_eq_u32 s37, 10
	v_xor_b32_e32 v22, 0x80000000, v22
	s_cbranch_scc1 .LBB315_18
.LBB315_2:                              ; =>This Loop Header: Depth=1
                                        ;     Child Loop BB315_4 Depth 2
	v_xor_b32_e32 v4, 0x80000000, v4
	v_xor_b32_e32 v6, 0x80000000, v6
	v_xor_b32_e32 v22, 0x80000000, v22
	ds_write2_b64 v39, v[3:4], v[5:6] offset1:1
	ds_write_b64 v39, v[21:22] offset:16
	; wave barrier
	ds_read2st64_b64 v[1:4], v40 offset1:1
	ds_read_b64 v[29:30], v40 offset:1024
	; wave barrier
	s_waitcnt lgkmcnt(5)
	ds_write2_b64 v39, v[7:8], v[9:10] offset1:1
	s_waitcnt lgkmcnt(5)
	ds_write_b64 v39, v[16:17] offset:16
	; wave barrier
	ds_read2st64_b64 v[5:8], v40 offset1:1
	ds_read_b64 v[31:32], v40 offset:1024
	v_mov_b32_e32 v21, 0
	v_mov_b32_e32 v22, 0
	s_waitcnt lgkmcnt(0)
	s_barrier
	s_branch .LBB315_4
.LBB315_3:                              ;   in Loop: Header=BB315_4 Depth=2
	s_andn2_b64 vcc, exec, s[26:27]
	s_cbranch_vccz .LBB315_1
.LBB315_4:                              ;   Parent Loop BB315_2 Depth=1
                                        ; =>  This Inner Loop Header: Depth=2
	v_mov_b32_e32 v28, v2
	v_mov_b32_e32 v27, v1
	v_lshrrev_b64 v[1:2], v21, v[27:28]
	v_mov_b32_e32 v26, v4
	v_and_b32_e32 v2, 1, v1
	v_mov_b32_e32 v25, v3
	v_add_co_u32_e32 v3, vcc, -1, v2
	v_addc_co_u32_e64 v4, s[26:27], 0, -1, vcc
	v_cmp_ne_u32_e32 vcc, 0, v2
	v_lshlrev_b32_e32 v16, 30, v1
	v_xor_b32_e32 v2, vcc_hi, v4
	v_xor_b32_e32 v3, vcc_lo, v3
	v_cmp_gt_i64_e32 vcc, 0, v[15:16]
	v_not_b32_e32 v4, v16
	v_mov_b32_e32 v20, v6
	v_ashrrev_i32_e32 v4, 31, v4
	v_mov_b32_e32 v19, v5
	v_and_b32_e32 v3, exec_lo, v3
	v_xor_b32_e32 v5, vcc_hi, v4
	v_xor_b32_e32 v4, vcc_lo, v4
	v_lshlrev_b32_e32 v16, 29, v1
	v_and_b32_e32 v3, v3, v4
	v_cmp_gt_i64_e32 vcc, 0, v[15:16]
	v_not_b32_e32 v4, v16
	v_and_b32_e32 v2, exec_hi, v2
	v_ashrrev_i32_e32 v4, 31, v4
	v_and_b32_e32 v2, v2, v5
	v_xor_b32_e32 v5, vcc_hi, v4
	v_xor_b32_e32 v4, vcc_lo, v4
	v_lshlrev_b32_e32 v16, 28, v1
	v_and_b32_e32 v3, v3, v4
	v_cmp_gt_i64_e32 vcc, 0, v[15:16]
	v_not_b32_e32 v4, v16
	v_ashrrev_i32_e32 v4, 31, v4
	v_and_b32_e32 v2, v2, v5
	v_xor_b32_e32 v5, vcc_hi, v4
	v_xor_b32_e32 v4, vcc_lo, v4
	v_lshlrev_b32_e32 v16, 27, v1
	v_and_b32_e32 v3, v3, v4
	v_cmp_gt_i64_e32 vcc, 0, v[15:16]
	v_not_b32_e32 v4, v16
	v_ashrrev_i32_e32 v4, 31, v4
	v_and_b32_e32 v2, v2, v5
	v_xor_b32_e32 v5, vcc_hi, v4
	v_xor_b32_e32 v4, vcc_lo, v4
	v_lshlrev_b32_e32 v16, 26, v1
	v_and_b32_e32 v3, v3, v4
	v_cmp_gt_i64_e32 vcc, 0, v[15:16]
	v_not_b32_e32 v4, v16
	v_ashrrev_i32_e32 v4, 31, v4
	v_and_b32_e32 v2, v2, v5
	v_xor_b32_e32 v5, vcc_hi, v4
	v_xor_b32_e32 v4, vcc_lo, v4
	v_lshlrev_b32_e32 v16, 25, v1
	v_and_b32_e32 v3, v3, v4
	v_cmp_gt_i64_e32 vcc, 0, v[15:16]
	v_not_b32_e32 v4, v16
	v_ashrrev_i32_e32 v4, 31, v4
	v_and_b32_e32 v2, v2, v5
	v_xor_b32_e32 v5, vcc_hi, v4
	v_lshlrev_b32_e32 v16, 24, v1
	v_and_b32_e32 v2, v2, v5
	v_lshlrev_b32_e32 v5, 4, v1
	v_xor_b32_e32 v4, vcc_lo, v4
	v_cmp_gt_i64_e32 vcc, 0, v[15:16]
	v_not_b32_e32 v1, v16
	v_ashrrev_i32_e32 v1, 31, v1
	v_and_b32_e32 v3, v3, v4
	v_xor_b32_e32 v4, vcc_hi, v1
	v_xor_b32_e32 v1, vcc_lo, v1
	v_and_b32_e32 v1, v3, v1
	v_and_b32_e32 v2, v2, v4
	v_mbcnt_lo_u32_b32 v3, v1, 0
	v_mbcnt_hi_u32_b32 v6, v2, v3
	v_cmp_ne_u64_e32 vcc, 0, v[1:2]
	v_mov_b32_e32 v23, v29
	v_mov_b32_e32 v9, v31
	;; [unrolled: 1-line block ×3, first 2 shown]
	v_and_b32_e32 v5, 0xff0, v5
	v_cmp_eq_u32_e64 s[26:27], 0, v6
	v_mov_b32_e32 v24, v30
	v_mov_b32_e32 v10, v32
	;; [unrolled: 1-line block ×3, first 2 shown]
	v_add_u32_e32 v5, v42, v5
	s_and_b64 s[28:29], vcc, s[26:27]
	ds_write2_b64 v33, v[13:14], v[11:12] offset0:2 offset1:3
	s_waitcnt lgkmcnt(0)
	s_barrier
	; wave barrier
	s_and_saveexec_b64 s[26:27], s[28:29]
; %bb.5:                                ;   in Loop: Header=BB315_4 Depth=2
	v_bcnt_u32_b32 v1, v1, 0
	v_bcnt_u32_b32 v1, v2, v1
	ds_write_b32 v5, v1 offset:16
; %bb.6:                                ;   in Loop: Header=BB315_4 Depth=2
	s_or_b64 exec, exec, s[26:27]
	v_lshrrev_b64 v[1:2], v21, v[25:26]
	v_lshlrev_b32_e32 v2, 4, v1
	v_and_b32_e32 v2, 0xff0, v2
	v_add_u32_e32 v8, v42, v2
	v_and_b32_e32 v2, 1, v1
	v_add_co_u32_e32 v3, vcc, -1, v2
	v_addc_co_u32_e64 v4, s[26:27], 0, -1, vcc
	v_cmp_ne_u32_e32 vcc, 0, v2
	v_lshlrev_b32_e32 v16, 30, v1
	v_xor_b32_e32 v2, vcc_hi, v4
	v_xor_b32_e32 v3, vcc_lo, v3
	v_cmp_gt_i64_e32 vcc, 0, v[15:16]
	v_not_b32_e32 v4, v16
	v_ashrrev_i32_e32 v4, 31, v4
	v_and_b32_e32 v2, exec_hi, v2
	v_xor_b32_e32 v16, vcc_hi, v4
	v_and_b32_e32 v3, exec_lo, v3
	v_xor_b32_e32 v4, vcc_lo, v4
	v_and_b32_e32 v2, v2, v16
	v_lshlrev_b32_e32 v16, 29, v1
	v_and_b32_e32 v3, v3, v4
	v_cmp_gt_i64_e32 vcc, 0, v[15:16]
	v_not_b32_e32 v4, v16
	v_ashrrev_i32_e32 v4, 31, v4
	v_xor_b32_e32 v16, vcc_hi, v4
	v_xor_b32_e32 v4, vcc_lo, v4
	v_and_b32_e32 v2, v2, v16
	v_lshlrev_b32_e32 v16, 28, v1
	v_and_b32_e32 v3, v3, v4
	v_cmp_gt_i64_e32 vcc, 0, v[15:16]
	v_not_b32_e32 v4, v16
	v_ashrrev_i32_e32 v4, 31, v4
	v_xor_b32_e32 v16, vcc_hi, v4
	;; [unrolled: 8-line block ×5, first 2 shown]
	v_and_b32_e32 v2, v2, v16
	v_lshlrev_b32_e32 v16, 24, v1
	v_xor_b32_e32 v4, vcc_lo, v4
	v_cmp_gt_i64_e32 vcc, 0, v[15:16]
	v_not_b32_e32 v1, v16
	v_ashrrev_i32_e32 v1, 31, v1
	v_and_b32_e32 v3, v3, v4
	v_xor_b32_e32 v4, vcc_hi, v1
	v_xor_b32_e32 v1, vcc_lo, v1
	; wave barrier
	ds_read_b32 v7, v8 offset:16
	v_and_b32_e32 v1, v3, v1
	v_and_b32_e32 v2, v2, v4
	v_mbcnt_lo_u32_b32 v3, v1, 0
	v_mbcnt_hi_u32_b32 v29, v2, v3
	v_cmp_ne_u64_e32 vcc, 0, v[1:2]
	v_cmp_eq_u32_e64 s[26:27], 0, v29
	s_and_b64 s[28:29], vcc, s[26:27]
	; wave barrier
	s_and_saveexec_b64 s[26:27], s[28:29]
	s_cbranch_execz .LBB315_8
; %bb.7:                                ;   in Loop: Header=BB315_4 Depth=2
	v_bcnt_u32_b32 v1, v1, 0
	v_bcnt_u32_b32 v1, v2, v1
	s_waitcnt lgkmcnt(0)
	v_add_u32_e32 v1, v7, v1
	ds_write_b32 v8, v1 offset:16
.LBB315_8:                              ;   in Loop: Header=BB315_4 Depth=2
	s_or_b64 exec, exec, s[26:27]
	v_lshrrev_b64 v[1:2], v21, v[23:24]
	v_lshlrev_b32_e32 v2, 4, v1
	v_and_b32_e32 v2, 0xff0, v2
	v_add_u32_e32 v31, v42, v2
	v_and_b32_e32 v2, 1, v1
	v_add_co_u32_e32 v3, vcc, -1, v2
	v_addc_co_u32_e64 v4, s[26:27], 0, -1, vcc
	v_cmp_ne_u32_e32 vcc, 0, v2
	v_lshlrev_b32_e32 v16, 30, v1
	v_xor_b32_e32 v2, vcc_hi, v4
	v_xor_b32_e32 v3, vcc_lo, v3
	v_cmp_gt_i64_e32 vcc, 0, v[15:16]
	v_not_b32_e32 v4, v16
	v_ashrrev_i32_e32 v4, 31, v4
	v_and_b32_e32 v2, exec_hi, v2
	v_xor_b32_e32 v16, vcc_hi, v4
	v_and_b32_e32 v3, exec_lo, v3
	v_xor_b32_e32 v4, vcc_lo, v4
	v_and_b32_e32 v2, v2, v16
	v_lshlrev_b32_e32 v16, 29, v1
	v_and_b32_e32 v3, v3, v4
	v_cmp_gt_i64_e32 vcc, 0, v[15:16]
	v_not_b32_e32 v4, v16
	v_ashrrev_i32_e32 v4, 31, v4
	v_xor_b32_e32 v16, vcc_hi, v4
	v_xor_b32_e32 v4, vcc_lo, v4
	v_and_b32_e32 v2, v2, v16
	v_lshlrev_b32_e32 v16, 28, v1
	v_and_b32_e32 v3, v3, v4
	v_cmp_gt_i64_e32 vcc, 0, v[15:16]
	v_not_b32_e32 v4, v16
	v_ashrrev_i32_e32 v4, 31, v4
	v_xor_b32_e32 v16, vcc_hi, v4
	;; [unrolled: 8-line block ×5, first 2 shown]
	v_and_b32_e32 v2, v2, v16
	v_lshlrev_b32_e32 v16, 24, v1
	v_xor_b32_e32 v4, vcc_lo, v4
	v_cmp_gt_i64_e32 vcc, 0, v[15:16]
	v_not_b32_e32 v1, v16
	v_ashrrev_i32_e32 v1, 31, v1
	v_and_b32_e32 v3, v3, v4
	v_xor_b32_e32 v4, vcc_hi, v1
	v_xor_b32_e32 v1, vcc_lo, v1
	; wave barrier
	ds_read_b32 v30, v31 offset:16
	v_and_b32_e32 v1, v3, v1
	v_and_b32_e32 v2, v2, v4
	v_mbcnt_lo_u32_b32 v3, v1, 0
	v_mbcnt_hi_u32_b32 v16, v2, v3
	v_cmp_ne_u64_e32 vcc, 0, v[1:2]
	v_cmp_eq_u32_e64 s[26:27], 0, v16
	s_and_b64 s[28:29], vcc, s[26:27]
	; wave barrier
	s_and_saveexec_b64 s[26:27], s[28:29]
	s_cbranch_execz .LBB315_10
; %bb.9:                                ;   in Loop: Header=BB315_4 Depth=2
	v_bcnt_u32_b32 v1, v1, 0
	v_bcnt_u32_b32 v1, v2, v1
	s_waitcnt lgkmcnt(0)
	v_add_u32_e32 v1, v30, v1
	ds_write_b32 v31, v1 offset:16
.LBB315_10:                             ;   in Loop: Header=BB315_4 Depth=2
	s_or_b64 exec, exec, s[26:27]
	; wave barrier
	s_waitcnt lgkmcnt(0)
	s_barrier
	ds_read2_b64 v[1:4], v33 offset0:2 offset1:3
	s_waitcnt lgkmcnt(0)
	v_add_u32_e32 v32, v2, v1
	v_add3_u32 v4, v32, v3, v4
	s_nop 1
	v_mov_b32_dpp v32, v4 row_shr:1 row_mask:0xf bank_mask:0xf
	v_cndmask_b32_e64 v32, v32, 0, s[10:11]
	v_add_u32_e32 v4, v32, v4
	s_nop 1
	v_mov_b32_dpp v32, v4 row_shr:2 row_mask:0xf bank_mask:0xf
	v_cndmask_b32_e64 v32, 0, v32, s[12:13]
	v_add_u32_e32 v4, v4, v32
	;; [unrolled: 4-line block ×4, first 2 shown]
	s_nop 1
	v_mov_b32_dpp v32, v4 row_bcast:15 row_mask:0xf bank_mask:0xf
	v_cndmask_b32_e64 v32, v32, 0, s[18:19]
	v_add_u32_e32 v4, v4, v32
	s_nop 1
	v_mov_b32_dpp v32, v4 row_bcast:31 row_mask:0xf bank_mask:0xf
	v_cndmask_b32_e64 v32, 0, v32, s[6:7]
	v_add_u32_e32 v4, v4, v32
	s_and_saveexec_b64 s[26:27], s[20:21]
; %bb.11:                               ;   in Loop: Header=BB315_4 Depth=2
	ds_write_b32 v34, v4
; %bb.12:                               ;   in Loop: Header=BB315_4 Depth=2
	s_or_b64 exec, exec, s[26:27]
	s_waitcnt lgkmcnt(0)
	s_barrier
	s_and_saveexec_b64 s[26:27], s[0:1]
	s_cbranch_execz .LBB315_14
; %bb.13:                               ;   in Loop: Header=BB315_4 Depth=2
	ds_read_b32 v32, v35
	s_waitcnt lgkmcnt(0)
	s_nop 0
	v_mov_b32_dpp v43, v32 row_shr:1 row_mask:0xf bank_mask:0xf
	v_cndmask_b32_e64 v43, v43, 0, s[22:23]
	v_add_u32_e32 v32, v43, v32
	s_nop 1
	v_mov_b32_dpp v43, v32 row_shr:2 row_mask:0xf bank_mask:0xf
	v_cndmask_b32_e64 v43, 0, v43, s[24:25]
	v_add_u32_e32 v32, v32, v43
	ds_write_b32 v35, v32
.LBB315_14:                             ;   in Loop: Header=BB315_4 Depth=2
	s_or_b64 exec, exec, s[26:27]
	v_mov_b32_e32 v32, 0
	s_waitcnt lgkmcnt(0)
	s_barrier
	s_and_saveexec_b64 s[26:27], s[2:3]
; %bb.15:                               ;   in Loop: Header=BB315_4 Depth=2
	ds_read_b32 v32, v38
; %bb.16:                               ;   in Loop: Header=BB315_4 Depth=2
	s_or_b64 exec, exec, s[26:27]
	s_waitcnt lgkmcnt(0)
	v_add_u32_e32 v4, v32, v4
	ds_bpermute_b32 v4, v41, v4
	v_cmp_lt_u32_e32 vcc, 55, v21
	s_and_b64 vcc, exec, vcc
	s_mov_b64 s[26:27], -1
	s_waitcnt lgkmcnt(0)
	v_cndmask_b32_e64 v4, v4, v32, s[8:9]
	v_cndmask_b32_e64 v43, v4, 0, s[4:5]
	v_add_u32_e32 v44, v43, v1
	v_add_u32_e32 v1, v44, v2
	;; [unrolled: 1-line block ×3, first 2 shown]
	ds_write2_b64 v33, v[43:44], v[1:2] offset0:2 offset1:3
	s_waitcnt lgkmcnt(0)
	s_barrier
	ds_read_b32 v1, v5 offset:16
	ds_read_b32 v2, v8 offset:16
	;; [unrolled: 1-line block ×3, first 2 shown]
                                        ; implicit-def: $vgpr31_vgpr32
	s_waitcnt lgkmcnt(2)
	v_add_u32_e32 v44, v1, v6
	s_waitcnt lgkmcnt(1)
	v_add3_u32 v43, v29, v7, v2
	s_waitcnt lgkmcnt(0)
	v_add3_u32 v16, v16, v30, v3
                                        ; implicit-def: $vgpr29_vgpr30
                                        ; implicit-def: $vgpr3_vgpr4
                                        ; implicit-def: $vgpr7_vgpr8
	s_cbranch_vccnz .LBB315_3
; %bb.17:                               ;   in Loop: Header=BB315_4 Depth=2
	v_lshlrev_b32_e32 v5, 3, v44
	v_lshlrev_b32_e32 v6, 3, v43
	;; [unrolled: 1-line block ×3, first 2 shown]
	s_barrier
	ds_write_b64 v5, v[27:28]
	ds_write_b64 v6, v[25:26]
	;; [unrolled: 1-line block ×3, first 2 shown]
	s_waitcnt lgkmcnt(0)
	s_barrier
	ds_read2st64_b64 v[1:4], v36 offset1:1
	ds_read_b64 v[29:30], v36 offset:1024
	s_waitcnt lgkmcnt(0)
	s_barrier
	ds_write_b64 v5, v[19:20]
	ds_write_b64 v6, v[17:18]
	;; [unrolled: 1-line block ×3, first 2 shown]
	s_waitcnt lgkmcnt(0)
	s_barrier
	ds_read2st64_b64 v[5:8], v36 offset1:1
	ds_read_b64 v[31:32], v36 offset:1024
	v_add_co_u32_e32 v21, vcc, 8, v21
	v_addc_co_u32_e32 v22, vcc, 0, v22, vcc
	s_mov_b64 s[26:27], 0
	s_waitcnt lgkmcnt(0)
	s_barrier
	s_branch .LBB315_3
.LBB315_18:
	s_waitcnt lgkmcnt(1)
	v_add_co_u32_e32 v1, vcc, v3, v7
	v_addc_co_u32_e32 v2, vcc, v4, v8, vcc
	v_add_co_u32_e32 v3, vcc, v5, v9
	v_addc_co_u32_e32 v4, vcc, v6, v10, vcc
	s_waitcnt lgkmcnt(0)
	v_add_co_u32_e32 v5, vcc, v21, v16
	s_add_u32 s0, s30, s34
	v_addc_co_u32_e32 v6, vcc, v22, v17, vcc
	s_addc_u32 s1, s31, s35
	v_lshlrev_b32_e32 v0, 3, v0
	v_mov_b32_e32 v7, s1
	v_add_co_u32_e32 v8, vcc, s0, v0
	v_addc_co_u32_e32 v7, vcc, 0, v7, vcc
	global_store_dwordx2 v0, v[1:2], s[0:1]
	global_store_dwordx2 v0, v[3:4], s[0:1] offset:2048
	v_add_co_u32_e32 v0, vcc, 0x1000, v8
	v_addc_co_u32_e32 v1, vcc, 0, v7, vcc
	global_store_dwordx2 v[0:1], v[5:6], off
	s_endpgm
	.section	.rodata,"a",@progbits
	.p2align	6, 0x0
	.amdhsa_kernel _Z17sort_pairs_kernelI22helper_blocked_stripedxLj256ELj3ELj10EEvPKT0_PS1_
		.amdhsa_group_segment_fixed_size 6144
		.amdhsa_private_segment_fixed_size 0
		.amdhsa_kernarg_size 272
		.amdhsa_user_sgpr_count 6
		.amdhsa_user_sgpr_private_segment_buffer 1
		.amdhsa_user_sgpr_dispatch_ptr 0
		.amdhsa_user_sgpr_queue_ptr 0
		.amdhsa_user_sgpr_kernarg_segment_ptr 1
		.amdhsa_user_sgpr_dispatch_id 0
		.amdhsa_user_sgpr_flat_scratch_init 0
		.amdhsa_user_sgpr_private_segment_size 0
		.amdhsa_uses_dynamic_stack 0
		.amdhsa_system_sgpr_private_segment_wavefront_offset 0
		.amdhsa_system_sgpr_workgroup_id_x 1
		.amdhsa_system_sgpr_workgroup_id_y 0
		.amdhsa_system_sgpr_workgroup_id_z 0
		.amdhsa_system_sgpr_workgroup_info 0
		.amdhsa_system_vgpr_workitem_id 2
		.amdhsa_next_free_vgpr 45
		.amdhsa_next_free_sgpr 38
		.amdhsa_reserve_vcc 1
		.amdhsa_reserve_flat_scratch 0
		.amdhsa_float_round_mode_32 0
		.amdhsa_float_round_mode_16_64 0
		.amdhsa_float_denorm_mode_32 3
		.amdhsa_float_denorm_mode_16_64 3
		.amdhsa_dx10_clamp 1
		.amdhsa_ieee_mode 1
		.amdhsa_fp16_overflow 0
		.amdhsa_exception_fp_ieee_invalid_op 0
		.amdhsa_exception_fp_denorm_src 0
		.amdhsa_exception_fp_ieee_div_zero 0
		.amdhsa_exception_fp_ieee_overflow 0
		.amdhsa_exception_fp_ieee_underflow 0
		.amdhsa_exception_fp_ieee_inexact 0
		.amdhsa_exception_int_div_zero 0
	.end_amdhsa_kernel
	.section	.text._Z17sort_pairs_kernelI22helper_blocked_stripedxLj256ELj3ELj10EEvPKT0_PS1_,"axG",@progbits,_Z17sort_pairs_kernelI22helper_blocked_stripedxLj256ELj3ELj10EEvPKT0_PS1_,comdat
.Lfunc_end315:
	.size	_Z17sort_pairs_kernelI22helper_blocked_stripedxLj256ELj3ELj10EEvPKT0_PS1_, .Lfunc_end315-_Z17sort_pairs_kernelI22helper_blocked_stripedxLj256ELj3ELj10EEvPKT0_PS1_
                                        ; -- End function
	.set _Z17sort_pairs_kernelI22helper_blocked_stripedxLj256ELj3ELj10EEvPKT0_PS1_.num_vgpr, 45
	.set _Z17sort_pairs_kernelI22helper_blocked_stripedxLj256ELj3ELj10EEvPKT0_PS1_.num_agpr, 0
	.set _Z17sort_pairs_kernelI22helper_blocked_stripedxLj256ELj3ELj10EEvPKT0_PS1_.numbered_sgpr, 38
	.set _Z17sort_pairs_kernelI22helper_blocked_stripedxLj256ELj3ELj10EEvPKT0_PS1_.num_named_barrier, 0
	.set _Z17sort_pairs_kernelI22helper_blocked_stripedxLj256ELj3ELj10EEvPKT0_PS1_.private_seg_size, 0
	.set _Z17sort_pairs_kernelI22helper_blocked_stripedxLj256ELj3ELj10EEvPKT0_PS1_.uses_vcc, 1
	.set _Z17sort_pairs_kernelI22helper_blocked_stripedxLj256ELj3ELj10EEvPKT0_PS1_.uses_flat_scratch, 0
	.set _Z17sort_pairs_kernelI22helper_blocked_stripedxLj256ELj3ELj10EEvPKT0_PS1_.has_dyn_sized_stack, 0
	.set _Z17sort_pairs_kernelI22helper_blocked_stripedxLj256ELj3ELj10EEvPKT0_PS1_.has_recursion, 0
	.set _Z17sort_pairs_kernelI22helper_blocked_stripedxLj256ELj3ELj10EEvPKT0_PS1_.has_indirect_call, 0
	.section	.AMDGPU.csdata,"",@progbits
; Kernel info:
; codeLenInByte = 2516
; TotalNumSgprs: 42
; NumVgprs: 45
; ScratchSize: 0
; MemoryBound: 0
; FloatMode: 240
; IeeeMode: 1
; LDSByteSize: 6144 bytes/workgroup (compile time only)
; SGPRBlocks: 5
; VGPRBlocks: 11
; NumSGPRsForWavesPerEU: 42
; NumVGPRsForWavesPerEU: 45
; Occupancy: 5
; WaveLimiterHint : 1
; COMPUTE_PGM_RSRC2:SCRATCH_EN: 0
; COMPUTE_PGM_RSRC2:USER_SGPR: 6
; COMPUTE_PGM_RSRC2:TRAP_HANDLER: 0
; COMPUTE_PGM_RSRC2:TGID_X_EN: 1
; COMPUTE_PGM_RSRC2:TGID_Y_EN: 0
; COMPUTE_PGM_RSRC2:TGID_Z_EN: 0
; COMPUTE_PGM_RSRC2:TIDIG_COMP_CNT: 2
	.section	.text._Z16sort_keys_kernelI22helper_blocked_stripedxLj256ELj4ELj10EEvPKT0_PS1_,"axG",@progbits,_Z16sort_keys_kernelI22helper_blocked_stripedxLj256ELj4ELj10EEvPKT0_PS1_,comdat
	.protected	_Z16sort_keys_kernelI22helper_blocked_stripedxLj256ELj4ELj10EEvPKT0_PS1_ ; -- Begin function _Z16sort_keys_kernelI22helper_blocked_stripedxLj256ELj4ELj10EEvPKT0_PS1_
	.globl	_Z16sort_keys_kernelI22helper_blocked_stripedxLj256ELj4ELj10EEvPKT0_PS1_
	.p2align	8
	.type	_Z16sort_keys_kernelI22helper_blocked_stripedxLj256ELj4ELj10EEvPKT0_PS1_,@function
_Z16sort_keys_kernelI22helper_blocked_stripedxLj256ELj4ELj10EEvPKT0_PS1_: ; @_Z16sort_keys_kernelI22helper_blocked_stripedxLj256ELj4ELj10EEvPKT0_PS1_
; %bb.0:
	s_load_dwordx4 s[36:39], s[4:5], 0x0
	s_load_dword s8, s[4:5], 0x1c
	s_lshl_b32 s40, s6, 10
	s_mov_b32 s41, 0
	s_lshl_b64 s[42:43], s[40:41], 3
	s_waitcnt lgkmcnt(0)
	s_add_u32 s0, s36, s42
	s_addc_u32 s1, s37, s43
	v_lshlrev_b32_e32 v11, 5, v0
	global_load_dwordx4 v[3:6], v11, s[0:1] offset:16
	global_load_dwordx4 v[7:10], v11, s[0:1]
	s_lshr_b32 s9, s8, 16
	v_mbcnt_lo_u32_b32 v13, -1, 0
	s_and_b32 s8, s8, 0xffff
	v_mad_u32_u24 v1, v2, s9, v1
	v_mbcnt_hi_u32_b32 v13, -1, v13
	v_mad_u64_u32 v[1:2], s[8:9], v1, s8, v[0:1]
	v_and_b32_e32 v2, 15, v13
	v_cmp_eq_u32_e64 s[8:9], 0, v2
	v_cmp_lt_u32_e64 s[10:11], 1, v2
	v_cmp_lt_u32_e64 s[12:13], 3, v2
	;; [unrolled: 1-line block ×3, first 2 shown]
	v_and_b32_e32 v2, 16, v13
	v_cmp_eq_u32_e64 s[16:17], 0, v2
	v_or_b32_e32 v2, 63, v0
	v_and_b32_e32 v16, 64, v13
	v_cmp_eq_u32_e64 s[20:21], v0, v2
	v_subrev_co_u32_e64 v2, s[26:27], 1, v13
	v_lshrrev_b32_e32 v14, 2, v13
	v_cmp_lt_i32_e32 vcc, v2, v16
	v_or_b32_e32 v17, v14, v16
	v_add_u32_e32 v14, 48, v14
	v_cndmask_b32_e32 v2, v2, v13, vcc
	v_and_b32_e32 v15, 3, v13
	v_and_or_b32 v14, v14, 63, v16
	v_lshlrev_b32_e32 v30, 4, v0
	v_lshlrev_b32_e32 v31, 2, v2
	v_lshrrev_b32_e32 v2, 4, v0
	s_mov_b32 s40, s41
	s_mov_b32 s34, s41
	v_lshlrev_b32_e32 v12, 2, v0
	v_cmp_eq_u32_e64 s[0:1], 3, v15
	v_cmp_eq_u32_e64 s[2:3], 2, v15
	;; [unrolled: 1-line block ×4, first 2 shown]
	v_lshlrev_b32_e32 v26, 2, v17
	v_lshlrev_b32_e32 v29, 2, v14
	v_and_b32_e32 v32, 12, v2
	v_mad_i32_i24 v33, v0, -12, v30
	v_cmp_lt_u32_e64 s[30:31], 1, v15
	v_and_b32_e32 v2, 0x1800, v11
	v_lshrrev_b32_e32 v1, 4, v1
	s_mov_b32 s35, s41
	v_mov_b32_e32 v14, s40
	v_mov_b32_e32 v16, s34
	v_add_u32_e32 v27, 64, v26
	v_or_b32_e32 v28, 0x80, v26
	v_cmp_lt_u32_e64 s[18:19], 31, v13
	v_cmp_gt_u32_e64 s[22:23], 4, v0
	v_cmp_lt_u32_e64 s[24:25], 63, v0
	v_cmp_eq_u32_e64 s[28:29], 0, v0
	v_add_u32_e32 v34, -4, v32
	v_lshl_or_b32 v35, v13, 3, v2
	v_and_b32_e32 v36, 0xffffffc, v1
	v_mov_b32_e32 v15, s41
	v_mov_b32_e32 v17, s35
	;; [unrolled: 1-line block ×3, first 2 shown]
	v_add_u32_e32 v37, v33, v12
	s_branch .LBB316_2
.LBB316_1:                              ;   in Loop: Header=BB316_2 Depth=1
	v_lshlrev_b32_e32 v1, 3, v42
	s_barrier
	ds_write_b64 v1, v[24:25]
	v_lshlrev_b32_e32 v1, 3, v39
	ds_write_b64 v1, v[22:23]
	v_lshlrev_b32_e32 v1, 3, v38
	;; [unrolled: 2-line block ×3, first 2 shown]
	ds_write_b64 v1, v[5:6]
	s_waitcnt lgkmcnt(0)
	s_barrier
	ds_read2st64_b64 v[7:10], v37 offset1:4
	ds_read2st64_b64 v[3:6], v37 offset0:8 offset1:12
	s_add_i32 s41, s41, 1
	s_cmp_eq_u32 s41, 10
	s_waitcnt lgkmcnt(1)
	v_xor_b32_e32 v8, 0x80000000, v8
	v_xor_b32_e32 v10, 0x80000000, v10
	s_waitcnt lgkmcnt(0)
	v_xor_b32_e32 v4, 0x80000000, v4
	v_xor_b32_e32 v6, 0x80000000, v6
	s_cbranch_scc1 .LBB316_20
.LBB316_2:                              ; =>This Loop Header: Depth=1
                                        ;     Child Loop BB316_4 Depth 2
	s_waitcnt vmcnt(0)
	v_xor_b32_e32 v1, 0x80000000, v8
	ds_bpermute_b32 v2, v26, v7
	ds_bpermute_b32 v8, v26, v1
	v_xor_b32_e32 v19, 0x80000000, v10
	ds_bpermute_b32 v10, v26, v9
	ds_bpermute_b32 v11, v26, v19
	v_xor_b32_e32 v4, 0x80000000, v4
	s_waitcnt lgkmcnt(3)
	v_cndmask_b32_e64 v2, 0, v2, s[6:7]
	ds_bpermute_b32 v12, v26, v4
	ds_bpermute_b32 v13, v26, v3
	s_waitcnt lgkmcnt(4)
	v_cndmask_b32_e64 v8, 0, v8, s[6:7]
	s_waitcnt lgkmcnt(3)
	v_cndmask_b32_e64 v2, v2, v10, s[4:5]
	ds_bpermute_b32 v10, v26, v5
	v_xor_b32_e32 v6, 0x80000000, v6
	s_waitcnt lgkmcnt(3)
	v_cndmask_b32_e64 v8, v8, v11, s[4:5]
	ds_bpermute_b32 v11, v26, v6
	s_waitcnt lgkmcnt(3)
	v_cndmask_b32_e64 v8, v8, v12, s[2:3]
	s_waitcnt lgkmcnt(2)
	v_cndmask_b32_e64 v2, v2, v13, s[2:3]
	ds_bpermute_b32 v12, v27, v7
	s_waitcnt lgkmcnt(2)
	v_cndmask_b32_e64 v10, v2, v10, s[0:1]
	ds_bpermute_b32 v2, v27, v1
	ds_bpermute_b32 v13, v27, v9
	s_waitcnt lgkmcnt(3)
	v_cndmask_b32_e64 v11, v8, v11, s[0:1]
	ds_bpermute_b32 v8, v27, v19
	s_waitcnt lgkmcnt(3)
	v_cndmask_b32_e64 v12, 0, v12, s[6:7]
	s_waitcnt lgkmcnt(2)
	v_cndmask_b32_e64 v2, 0, v2, s[6:7]
	s_waitcnt lgkmcnt(1)
	v_cndmask_b32_e64 v12, v12, v13, s[4:5]
	ds_bpermute_b32 v13, v27, v4
	s_waitcnt lgkmcnt(1)
	v_cndmask_b32_e64 v2, v2, v8, s[4:5]
	ds_bpermute_b32 v8, v27, v3
	ds_bpermute_b32 v21, v27, v6
	;; [unrolled: 1-line block ×4, first 2 shown]
	s_waitcnt lgkmcnt(4)
	v_cndmask_b32_e64 v2, v2, v13, s[2:3]
	s_waitcnt lgkmcnt(3)
	v_cndmask_b32_e64 v8, v12, v8, s[2:3]
	s_waitcnt lgkmcnt(2)
	v_cndmask_b32_e64 v13, v2, v21, s[0:1]
	ds_bpermute_b32 v2, v28, v7
	ds_bpermute_b32 v21, v28, v19
	s_waitcnt lgkmcnt(3)
	v_cndmask_b32_e64 v12, v8, v20, s[0:1]
	s_waitcnt lgkmcnt(2)
	v_cndmask_b32_e64 v8, 0, v22, s[6:7]
	ds_bpermute_b32 v20, v28, v9
	ds_bpermute_b32 v22, v28, v4
	s_waitcnt lgkmcnt(3)
	v_cndmask_b32_e64 v2, 0, v2, s[6:7]
	ds_bpermute_b32 v23, v28, v3
	s_waitcnt lgkmcnt(3)
	v_cndmask_b32_e64 v8, v8, v21, s[4:5]
	s_waitcnt lgkmcnt(2)
	v_cndmask_b32_e64 v2, v2, v20, s[4:5]
	;; [unrolled: 2-line block ×3, first 2 shown]
	ds_bpermute_b32 v20, v28, v5
	ds_bpermute_b32 v21, v28, v6
	;; [unrolled: 1-line block ×10, first 2 shown]
	s_waitcnt lgkmcnt(10)
	v_cndmask_b32_e64 v2, v2, v23, s[2:3]
	s_waitcnt lgkmcnt(9)
	v_cndmask_b32_e64 v1, v2, v20, s[0:1]
	;; [unrolled: 2-line block ×9, first 2 shown]
	v_mov_b32_e32 v20, 0
	s_waitcnt lgkmcnt(1)
	v_cndmask_b32_e64 v3, v3, v5, s[0:1]
	s_waitcnt lgkmcnt(0)
	v_cndmask_b32_e64 v4, v4, v6, s[0:1]
	v_mov_b32_e32 v21, 0
	s_barrier
	s_branch .LBB316_4
.LBB316_3:                              ;   in Loop: Header=BB316_4 Depth=2
	s_andn2_b64 vcc, exec, s[34:35]
	s_cbranch_vccz .LBB316_1
.LBB316_4:                              ;   Parent Loop BB316_2 Depth=1
                                        ; =>  This Inner Loop Header: Depth=2
	v_mov_b32_e32 v25, v11
	v_mov_b32_e32 v8, v2
	v_mov_b32_e32 v24, v10
	v_mov_b32_e32 v7, v1
	v_lshrrev_b64 v[1:2], v20, v[24:25]
	v_mov_b32_e32 v6, v4
	v_lshlrev_b32_e32 v2, 4, v1
	v_and_b32_e32 v2, 0xff0, v2
	v_add_u32_e32 v9, v36, v2
	v_and_b32_e32 v2, 1, v1
	v_mov_b32_e32 v5, v3
	v_add_co_u32_e32 v3, vcc, -1, v2
	v_addc_co_u32_e64 v4, s[34:35], 0, -1, vcc
	v_cmp_ne_u32_e32 vcc, 0, v2
	v_lshlrev_b32_e32 v19, 30, v1
	v_xor_b32_e32 v2, vcc_hi, v4
	v_xor_b32_e32 v3, vcc_lo, v3
	v_cmp_gt_i64_e32 vcc, 0, v[18:19]
	v_not_b32_e32 v4, v19
	v_ashrrev_i32_e32 v4, 31, v4
	v_and_b32_e32 v3, exec_lo, v3
	v_xor_b32_e32 v10, vcc_hi, v4
	v_xor_b32_e32 v4, vcc_lo, v4
	v_lshlrev_b32_e32 v19, 29, v1
	v_and_b32_e32 v3, v3, v4
	v_cmp_gt_i64_e32 vcc, 0, v[18:19]
	v_not_b32_e32 v4, v19
	v_and_b32_e32 v2, exec_hi, v2
	v_ashrrev_i32_e32 v4, 31, v4
	v_and_b32_e32 v2, v2, v10
	v_xor_b32_e32 v10, vcc_hi, v4
	v_xor_b32_e32 v4, vcc_lo, v4
	v_lshlrev_b32_e32 v19, 28, v1
	v_and_b32_e32 v3, v3, v4
	v_cmp_gt_i64_e32 vcc, 0, v[18:19]
	v_not_b32_e32 v4, v19
	v_ashrrev_i32_e32 v4, 31, v4
	v_and_b32_e32 v2, v2, v10
	v_xor_b32_e32 v10, vcc_hi, v4
	v_xor_b32_e32 v4, vcc_lo, v4
	v_lshlrev_b32_e32 v19, 27, v1
	v_and_b32_e32 v3, v3, v4
	v_cmp_gt_i64_e32 vcc, 0, v[18:19]
	v_not_b32_e32 v4, v19
	;; [unrolled: 8-line block ×4, first 2 shown]
	v_ashrrev_i32_e32 v4, 31, v4
	v_lshlrev_b32_e32 v19, 24, v1
	v_and_b32_e32 v2, v2, v10
	v_xor_b32_e32 v10, vcc_hi, v4
	v_xor_b32_e32 v4, vcc_lo, v4
	v_cmp_gt_i64_e32 vcc, 0, v[18:19]
	v_not_b32_e32 v1, v19
	v_ashrrev_i32_e32 v1, 31, v1
	v_and_b32_e32 v3, v3, v4
	v_xor_b32_e32 v4, vcc_hi, v1
	v_xor_b32_e32 v1, vcc_lo, v1
	v_and_b32_e32 v2, v2, v10
	v_and_b32_e32 v1, v3, v1
	;; [unrolled: 1-line block ×3, first 2 shown]
	v_mbcnt_lo_u32_b32 v3, v1, 0
	v_mbcnt_hi_u32_b32 v10, v2, v3
	v_cmp_ne_u64_e32 vcc, 0, v[1:2]
	v_mov_b32_e32 v23, v13
	v_cmp_eq_u32_e64 s[34:35], 0, v10
	v_mov_b32_e32 v22, v12
	s_and_b64 s[36:37], vcc, s[34:35]
	ds_write2_b64 v30, v[14:15], v[16:17] offset0:2 offset1:3
	s_waitcnt lgkmcnt(0)
	s_barrier
	; wave barrier
	s_and_saveexec_b64 s[34:35], s[36:37]
; %bb.5:                                ;   in Loop: Header=BB316_4 Depth=2
	v_bcnt_u32_b32 v1, v1, 0
	v_bcnt_u32_b32 v1, v2, v1
	ds_write_b32 v9, v1 offset:16
; %bb.6:                                ;   in Loop: Header=BB316_4 Depth=2
	s_or_b64 exec, exec, s[34:35]
	v_lshrrev_b64 v[1:2], v20, v[22:23]
	v_lshlrev_b32_e32 v2, 4, v1
	v_and_b32_e32 v2, 0xff0, v2
	v_add_u32_e32 v12, v36, v2
	v_and_b32_e32 v2, 1, v1
	v_add_co_u32_e32 v3, vcc, -1, v2
	v_addc_co_u32_e64 v4, s[34:35], 0, -1, vcc
	v_cmp_ne_u32_e32 vcc, 0, v2
	v_lshlrev_b32_e32 v19, 30, v1
	v_xor_b32_e32 v2, vcc_hi, v4
	v_xor_b32_e32 v3, vcc_lo, v3
	v_cmp_gt_i64_e32 vcc, 0, v[18:19]
	v_not_b32_e32 v4, v19
	v_ashrrev_i32_e32 v4, 31, v4
	v_and_b32_e32 v3, exec_lo, v3
	v_xor_b32_e32 v13, vcc_hi, v4
	v_xor_b32_e32 v4, vcc_lo, v4
	v_lshlrev_b32_e32 v19, 29, v1
	v_and_b32_e32 v3, v3, v4
	v_cmp_gt_i64_e32 vcc, 0, v[18:19]
	v_not_b32_e32 v4, v19
	v_and_b32_e32 v2, exec_hi, v2
	v_ashrrev_i32_e32 v4, 31, v4
	v_and_b32_e32 v2, v2, v13
	v_xor_b32_e32 v13, vcc_hi, v4
	v_xor_b32_e32 v4, vcc_lo, v4
	v_lshlrev_b32_e32 v19, 28, v1
	v_and_b32_e32 v3, v3, v4
	v_cmp_gt_i64_e32 vcc, 0, v[18:19]
	v_not_b32_e32 v4, v19
	v_ashrrev_i32_e32 v4, 31, v4
	v_and_b32_e32 v2, v2, v13
	v_xor_b32_e32 v13, vcc_hi, v4
	v_xor_b32_e32 v4, vcc_lo, v4
	v_lshlrev_b32_e32 v19, 27, v1
	v_and_b32_e32 v3, v3, v4
	v_cmp_gt_i64_e32 vcc, 0, v[18:19]
	v_not_b32_e32 v4, v19
	;; [unrolled: 8-line block ×4, first 2 shown]
	v_ashrrev_i32_e32 v4, 31, v4
	v_lshlrev_b32_e32 v19, 24, v1
	v_and_b32_e32 v2, v2, v13
	v_xor_b32_e32 v13, vcc_hi, v4
	v_xor_b32_e32 v4, vcc_lo, v4
	v_cmp_gt_i64_e32 vcc, 0, v[18:19]
	v_not_b32_e32 v1, v19
	v_ashrrev_i32_e32 v1, 31, v1
	v_and_b32_e32 v3, v3, v4
	v_xor_b32_e32 v4, vcc_hi, v1
	v_xor_b32_e32 v1, vcc_lo, v1
	; wave barrier
	ds_read_b32 v11, v12 offset:16
	v_and_b32_e32 v2, v2, v13
	v_and_b32_e32 v1, v3, v1
	;; [unrolled: 1-line block ×3, first 2 shown]
	v_mbcnt_lo_u32_b32 v3, v1, 0
	v_mbcnt_hi_u32_b32 v13, v2, v3
	v_cmp_ne_u64_e32 vcc, 0, v[1:2]
	v_cmp_eq_u32_e64 s[34:35], 0, v13
	s_and_b64 s[36:37], vcc, s[34:35]
	; wave barrier
	s_and_saveexec_b64 s[34:35], s[36:37]
	s_cbranch_execz .LBB316_8
; %bb.7:                                ;   in Loop: Header=BB316_4 Depth=2
	v_bcnt_u32_b32 v1, v1, 0
	v_bcnt_u32_b32 v1, v2, v1
	s_waitcnt lgkmcnt(0)
	v_add_u32_e32 v1, v11, v1
	ds_write_b32 v12, v1 offset:16
.LBB316_8:                              ;   in Loop: Header=BB316_4 Depth=2
	s_or_b64 exec, exec, s[34:35]
	v_lshrrev_b64 v[1:2], v20, v[7:8]
	v_lshlrev_b32_e32 v2, 4, v1
	v_and_b32_e32 v2, 0xff0, v2
	v_add_u32_e32 v39, v36, v2
	v_and_b32_e32 v2, 1, v1
	v_add_co_u32_e32 v3, vcc, -1, v2
	v_addc_co_u32_e64 v4, s[34:35], 0, -1, vcc
	v_cmp_ne_u32_e32 vcc, 0, v2
	v_lshlrev_b32_e32 v19, 30, v1
	v_xor_b32_e32 v2, vcc_hi, v4
	v_xor_b32_e32 v3, vcc_lo, v3
	v_cmp_gt_i64_e32 vcc, 0, v[18:19]
	v_not_b32_e32 v4, v19
	v_ashrrev_i32_e32 v4, 31, v4
	v_and_b32_e32 v2, exec_hi, v2
	v_xor_b32_e32 v19, vcc_hi, v4
	v_and_b32_e32 v3, exec_lo, v3
	v_xor_b32_e32 v4, vcc_lo, v4
	v_and_b32_e32 v2, v2, v19
	v_lshlrev_b32_e32 v19, 29, v1
	v_and_b32_e32 v3, v3, v4
	v_cmp_gt_i64_e32 vcc, 0, v[18:19]
	v_not_b32_e32 v4, v19
	v_ashrrev_i32_e32 v4, 31, v4
	v_xor_b32_e32 v19, vcc_hi, v4
	v_xor_b32_e32 v4, vcc_lo, v4
	v_and_b32_e32 v2, v2, v19
	v_lshlrev_b32_e32 v19, 28, v1
	v_and_b32_e32 v3, v3, v4
	v_cmp_gt_i64_e32 vcc, 0, v[18:19]
	v_not_b32_e32 v4, v19
	v_ashrrev_i32_e32 v4, 31, v4
	v_xor_b32_e32 v19, vcc_hi, v4
	;; [unrolled: 8-line block ×5, first 2 shown]
	v_and_b32_e32 v2, v2, v19
	v_lshlrev_b32_e32 v19, 24, v1
	v_xor_b32_e32 v4, vcc_lo, v4
	v_cmp_gt_i64_e32 vcc, 0, v[18:19]
	v_not_b32_e32 v1, v19
	v_ashrrev_i32_e32 v1, 31, v1
	v_and_b32_e32 v3, v3, v4
	v_xor_b32_e32 v4, vcc_hi, v1
	v_xor_b32_e32 v1, vcc_lo, v1
	; wave barrier
	ds_read_b32 v38, v39 offset:16
	v_and_b32_e32 v1, v3, v1
	v_and_b32_e32 v2, v2, v4
	v_mbcnt_lo_u32_b32 v3, v1, 0
	v_mbcnt_hi_u32_b32 v40, v2, v3
	v_cmp_ne_u64_e32 vcc, 0, v[1:2]
	v_cmp_eq_u32_e64 s[34:35], 0, v40
	s_and_b64 s[36:37], vcc, s[34:35]
	; wave barrier
	s_and_saveexec_b64 s[34:35], s[36:37]
	s_cbranch_execz .LBB316_10
; %bb.9:                                ;   in Loop: Header=BB316_4 Depth=2
	v_bcnt_u32_b32 v1, v1, 0
	v_bcnt_u32_b32 v1, v2, v1
	s_waitcnt lgkmcnt(0)
	v_add_u32_e32 v1, v38, v1
	ds_write_b32 v39, v1 offset:16
.LBB316_10:                             ;   in Loop: Header=BB316_4 Depth=2
	s_or_b64 exec, exec, s[34:35]
	v_lshrrev_b64 v[1:2], v20, v[5:6]
	v_lshlrev_b32_e32 v2, 4, v1
	v_and_b32_e32 v2, 0xff0, v2
	v_add_u32_e32 v42, v36, v2
	v_and_b32_e32 v2, 1, v1
	v_add_co_u32_e32 v3, vcc, -1, v2
	v_addc_co_u32_e64 v4, s[34:35], 0, -1, vcc
	v_cmp_ne_u32_e32 vcc, 0, v2
	v_lshlrev_b32_e32 v19, 30, v1
	v_xor_b32_e32 v2, vcc_hi, v4
	v_xor_b32_e32 v3, vcc_lo, v3
	v_cmp_gt_i64_e32 vcc, 0, v[18:19]
	v_not_b32_e32 v4, v19
	v_ashrrev_i32_e32 v4, 31, v4
	v_and_b32_e32 v2, exec_hi, v2
	v_xor_b32_e32 v19, vcc_hi, v4
	v_and_b32_e32 v3, exec_lo, v3
	v_xor_b32_e32 v4, vcc_lo, v4
	v_and_b32_e32 v2, v2, v19
	v_lshlrev_b32_e32 v19, 29, v1
	v_and_b32_e32 v3, v3, v4
	v_cmp_gt_i64_e32 vcc, 0, v[18:19]
	v_not_b32_e32 v4, v19
	v_ashrrev_i32_e32 v4, 31, v4
	v_xor_b32_e32 v19, vcc_hi, v4
	v_xor_b32_e32 v4, vcc_lo, v4
	v_and_b32_e32 v2, v2, v19
	v_lshlrev_b32_e32 v19, 28, v1
	v_and_b32_e32 v3, v3, v4
	v_cmp_gt_i64_e32 vcc, 0, v[18:19]
	v_not_b32_e32 v4, v19
	v_ashrrev_i32_e32 v4, 31, v4
	v_xor_b32_e32 v19, vcc_hi, v4
	;; [unrolled: 8-line block ×5, first 2 shown]
	v_and_b32_e32 v2, v2, v19
	v_lshlrev_b32_e32 v19, 24, v1
	v_xor_b32_e32 v4, vcc_lo, v4
	v_cmp_gt_i64_e32 vcc, 0, v[18:19]
	v_not_b32_e32 v1, v19
	v_ashrrev_i32_e32 v1, 31, v1
	v_and_b32_e32 v3, v3, v4
	v_xor_b32_e32 v4, vcc_hi, v1
	v_xor_b32_e32 v1, vcc_lo, v1
	; wave barrier
	ds_read_b32 v41, v42 offset:16
	v_and_b32_e32 v1, v3, v1
	v_and_b32_e32 v2, v2, v4
	v_mbcnt_lo_u32_b32 v3, v1, 0
	v_mbcnt_hi_u32_b32 v19, v2, v3
	v_cmp_ne_u64_e32 vcc, 0, v[1:2]
	v_cmp_eq_u32_e64 s[34:35], 0, v19
	s_and_b64 s[36:37], vcc, s[34:35]
	; wave barrier
	s_and_saveexec_b64 s[34:35], s[36:37]
	s_cbranch_execz .LBB316_12
; %bb.11:                               ;   in Loop: Header=BB316_4 Depth=2
	v_bcnt_u32_b32 v1, v1, 0
	v_bcnt_u32_b32 v1, v2, v1
	s_waitcnt lgkmcnt(0)
	v_add_u32_e32 v1, v41, v1
	ds_write_b32 v42, v1 offset:16
.LBB316_12:                             ;   in Loop: Header=BB316_4 Depth=2
	s_or_b64 exec, exec, s[34:35]
	; wave barrier
	s_waitcnt lgkmcnt(0)
	s_barrier
	ds_read2_b64 v[1:4], v30 offset0:2 offset1:3
	s_waitcnt lgkmcnt(0)
	v_add_u32_e32 v43, v2, v1
	v_add3_u32 v4, v43, v3, v4
	s_nop 1
	v_mov_b32_dpp v43, v4 row_shr:1 row_mask:0xf bank_mask:0xf
	v_cndmask_b32_e64 v43, v43, 0, s[8:9]
	v_add_u32_e32 v4, v43, v4
	s_nop 1
	v_mov_b32_dpp v43, v4 row_shr:2 row_mask:0xf bank_mask:0xf
	v_cndmask_b32_e64 v43, 0, v43, s[10:11]
	v_add_u32_e32 v4, v4, v43
	;; [unrolled: 4-line block ×4, first 2 shown]
	s_nop 1
	v_mov_b32_dpp v43, v4 row_bcast:15 row_mask:0xf bank_mask:0xf
	v_cndmask_b32_e64 v43, v43, 0, s[16:17]
	v_add_u32_e32 v4, v4, v43
	s_nop 1
	v_mov_b32_dpp v43, v4 row_bcast:31 row_mask:0xf bank_mask:0xf
	v_cndmask_b32_e64 v43, 0, v43, s[18:19]
	v_add_u32_e32 v4, v4, v43
	s_and_saveexec_b64 s[34:35], s[20:21]
; %bb.13:                               ;   in Loop: Header=BB316_4 Depth=2
	ds_write_b32 v32, v4
; %bb.14:                               ;   in Loop: Header=BB316_4 Depth=2
	s_or_b64 exec, exec, s[34:35]
	s_waitcnt lgkmcnt(0)
	s_barrier
	s_and_saveexec_b64 s[34:35], s[22:23]
	s_cbranch_execz .LBB316_16
; %bb.15:                               ;   in Loop: Header=BB316_4 Depth=2
	ds_read_b32 v43, v33
	s_waitcnt lgkmcnt(0)
	s_nop 0
	v_mov_b32_dpp v44, v43 row_shr:1 row_mask:0xf bank_mask:0xf
	v_cndmask_b32_e64 v44, v44, 0, s[6:7]
	v_add_u32_e32 v43, v44, v43
	s_nop 1
	v_mov_b32_dpp v44, v43 row_shr:2 row_mask:0xf bank_mask:0xf
	v_cndmask_b32_e64 v44, 0, v44, s[30:31]
	v_add_u32_e32 v43, v43, v44
	ds_write_b32 v33, v43
.LBB316_16:                             ;   in Loop: Header=BB316_4 Depth=2
	s_or_b64 exec, exec, s[34:35]
	v_mov_b32_e32 v43, 0
	s_waitcnt lgkmcnt(0)
	s_barrier
	s_and_saveexec_b64 s[34:35], s[24:25]
; %bb.17:                               ;   in Loop: Header=BB316_4 Depth=2
	ds_read_b32 v43, v34
; %bb.18:                               ;   in Loop: Header=BB316_4 Depth=2
	s_or_b64 exec, exec, s[34:35]
	s_waitcnt lgkmcnt(0)
	v_add_u32_e32 v4, v43, v4
	ds_bpermute_b32 v4, v31, v4
	v_cmp_lt_u32_e32 vcc, 55, v20
	s_and_b64 vcc, exec, vcc
	s_mov_b64 s[34:35], -1
	s_waitcnt lgkmcnt(0)
	v_cndmask_b32_e64 v4, v4, v43, s[26:27]
	v_cndmask_b32_e64 v43, v4, 0, s[28:29]
	v_add_u32_e32 v44, v43, v1
	v_add_u32_e32 v1, v44, v2
	;; [unrolled: 1-line block ×3, first 2 shown]
	ds_write2_b64 v30, v[43:44], v[1:2] offset0:2 offset1:3
	s_waitcnt lgkmcnt(0)
	s_barrier
	ds_read_b32 v1, v9 offset:16
	ds_read_b32 v2, v12 offset:16
	;; [unrolled: 1-line block ×4, first 2 shown]
	s_waitcnt lgkmcnt(3)
	v_add_u32_e32 v42, v1, v10
	s_waitcnt lgkmcnt(2)
	v_add3_u32 v39, v13, v11, v2
	s_waitcnt lgkmcnt(1)
	v_add3_u32 v38, v40, v38, v3
	s_waitcnt lgkmcnt(0)
	v_add3_u32 v9, v19, v41, v4
                                        ; implicit-def: $vgpr3_vgpr4
                                        ; implicit-def: $vgpr12_vgpr13
	s_cbranch_vccnz .LBB316_3
; %bb.19:                               ;   in Loop: Header=BB316_4 Depth=2
	v_lshlrev_b32_e32 v1, 3, v42
	s_barrier
	ds_write_b64 v1, v[24:25]
	v_lshlrev_b32_e32 v1, 3, v39
	ds_write_b64 v1, v[22:23]
	v_lshlrev_b32_e32 v1, 3, v38
	;; [unrolled: 2-line block ×3, first 2 shown]
	ds_write_b64 v1, v[5:6]
	s_waitcnt lgkmcnt(0)
	s_barrier
	ds_read2st64_b64 v[10:13], v35 offset1:1
	ds_read2st64_b64 v[1:4], v35 offset0:2 offset1:3
	v_add_co_u32_e32 v20, vcc, 8, v20
	v_addc_co_u32_e32 v21, vcc, 0, v21, vcc
	s_mov_b64 s[34:35], 0
	s_waitcnt lgkmcnt(0)
	s_barrier
	s_branch .LBB316_3
.LBB316_20:
	s_add_u32 s0, s38, s42
	s_addc_u32 s1, s39, s43
	v_lshlrev_b32_e32 v0, 3, v0
	v_mov_b32_e32 v1, s1
	v_add_co_u32_e32 v2, vcc, s0, v0
	v_addc_co_u32_e32 v1, vcc, 0, v1, vcc
	global_store_dwordx2 v0, v[7:8], s[0:1]
	global_store_dwordx2 v0, v[9:10], s[0:1] offset:2048
	v_add_co_u32_e32 v0, vcc, 0x1000, v2
	v_addc_co_u32_e32 v1, vcc, 0, v1, vcc
	global_store_dwordx2 v[0:1], v[3:4], off
	global_store_dwordx2 v[0:1], v[5:6], off offset:2048
	s_endpgm
	.section	.rodata,"a",@progbits
	.p2align	6, 0x0
	.amdhsa_kernel _Z16sort_keys_kernelI22helper_blocked_stripedxLj256ELj4ELj10EEvPKT0_PS1_
		.amdhsa_group_segment_fixed_size 8192
		.amdhsa_private_segment_fixed_size 0
		.amdhsa_kernarg_size 272
		.amdhsa_user_sgpr_count 6
		.amdhsa_user_sgpr_private_segment_buffer 1
		.amdhsa_user_sgpr_dispatch_ptr 0
		.amdhsa_user_sgpr_queue_ptr 0
		.amdhsa_user_sgpr_kernarg_segment_ptr 1
		.amdhsa_user_sgpr_dispatch_id 0
		.amdhsa_user_sgpr_flat_scratch_init 0
		.amdhsa_user_sgpr_private_segment_size 0
		.amdhsa_uses_dynamic_stack 0
		.amdhsa_system_sgpr_private_segment_wavefront_offset 0
		.amdhsa_system_sgpr_workgroup_id_x 1
		.amdhsa_system_sgpr_workgroup_id_y 0
		.amdhsa_system_sgpr_workgroup_id_z 0
		.amdhsa_system_sgpr_workgroup_info 0
		.amdhsa_system_vgpr_workitem_id 2
		.amdhsa_next_free_vgpr 45
		.amdhsa_next_free_sgpr 61
		.amdhsa_reserve_vcc 1
		.amdhsa_reserve_flat_scratch 0
		.amdhsa_float_round_mode_32 0
		.amdhsa_float_round_mode_16_64 0
		.amdhsa_float_denorm_mode_32 3
		.amdhsa_float_denorm_mode_16_64 3
		.amdhsa_dx10_clamp 1
		.amdhsa_ieee_mode 1
		.amdhsa_fp16_overflow 0
		.amdhsa_exception_fp_ieee_invalid_op 0
		.amdhsa_exception_fp_denorm_src 0
		.amdhsa_exception_fp_ieee_div_zero 0
		.amdhsa_exception_fp_ieee_overflow 0
		.amdhsa_exception_fp_ieee_underflow 0
		.amdhsa_exception_fp_ieee_inexact 0
		.amdhsa_exception_int_div_zero 0
	.end_amdhsa_kernel
	.section	.text._Z16sort_keys_kernelI22helper_blocked_stripedxLj256ELj4ELj10EEvPKT0_PS1_,"axG",@progbits,_Z16sort_keys_kernelI22helper_blocked_stripedxLj256ELj4ELj10EEvPKT0_PS1_,comdat
.Lfunc_end316:
	.size	_Z16sort_keys_kernelI22helper_blocked_stripedxLj256ELj4ELj10EEvPKT0_PS1_, .Lfunc_end316-_Z16sort_keys_kernelI22helper_blocked_stripedxLj256ELj4ELj10EEvPKT0_PS1_
                                        ; -- End function
	.set _Z16sort_keys_kernelI22helper_blocked_stripedxLj256ELj4ELj10EEvPKT0_PS1_.num_vgpr, 45
	.set _Z16sort_keys_kernelI22helper_blocked_stripedxLj256ELj4ELj10EEvPKT0_PS1_.num_agpr, 0
	.set _Z16sort_keys_kernelI22helper_blocked_stripedxLj256ELj4ELj10EEvPKT0_PS1_.numbered_sgpr, 44
	.set _Z16sort_keys_kernelI22helper_blocked_stripedxLj256ELj4ELj10EEvPKT0_PS1_.num_named_barrier, 0
	.set _Z16sort_keys_kernelI22helper_blocked_stripedxLj256ELj4ELj10EEvPKT0_PS1_.private_seg_size, 0
	.set _Z16sort_keys_kernelI22helper_blocked_stripedxLj256ELj4ELj10EEvPKT0_PS1_.uses_vcc, 1
	.set _Z16sort_keys_kernelI22helper_blocked_stripedxLj256ELj4ELj10EEvPKT0_PS1_.uses_flat_scratch, 0
	.set _Z16sort_keys_kernelI22helper_blocked_stripedxLj256ELj4ELj10EEvPKT0_PS1_.has_dyn_sized_stack, 0
	.set _Z16sort_keys_kernelI22helper_blocked_stripedxLj256ELj4ELj10EEvPKT0_PS1_.has_recursion, 0
	.set _Z16sort_keys_kernelI22helper_blocked_stripedxLj256ELj4ELj10EEvPKT0_PS1_.has_indirect_call, 0
	.section	.AMDGPU.csdata,"",@progbits
; Kernel info:
; codeLenInByte = 3364
; TotalNumSgprs: 48
; NumVgprs: 45
; ScratchSize: 0
; MemoryBound: 0
; FloatMode: 240
; IeeeMode: 1
; LDSByteSize: 8192 bytes/workgroup (compile time only)
; SGPRBlocks: 8
; VGPRBlocks: 11
; NumSGPRsForWavesPerEU: 65
; NumVGPRsForWavesPerEU: 45
; Occupancy: 5
; WaveLimiterHint : 1
; COMPUTE_PGM_RSRC2:SCRATCH_EN: 0
; COMPUTE_PGM_RSRC2:USER_SGPR: 6
; COMPUTE_PGM_RSRC2:TRAP_HANDLER: 0
; COMPUTE_PGM_RSRC2:TGID_X_EN: 1
; COMPUTE_PGM_RSRC2:TGID_Y_EN: 0
; COMPUTE_PGM_RSRC2:TGID_Z_EN: 0
; COMPUTE_PGM_RSRC2:TIDIG_COMP_CNT: 2
	.section	.text._Z17sort_pairs_kernelI22helper_blocked_stripedxLj256ELj4ELj10EEvPKT0_PS1_,"axG",@progbits,_Z17sort_pairs_kernelI22helper_blocked_stripedxLj256ELj4ELj10EEvPKT0_PS1_,comdat
	.protected	_Z17sort_pairs_kernelI22helper_blocked_stripedxLj256ELj4ELj10EEvPKT0_PS1_ ; -- Begin function _Z17sort_pairs_kernelI22helper_blocked_stripedxLj256ELj4ELj10EEvPKT0_PS1_
	.globl	_Z17sort_pairs_kernelI22helper_blocked_stripedxLj256ELj4ELj10EEvPKT0_PS1_
	.p2align	8
	.type	_Z17sort_pairs_kernelI22helper_blocked_stripedxLj256ELj4ELj10EEvPKT0_PS1_,@function
_Z17sort_pairs_kernelI22helper_blocked_stripedxLj256ELj4ELj10EEvPKT0_PS1_: ; @_Z17sort_pairs_kernelI22helper_blocked_stripedxLj256ELj4ELj10EEvPKT0_PS1_
; %bb.0:
	s_load_dwordx4 s[36:39], s[4:5], 0x0
	s_load_dword s33, s[4:5], 0x1c
	s_lshl_b32 s42, s6, 10
	s_mov_b32 s43, 0
	s_lshl_b64 s[40:41], s[42:43], 3
	s_waitcnt lgkmcnt(0)
	s_add_u32 s0, s36, s40
	s_addc_u32 s1, s37, s41
	v_lshlrev_b32_e32 v11, 5, v0
	global_load_dwordx4 v[7:10], v11, s[0:1]
	global_load_dwordx4 v[3:6], v11, s[0:1] offset:16
	v_mbcnt_lo_u32_b32 v12, -1, 0
	v_mbcnt_hi_u32_b32 v12, -1, v12
	v_or_b32_e32 v14, 63, v0
	v_lshrrev_b32_e32 v15, 4, v0
	v_lshrrev_b32_e32 v16, 2, v12
	v_and_b32_e32 v18, 64, v12
	v_cmp_eq_u32_e64 s[8:9], v0, v14
	v_subrev_co_u32_e64 v14, s[10:11], 1, v12
	v_and_b32_e32 v43, 12, v15
	v_and_b32_e32 v11, 0x1800, v11
	v_or_b32_e32 v15, v16, v18
	v_add_u32_e32 v16, 48, v16
	v_cmp_lt_i32_e32 vcc, v14, v18
	v_and_b32_e32 v19, 15, v12
	v_cndmask_b32_e32 v14, v14, v12, vcc
	v_lshl_or_b32 v46, v12, 3, v11
	v_and_or_b32 v11, v16, 63, v18
	s_lshr_b32 s34, s33, 16
	v_and_b32_e32 v20, 16, v12
	v_cmp_eq_u32_e64 s[20:21], 0, v19
	v_cmp_lt_u32_e64 s[22:23], 1, v19
	v_cmp_lt_u32_e64 s[24:25], 3, v19
	;; [unrolled: 1-line block ×3, first 2 shown]
	s_and_b32 s33, s33, 0xffff
	v_mad_u32_u24 v1, v2, s34, v1
	v_cmp_eq_u32_e64 s[28:29], 0, v20
	v_mad_u64_u32 v[1:2], s[34:35], v1, s33, v[0:1]
	v_lshlrev_b32_e32 v49, 2, v14
	v_lshlrev_b32_e32 v42, 4, v0
	s_mov_b32 s13, s43
	s_mov_b32 s42, s43
	v_lshlrev_b32_e32 v48, 2, v15
	v_lshlrev_b32_e32 v13, 2, v0
	s_mov_b32 s12, s43
	v_and_b32_e32 v17, 3, v12
	v_mad_i32_i24 v44, v0, -12, v42
	v_mov_b32_e32 v23, s13
	v_mov_b32_e32 v24, s42
	v_lshrrev_b32_e32 v1, 4, v1
	v_cmp_gt_u32_e64 s[0:1], 4, v0
	v_cmp_lt_u32_e64 s[2:3], 63, v0
	v_cmp_eq_u32_e64 s[4:5], 0, v0
	v_cmp_lt_u32_e64 s[6:7], 31, v12
	v_mov_b32_e32 v22, s12
	v_cmp_eq_u32_e64 s[12:13], 3, v17
	v_cmp_eq_u32_e64 s[14:15], 2, v17
	;; [unrolled: 1-line block ×4, first 2 shown]
	v_cmp_lt_u32_e64 s[30:31], 1, v17
	v_add_u32_e32 v45, -4, v43
	v_add_u32_e32 v47, v44, v13
	v_mov_b32_e32 v25, s43
	v_lshlrev_b32_e32 v50, 2, v11
	v_add_u32_e32 v51, 64, v48
	v_or_b32_e32 v52, 0x80, v48
	v_and_b32_e32 v53, 0xffffffc, v1
	v_mov_b32_e32 v26, 0
	s_waitcnt vmcnt(1)
	v_add_co_u32_e32 v18, vcc, 1, v7
	v_addc_co_u32_e32 v19, vcc, 0, v8, vcc
	v_add_co_u32_e32 v20, vcc, 1, v9
	v_addc_co_u32_e32 v21, vcc, 0, v10, vcc
	s_waitcnt vmcnt(0)
	v_add_co_u32_e32 v14, vcc, 1, v3
	v_addc_co_u32_e32 v15, vcc, 0, v4, vcc
	v_add_co_u32_e32 v16, vcc, 1, v5
	v_addc_co_u32_e32 v17, vcc, 0, v6, vcc
	s_branch .LBB317_2
.LBB317_1:                              ;   in Loop: Header=BB317_2 Depth=1
	v_lshlrev_b32_e32 v1, 3, v55
	v_lshlrev_b32_e32 v2, 3, v54
	;; [unrolled: 1-line block ×4, first 2 shown]
	s_barrier
	ds_write_b64 v1, v[40:41]
	ds_write_b64 v2, v[38:39]
	ds_write_b64 v11, v[36:37]
	ds_write_b64 v12, v[34:35]
	s_waitcnt lgkmcnt(0)
	s_barrier
	ds_read2st64_b64 v[7:10], v47 offset1:4
	ds_read2st64_b64 v[3:6], v47 offset0:8 offset1:12
	s_waitcnt lgkmcnt(0)
	s_barrier
	ds_write_b64 v1, v[30:31]
	ds_write_b64 v2, v[28:29]
	;; [unrolled: 1-line block ×4, first 2 shown]
	s_waitcnt lgkmcnt(0)
	s_barrier
	ds_read2st64_b64 v[18:21], v47 offset1:4
	ds_read2st64_b64 v[14:17], v47 offset0:8 offset1:12
	s_add_i32 s43, s43, 1
	v_xor_b32_e32 v8, 0x80000000, v8
	v_xor_b32_e32 v10, 0x80000000, v10
	;; [unrolled: 1-line block ×3, first 2 shown]
	s_cmp_lg_u32 s43, 10
	v_xor_b32_e32 v6, 0x80000000, v6
	s_cbranch_scc0 .LBB317_20
.LBB317_2:                              ; =>This Loop Header: Depth=1
                                        ;     Child Loop BB317_4 Depth 2
	ds_bpermute_b32 v2, v48, v7
	ds_bpermute_b32 v11, v48, v9
	v_xor_b32_e32 v1, 0x80000000, v8
	ds_bpermute_b32 v8, v48, v1
	v_xor_b32_e32 v27, 0x80000000, v10
	;; [unrolled: 2-line block ×3, first 2 shown]
	s_waitcnt lgkmcnt(3)
	v_cndmask_b32_e64 v2, 0, v2, s[18:19]
	ds_bpermute_b32 v12, v48, v4
	v_xor_b32_e32 v6, 0x80000000, v6
	s_waitcnt lgkmcnt(3)
	v_cndmask_b32_e64 v2, v2, v11, s[16:17]
	ds_bpermute_b32 v11, v48, v3
	ds_bpermute_b32 v28, v48, v6
	s_waitcnt lgkmcnt(4)
	v_cndmask_b32_e64 v8, 0, v8, s[18:19]
	ds_bpermute_b32 v13, v48, v5
	s_waitcnt lgkmcnt(4)
	v_cndmask_b32_e64 v8, v8, v10, s[16:17]
	s_waitcnt lgkmcnt(3)
	v_cndmask_b32_e64 v8, v8, v12, s[14:15]
	ds_bpermute_b32 v12, v51, v7
	s_waitcnt lgkmcnt(3)
	v_cndmask_b32_e64 v2, v2, v11, s[14:15]
	;; [unrolled: 5-line block ×3, first 2 shown]
	ds_bpermute_b32 v2, v51, v1
	ds_bpermute_b32 v13, v51, v27
	s_waitcnt lgkmcnt(3)
	v_cndmask_b32_e64 v12, 0, v12, s[18:19]
	ds_bpermute_b32 v29, v51, v3
	ds_bpermute_b32 v28, v51, v4
	s_waitcnt lgkmcnt(4)
	v_cndmask_b32_e64 v8, v12, v8, s[16:17]
	ds_bpermute_b32 v12, v51, v5
	s_waitcnt lgkmcnt(4)
	v_cndmask_b32_e64 v2, 0, v2, s[18:19]
	s_waitcnt lgkmcnt(3)
	v_cndmask_b32_e64 v2, v2, v13, s[16:17]
	;; [unrolled: 2-line block ×4, first 2 shown]
	ds_bpermute_b32 v13, v51, v6
	s_waitcnt lgkmcnt(1)
	v_cndmask_b32_e64 v12, v8, v12, s[12:13]
	ds_bpermute_b32 v8, v52, v1
	ds_bpermute_b32 v28, v52, v7
	;; [unrolled: 1-line block ×5, first 2 shown]
	s_waitcnt lgkmcnt(5)
	v_cndmask_b32_e64 v13, v2, v13, s[12:13]
	s_waitcnt lgkmcnt(4)
	v_cndmask_b32_e64 v2, 0, v8, s[18:19]
	;; [unrolled: 2-line block ×3, first 2 shown]
	ds_bpermute_b32 v9, v50, v9
	s_waitcnt lgkmcnt(3)
	v_cndmask_b32_e64 v8, v8, v29, s[16:17]
	ds_bpermute_b32 v29, v52, v3
	ds_bpermute_b32 v3, v50, v3
	;; [unrolled: 1-line block ×4, first 2 shown]
	s_waitcnt lgkmcnt(6)
	v_cndmask_b32_e64 v7, 0, v7, s[18:19]
	s_waitcnt lgkmcnt(5)
	v_cndmask_b32_e64 v2, v2, v30, s[16:17]
	ds_bpermute_b32 v28, v52, v4
	ds_bpermute_b32 v30, v52, v5
	;; [unrolled: 1-line block ×3, first 2 shown]
	s_waitcnt lgkmcnt(7)
	v_cndmask_b32_e64 v7, v7, v9, s[16:17]
	ds_bpermute_b32 v5, v50, v5
	ds_bpermute_b32 v31, v52, v6
	s_waitcnt lgkmcnt(7)
	v_cndmask_b32_e64 v3, v7, v3, s[14:15]
	ds_bpermute_b32 v6, v50, v6
	ds_bpermute_b32 v7, v48, v18
	v_cndmask_b32_e64 v1, v8, v29, s[14:15]
	s_waitcnt lgkmcnt(8)
	v_cndmask_b32_e64 v8, 0, v32, s[18:19]
	s_waitcnt lgkmcnt(7)
	;; [unrolled: 2-line block ×4, first 2 shown]
	v_cndmask_b32_e64 v3, v3, v5, s[12:13]
	ds_bpermute_b32 v5, v48, v19
	ds_bpermute_b32 v8, v48, v21
	s_waitcnt lgkmcnt(3)
	v_cndmask_b32_e64 v4, v4, v6, s[12:13]
	s_waitcnt lgkmcnt(2)
	v_cndmask_b32_e64 v6, 0, v7, s[18:19]
	ds_bpermute_b32 v7, v48, v20
	s_waitcnt lgkmcnt(2)
	v_cndmask_b32_e64 v5, 0, v5, s[18:19]
	ds_bpermute_b32 v9, v48, v15
	;; [unrolled: 3-line block ×4, first 2 shown]
	ds_bpermute_b32 v27, v48, v16
	s_waitcnt lgkmcnt(3)
	v_cndmask_b32_e64 v5, v5, v9, s[14:15]
	s_waitcnt lgkmcnt(2)
	v_cndmask_b32_e64 v8, v6, v8, s[14:15]
	ds_bpermute_b32 v9, v51, v18
	s_waitcnt lgkmcnt(2)
	v_cndmask_b32_e64 v6, v5, v7, s[12:13]
	ds_bpermute_b32 v7, v51, v19
	;; [unrolled: 3-line block ×3, first 2 shown]
	ds_bpermute_b32 v27, v51, v20
	v_cndmask_b32_e64 v2, v2, v28, s[14:15]
	ds_bpermute_b32 v28, v51, v14
	s_waitcnt lgkmcnt(4)
	v_cndmask_b32_e64 v9, 0, v9, s[18:19]
	s_waitcnt lgkmcnt(3)
	v_cndmask_b32_e64 v7, 0, v7, s[18:19]
	;; [unrolled: 2-line block ×3, first 2 shown]
	ds_bpermute_b32 v8, v51, v15
	s_waitcnt lgkmcnt(2)
	v_cndmask_b32_e64 v9, v9, v27, s[16:17]
	s_waitcnt lgkmcnt(1)
	v_cndmask_b32_e64 v9, v9, v28, s[14:15]
	ds_bpermute_b32 v27, v51, v17
	ds_bpermute_b32 v28, v51, v16
	v_cndmask_b32_e64 v1, v1, v30, s[12:13]
	s_waitcnt lgkmcnt(2)
	v_cndmask_b32_e64 v7, v7, v8, s[14:15]
	ds_bpermute_b32 v29, v52, v18
	ds_bpermute_b32 v30, v52, v19
	s_waitcnt lgkmcnt(3)
	v_cndmask_b32_e64 v8, v7, v27, s[12:13]
	s_waitcnt lgkmcnt(2)
	v_cndmask_b32_e64 v7, v9, v28, s[12:13]
	ds_bpermute_b32 v9, v52, v21
	s_waitcnt lgkmcnt(2)
	v_cndmask_b32_e64 v27, 0, v29, s[18:19]
	s_waitcnt lgkmcnt(1)
	v_cndmask_b32_e64 v28, 0, v30, s[18:19]
	ds_bpermute_b32 v29, v52, v20
	ds_bpermute_b32 v30, v52, v14
	s_waitcnt lgkmcnt(2)
	v_cndmask_b32_e64 v9, v28, v9, s[16:17]
	ds_bpermute_b32 v28, v52, v15
	v_cndmask_b32_e64 v2, v2, v31, s[12:13]
	ds_bpermute_b32 v31, v52, v17
	s_waitcnt lgkmcnt(3)
	v_cndmask_b32_e64 v27, v27, v29, s[16:17]
	s_waitcnt lgkmcnt(2)
	v_cndmask_b32_e64 v27, v27, v30, s[14:15]
	ds_bpermute_b32 v29, v52, v16
	s_waitcnt lgkmcnt(2)
	v_cndmask_b32_e64 v9, v9, v28, s[14:15]
	ds_bpermute_b32 v28, v50, v18
	ds_bpermute_b32 v30, v50, v19
	s_waitcnt lgkmcnt(3)
	v_cndmask_b32_e64 v19, v9, v31, s[12:13]
	ds_bpermute_b32 v9, v50, v21
	ds_bpermute_b32 v20, v50, v20
	;; [unrolled: 1-line block ×6, first 2 shown]
	s_waitcnt lgkmcnt(8)
	v_cndmask_b32_e64 v18, v27, v29, s[12:13]
	s_waitcnt lgkmcnt(7)
	v_cndmask_b32_e64 v21, 0, v28, s[18:19]
	;; [unrolled: 2-line block ×7, first 2 shown]
	v_mov_b32_e32 v32, 0
	s_waitcnt lgkmcnt(1)
	v_cndmask_b32_e64 v21, v9, v17, s[12:13]
	s_waitcnt lgkmcnt(0)
	v_cndmask_b32_e64 v20, v14, v16, s[12:13]
	v_mov_b32_e32 v33, 0
	s_barrier
	s_branch .LBB317_4
.LBB317_3:                              ;   in Loop: Header=BB317_4 Depth=2
	s_andn2_b64 vcc, exec, s[34:35]
	s_cbranch_vccz .LBB317_1
.LBB317_4:                              ;   Parent Loop BB317_2 Depth=1
                                        ; =>  This Inner Loop Header: Depth=2
	v_mov_b32_e32 v41, v11
	v_mov_b32_e32 v37, v2
	;; [unrolled: 1-line block ×4, first 2 shown]
	v_lshrrev_b64 v[1:2], v32, v[40:41]
	v_mov_b32_e32 v31, v6
	v_lshlrev_b32_e32 v2, 4, v1
	v_and_b32_e32 v2, 0xff0, v2
	v_mov_b32_e32 v35, v4
	v_mov_b32_e32 v30, v5
	v_add_u32_e32 v5, v53, v2
	v_and_b32_e32 v2, 1, v1
	v_mov_b32_e32 v34, v3
	v_add_co_u32_e32 v3, vcc, -1, v2
	v_addc_co_u32_e64 v4, s[34:35], 0, -1, vcc
	v_cmp_ne_u32_e32 vcc, 0, v2
	v_lshlrev_b32_e32 v27, 30, v1
	v_xor_b32_e32 v2, vcc_hi, v4
	v_xor_b32_e32 v3, vcc_lo, v3
	v_cmp_gt_i64_e32 vcc, 0, v[26:27]
	v_not_b32_e32 v4, v27
	v_ashrrev_i32_e32 v4, 31, v4
	v_and_b32_e32 v3, exec_lo, v3
	v_xor_b32_e32 v6, vcc_hi, v4
	v_xor_b32_e32 v4, vcc_lo, v4
	v_lshlrev_b32_e32 v27, 29, v1
	v_and_b32_e32 v3, v3, v4
	v_cmp_gt_i64_e32 vcc, 0, v[26:27]
	v_not_b32_e32 v4, v27
	v_and_b32_e32 v2, exec_hi, v2
	v_ashrrev_i32_e32 v4, 31, v4
	v_and_b32_e32 v2, v2, v6
	v_xor_b32_e32 v6, vcc_hi, v4
	v_xor_b32_e32 v4, vcc_lo, v4
	v_lshlrev_b32_e32 v27, 28, v1
	v_and_b32_e32 v3, v3, v4
	v_cmp_gt_i64_e32 vcc, 0, v[26:27]
	v_not_b32_e32 v4, v27
	v_ashrrev_i32_e32 v4, 31, v4
	v_and_b32_e32 v2, v2, v6
	v_xor_b32_e32 v6, vcc_hi, v4
	v_xor_b32_e32 v4, vcc_lo, v4
	v_lshlrev_b32_e32 v27, 27, v1
	v_and_b32_e32 v3, v3, v4
	v_cmp_gt_i64_e32 vcc, 0, v[26:27]
	v_not_b32_e32 v4, v27
	;; [unrolled: 8-line block ×4, first 2 shown]
	v_ashrrev_i32_e32 v4, 31, v4
	v_lshlrev_b32_e32 v27, 24, v1
	v_and_b32_e32 v2, v2, v6
	v_xor_b32_e32 v6, vcc_hi, v4
	v_xor_b32_e32 v4, vcc_lo, v4
	v_cmp_gt_i64_e32 vcc, 0, v[26:27]
	v_not_b32_e32 v1, v27
	v_ashrrev_i32_e32 v1, 31, v1
	v_and_b32_e32 v3, v3, v4
	v_xor_b32_e32 v4, vcc_hi, v1
	v_xor_b32_e32 v1, vcc_lo, v1
	v_and_b32_e32 v2, v2, v6
	v_and_b32_e32 v1, v3, v1
	;; [unrolled: 1-line block ×3, first 2 shown]
	v_mbcnt_lo_u32_b32 v3, v1, 0
	v_mbcnt_hi_u32_b32 v6, v2, v3
	v_cmp_ne_u64_e32 vcc, 0, v[1:2]
	v_mov_b32_e32 v39, v13
	v_mov_b32_e32 v29, v8
	;; [unrolled: 1-line block ×4, first 2 shown]
	v_cmp_eq_u32_e64 s[34:35], 0, v6
	v_mov_b32_e32 v38, v12
	v_mov_b32_e32 v28, v7
	;; [unrolled: 1-line block ×4, first 2 shown]
	s_and_b64 s[36:37], vcc, s[34:35]
	ds_write2_b64 v42, v[24:25], v[22:23] offset0:2 offset1:3
	s_waitcnt lgkmcnt(0)
	s_barrier
	; wave barrier
	s_and_saveexec_b64 s[34:35], s[36:37]
; %bb.5:                                ;   in Loop: Header=BB317_4 Depth=2
	v_bcnt_u32_b32 v1, v1, 0
	v_bcnt_u32_b32 v1, v2, v1
	ds_write_b32 v5, v1 offset:16
; %bb.6:                                ;   in Loop: Header=BB317_4 Depth=2
	s_or_b64 exec, exec, s[34:35]
	v_lshrrev_b64 v[1:2], v32, v[38:39]
	v_lshlrev_b32_e32 v2, 4, v1
	v_and_b32_e32 v2, 0xff0, v2
	v_add_u32_e32 v8, v53, v2
	v_and_b32_e32 v2, 1, v1
	v_add_co_u32_e32 v3, vcc, -1, v2
	v_addc_co_u32_e64 v4, s[34:35], 0, -1, vcc
	v_cmp_ne_u32_e32 vcc, 0, v2
	v_lshlrev_b32_e32 v27, 30, v1
	v_xor_b32_e32 v2, vcc_hi, v4
	v_xor_b32_e32 v3, vcc_lo, v3
	v_cmp_gt_i64_e32 vcc, 0, v[26:27]
	v_not_b32_e32 v4, v27
	v_ashrrev_i32_e32 v4, 31, v4
	v_and_b32_e32 v3, exec_lo, v3
	v_xor_b32_e32 v9, vcc_hi, v4
	v_xor_b32_e32 v4, vcc_lo, v4
	v_lshlrev_b32_e32 v27, 29, v1
	v_and_b32_e32 v3, v3, v4
	v_cmp_gt_i64_e32 vcc, 0, v[26:27]
	v_not_b32_e32 v4, v27
	v_and_b32_e32 v2, exec_hi, v2
	v_ashrrev_i32_e32 v4, 31, v4
	v_and_b32_e32 v2, v2, v9
	v_xor_b32_e32 v9, vcc_hi, v4
	v_xor_b32_e32 v4, vcc_lo, v4
	v_lshlrev_b32_e32 v27, 28, v1
	v_and_b32_e32 v3, v3, v4
	v_cmp_gt_i64_e32 vcc, 0, v[26:27]
	v_not_b32_e32 v4, v27
	v_ashrrev_i32_e32 v4, 31, v4
	v_and_b32_e32 v2, v2, v9
	v_xor_b32_e32 v9, vcc_hi, v4
	v_xor_b32_e32 v4, vcc_lo, v4
	v_lshlrev_b32_e32 v27, 27, v1
	v_and_b32_e32 v3, v3, v4
	v_cmp_gt_i64_e32 vcc, 0, v[26:27]
	v_not_b32_e32 v4, v27
	;; [unrolled: 8-line block ×4, first 2 shown]
	v_ashrrev_i32_e32 v4, 31, v4
	v_lshlrev_b32_e32 v27, 24, v1
	v_and_b32_e32 v2, v2, v9
	v_xor_b32_e32 v9, vcc_hi, v4
	v_xor_b32_e32 v4, vcc_lo, v4
	v_cmp_gt_i64_e32 vcc, 0, v[26:27]
	v_not_b32_e32 v1, v27
	v_ashrrev_i32_e32 v1, 31, v1
	v_and_b32_e32 v3, v3, v4
	v_xor_b32_e32 v4, vcc_hi, v1
	v_xor_b32_e32 v1, vcc_lo, v1
	; wave barrier
	ds_read_b32 v7, v8 offset:16
	v_and_b32_e32 v2, v2, v9
	v_and_b32_e32 v1, v3, v1
	;; [unrolled: 1-line block ×3, first 2 shown]
	v_mbcnt_lo_u32_b32 v3, v1, 0
	v_mbcnt_hi_u32_b32 v9, v2, v3
	v_cmp_ne_u64_e32 vcc, 0, v[1:2]
	v_cmp_eq_u32_e64 s[34:35], 0, v9
	s_and_b64 s[36:37], vcc, s[34:35]
	; wave barrier
	s_and_saveexec_b64 s[34:35], s[36:37]
	s_cbranch_execz .LBB317_8
; %bb.7:                                ;   in Loop: Header=BB317_4 Depth=2
	v_bcnt_u32_b32 v1, v1, 0
	v_bcnt_u32_b32 v1, v2, v1
	s_waitcnt lgkmcnt(0)
	v_add_u32_e32 v1, v7, v1
	ds_write_b32 v8, v1 offset:16
.LBB317_8:                              ;   in Loop: Header=BB317_4 Depth=2
	s_or_b64 exec, exec, s[34:35]
	v_lshrrev_b64 v[1:2], v32, v[36:37]
	v_lshlrev_b32_e32 v2, 4, v1
	v_and_b32_e32 v2, 0xff0, v2
	v_add_u32_e32 v11, v53, v2
	v_and_b32_e32 v2, 1, v1
	v_add_co_u32_e32 v3, vcc, -1, v2
	v_addc_co_u32_e64 v4, s[34:35], 0, -1, vcc
	v_cmp_ne_u32_e32 vcc, 0, v2
	v_lshlrev_b32_e32 v27, 30, v1
	v_xor_b32_e32 v2, vcc_hi, v4
	v_xor_b32_e32 v3, vcc_lo, v3
	v_cmp_gt_i64_e32 vcc, 0, v[26:27]
	v_not_b32_e32 v4, v27
	v_ashrrev_i32_e32 v4, 31, v4
	v_and_b32_e32 v3, exec_lo, v3
	v_xor_b32_e32 v12, vcc_hi, v4
	v_xor_b32_e32 v4, vcc_lo, v4
	v_lshlrev_b32_e32 v27, 29, v1
	v_and_b32_e32 v3, v3, v4
	v_cmp_gt_i64_e32 vcc, 0, v[26:27]
	v_not_b32_e32 v4, v27
	v_and_b32_e32 v2, exec_hi, v2
	v_ashrrev_i32_e32 v4, 31, v4
	v_and_b32_e32 v2, v2, v12
	v_xor_b32_e32 v12, vcc_hi, v4
	v_xor_b32_e32 v4, vcc_lo, v4
	v_lshlrev_b32_e32 v27, 28, v1
	v_and_b32_e32 v3, v3, v4
	v_cmp_gt_i64_e32 vcc, 0, v[26:27]
	v_not_b32_e32 v4, v27
	v_ashrrev_i32_e32 v4, 31, v4
	v_and_b32_e32 v2, v2, v12
	v_xor_b32_e32 v12, vcc_hi, v4
	v_xor_b32_e32 v4, vcc_lo, v4
	v_lshlrev_b32_e32 v27, 27, v1
	v_and_b32_e32 v3, v3, v4
	v_cmp_gt_i64_e32 vcc, 0, v[26:27]
	v_not_b32_e32 v4, v27
	;; [unrolled: 8-line block ×4, first 2 shown]
	v_ashrrev_i32_e32 v4, 31, v4
	v_lshlrev_b32_e32 v27, 24, v1
	v_and_b32_e32 v2, v2, v12
	v_xor_b32_e32 v12, vcc_hi, v4
	v_xor_b32_e32 v4, vcc_lo, v4
	v_cmp_gt_i64_e32 vcc, 0, v[26:27]
	v_not_b32_e32 v1, v27
	v_ashrrev_i32_e32 v1, 31, v1
	v_and_b32_e32 v3, v3, v4
	v_xor_b32_e32 v4, vcc_hi, v1
	v_xor_b32_e32 v1, vcc_lo, v1
	; wave barrier
	ds_read_b32 v10, v11 offset:16
	v_and_b32_e32 v2, v2, v12
	v_and_b32_e32 v1, v3, v1
	;; [unrolled: 1-line block ×3, first 2 shown]
	v_mbcnt_lo_u32_b32 v3, v1, 0
	v_mbcnt_hi_u32_b32 v12, v2, v3
	v_cmp_ne_u64_e32 vcc, 0, v[1:2]
	v_cmp_eq_u32_e64 s[34:35], 0, v12
	s_and_b64 s[36:37], vcc, s[34:35]
	; wave barrier
	s_and_saveexec_b64 s[34:35], s[36:37]
	s_cbranch_execz .LBB317_10
; %bb.9:                                ;   in Loop: Header=BB317_4 Depth=2
	v_bcnt_u32_b32 v1, v1, 0
	v_bcnt_u32_b32 v1, v2, v1
	s_waitcnt lgkmcnt(0)
	v_add_u32_e32 v1, v10, v1
	ds_write_b32 v11, v1 offset:16
.LBB317_10:                             ;   in Loop: Header=BB317_4 Depth=2
	s_or_b64 exec, exec, s[34:35]
	v_lshrrev_b64 v[1:2], v32, v[34:35]
	v_lshlrev_b32_e32 v2, 4, v1
	v_and_b32_e32 v2, 0xff0, v2
	v_add_u32_e32 v18, v53, v2
	v_and_b32_e32 v2, 1, v1
	v_add_co_u32_e32 v3, vcc, -1, v2
	v_addc_co_u32_e64 v4, s[34:35], 0, -1, vcc
	v_cmp_ne_u32_e32 vcc, 0, v2
	v_lshlrev_b32_e32 v27, 30, v1
	v_xor_b32_e32 v2, vcc_hi, v4
	v_xor_b32_e32 v3, vcc_lo, v3
	v_cmp_gt_i64_e32 vcc, 0, v[26:27]
	v_not_b32_e32 v4, v27
	v_ashrrev_i32_e32 v4, 31, v4
	v_and_b32_e32 v3, exec_lo, v3
	v_xor_b32_e32 v19, vcc_hi, v4
	v_xor_b32_e32 v4, vcc_lo, v4
	v_lshlrev_b32_e32 v27, 29, v1
	v_and_b32_e32 v3, v3, v4
	v_cmp_gt_i64_e32 vcc, 0, v[26:27]
	v_not_b32_e32 v4, v27
	v_and_b32_e32 v2, exec_hi, v2
	v_ashrrev_i32_e32 v4, 31, v4
	v_and_b32_e32 v2, v2, v19
	v_xor_b32_e32 v19, vcc_hi, v4
	v_xor_b32_e32 v4, vcc_lo, v4
	v_lshlrev_b32_e32 v27, 28, v1
	v_and_b32_e32 v3, v3, v4
	v_cmp_gt_i64_e32 vcc, 0, v[26:27]
	v_not_b32_e32 v4, v27
	v_ashrrev_i32_e32 v4, 31, v4
	v_and_b32_e32 v2, v2, v19
	v_xor_b32_e32 v19, vcc_hi, v4
	v_xor_b32_e32 v4, vcc_lo, v4
	v_lshlrev_b32_e32 v27, 27, v1
	v_and_b32_e32 v3, v3, v4
	v_cmp_gt_i64_e32 vcc, 0, v[26:27]
	v_not_b32_e32 v4, v27
	;; [unrolled: 8-line block ×4, first 2 shown]
	v_ashrrev_i32_e32 v4, 31, v4
	v_lshlrev_b32_e32 v27, 24, v1
	v_and_b32_e32 v2, v2, v19
	v_xor_b32_e32 v19, vcc_hi, v4
	v_xor_b32_e32 v4, vcc_lo, v4
	v_cmp_gt_i64_e32 vcc, 0, v[26:27]
	v_not_b32_e32 v1, v27
	v_ashrrev_i32_e32 v1, 31, v1
	v_and_b32_e32 v3, v3, v4
	v_xor_b32_e32 v4, vcc_hi, v1
	v_xor_b32_e32 v1, vcc_lo, v1
	; wave barrier
	ds_read_b32 v13, v18 offset:16
	v_and_b32_e32 v2, v2, v19
	v_and_b32_e32 v1, v3, v1
	;; [unrolled: 1-line block ×3, first 2 shown]
	v_mbcnt_lo_u32_b32 v3, v1, 0
	v_mbcnt_hi_u32_b32 v19, v2, v3
	v_cmp_ne_u64_e32 vcc, 0, v[1:2]
	v_cmp_eq_u32_e64 s[34:35], 0, v19
	s_and_b64 s[36:37], vcc, s[34:35]
	; wave barrier
	s_and_saveexec_b64 s[34:35], s[36:37]
	s_cbranch_execz .LBB317_12
; %bb.11:                               ;   in Loop: Header=BB317_4 Depth=2
	v_bcnt_u32_b32 v1, v1, 0
	v_bcnt_u32_b32 v1, v2, v1
	s_waitcnt lgkmcnt(0)
	v_add_u32_e32 v1, v13, v1
	ds_write_b32 v18, v1 offset:16
.LBB317_12:                             ;   in Loop: Header=BB317_4 Depth=2
	s_or_b64 exec, exec, s[34:35]
	; wave barrier
	s_waitcnt lgkmcnt(0)
	s_barrier
	ds_read2_b64 v[1:4], v42 offset0:2 offset1:3
	s_waitcnt lgkmcnt(0)
	v_add_u32_e32 v20, v2, v1
	v_add3_u32 v4, v20, v3, v4
	s_nop 1
	v_mov_b32_dpp v20, v4 row_shr:1 row_mask:0xf bank_mask:0xf
	v_cndmask_b32_e64 v20, v20, 0, s[20:21]
	v_add_u32_e32 v4, v20, v4
	s_nop 1
	v_mov_b32_dpp v20, v4 row_shr:2 row_mask:0xf bank_mask:0xf
	v_cndmask_b32_e64 v20, 0, v20, s[22:23]
	v_add_u32_e32 v4, v4, v20
	;; [unrolled: 4-line block ×4, first 2 shown]
	s_nop 1
	v_mov_b32_dpp v20, v4 row_bcast:15 row_mask:0xf bank_mask:0xf
	v_cndmask_b32_e64 v20, v20, 0, s[28:29]
	v_add_u32_e32 v4, v4, v20
	s_nop 1
	v_mov_b32_dpp v20, v4 row_bcast:31 row_mask:0xf bank_mask:0xf
	v_cndmask_b32_e64 v20, 0, v20, s[6:7]
	v_add_u32_e32 v4, v4, v20
	s_and_saveexec_b64 s[34:35], s[8:9]
; %bb.13:                               ;   in Loop: Header=BB317_4 Depth=2
	ds_write_b32 v43, v4
; %bb.14:                               ;   in Loop: Header=BB317_4 Depth=2
	s_or_b64 exec, exec, s[34:35]
	s_waitcnt lgkmcnt(0)
	s_barrier
	s_and_saveexec_b64 s[34:35], s[0:1]
	s_cbranch_execz .LBB317_16
; %bb.15:                               ;   in Loop: Header=BB317_4 Depth=2
	ds_read_b32 v20, v44
	s_waitcnt lgkmcnt(0)
	s_nop 0
	v_mov_b32_dpp v21, v20 row_shr:1 row_mask:0xf bank_mask:0xf
	v_cndmask_b32_e64 v21, v21, 0, s[18:19]
	v_add_u32_e32 v20, v21, v20
	s_nop 1
	v_mov_b32_dpp v21, v20 row_shr:2 row_mask:0xf bank_mask:0xf
	v_cndmask_b32_e64 v21, 0, v21, s[30:31]
	v_add_u32_e32 v20, v20, v21
	ds_write_b32 v44, v20
.LBB317_16:                             ;   in Loop: Header=BB317_4 Depth=2
	s_or_b64 exec, exec, s[34:35]
	v_mov_b32_e32 v20, 0
	s_waitcnt lgkmcnt(0)
	s_barrier
	s_and_saveexec_b64 s[34:35], s[2:3]
; %bb.17:                               ;   in Loop: Header=BB317_4 Depth=2
	ds_read_b32 v20, v45
; %bb.18:                               ;   in Loop: Header=BB317_4 Depth=2
	s_or_b64 exec, exec, s[34:35]
	s_waitcnt lgkmcnt(0)
	v_add_u32_e32 v4, v20, v4
	ds_bpermute_b32 v4, v49, v4
	v_cmp_lt_u32_e32 vcc, 55, v32
	s_and_b64 vcc, exec, vcc
	s_mov_b64 s[34:35], -1
	s_waitcnt lgkmcnt(0)
	v_cndmask_b32_e64 v4, v4, v20, s[10:11]
	v_cndmask_b32_e64 v20, v4, 0, s[4:5]
	v_add_u32_e32 v21, v20, v1
	v_add_u32_e32 v1, v21, v2
	;; [unrolled: 1-line block ×3, first 2 shown]
	ds_write2_b64 v42, v[20:21], v[1:2] offset0:2 offset1:3
	s_waitcnt lgkmcnt(0)
	s_barrier
	ds_read_b32 v1, v5 offset:16
	ds_read_b32 v2, v8 offset:16
	;; [unrolled: 1-line block ×4, first 2 shown]
	s_waitcnt lgkmcnt(3)
	v_add_u32_e32 v55, v1, v6
	s_waitcnt lgkmcnt(2)
	v_add3_u32 v54, v9, v7, v2
	s_waitcnt lgkmcnt(1)
	v_add3_u32 v27, v12, v10, v3
	;; [unrolled: 2-line block ×3, first 2 shown]
                                        ; implicit-def: $vgpr3_vgpr4
                                        ; implicit-def: $vgpr12_vgpr13
                                        ; implicit-def: $vgpr5_vgpr6
                                        ; implicit-def: $vgpr18_vgpr19
	s_cbranch_vccnz .LBB317_3
; %bb.19:                               ;   in Loop: Header=BB317_4 Depth=2
	v_lshlrev_b32_e32 v5, 3, v55
	v_lshlrev_b32_e32 v6, 3, v54
	;; [unrolled: 1-line block ×4, first 2 shown]
	s_barrier
	ds_write_b64 v5, v[40:41]
	ds_write_b64 v6, v[38:39]
	;; [unrolled: 1-line block ×4, first 2 shown]
	s_waitcnt lgkmcnt(0)
	s_barrier
	ds_read2st64_b64 v[10:13], v46 offset1:1
	ds_read2st64_b64 v[1:4], v46 offset0:2 offset1:3
	s_waitcnt lgkmcnt(0)
	s_barrier
	ds_write_b64 v5, v[30:31]
	ds_write_b64 v6, v[28:29]
	;; [unrolled: 1-line block ×4, first 2 shown]
	s_waitcnt lgkmcnt(0)
	s_barrier
	ds_read2st64_b64 v[5:8], v46 offset1:1
	ds_read2st64_b64 v[18:21], v46 offset0:2 offset1:3
	v_add_co_u32_e32 v32, vcc, 8, v32
	v_addc_co_u32_e32 v33, vcc, 0, v33, vcc
	s_mov_b64 s[34:35], 0
	s_waitcnt lgkmcnt(0)
	s_barrier
	s_branch .LBB317_3
.LBB317_20:
	s_waitcnt lgkmcnt(1)
	v_add_co_u32_e32 v1, vcc, v18, v7
	v_addc_co_u32_e32 v2, vcc, v19, v8, vcc
	v_add_co_u32_e32 v7, vcc, v20, v9
	v_addc_co_u32_e32 v8, vcc, v21, v10, vcc
	s_waitcnt lgkmcnt(0)
	v_add_co_u32_e32 v3, vcc, v14, v3
	v_addc_co_u32_e32 v4, vcc, v15, v4, vcc
	v_add_co_u32_e32 v5, vcc, v16, v5
	s_add_u32 s0, s38, s40
	v_addc_co_u32_e32 v6, vcc, v17, v6, vcc
	s_addc_u32 s1, s39, s41
	v_lshlrev_b32_e32 v0, 3, v0
	v_mov_b32_e32 v9, s1
	v_add_co_u32_e32 v10, vcc, s0, v0
	v_addc_co_u32_e32 v9, vcc, 0, v9, vcc
	global_store_dwordx2 v0, v[1:2], s[0:1]
	global_store_dwordx2 v0, v[7:8], s[0:1] offset:2048
	v_add_co_u32_e32 v0, vcc, 0x1000, v10
	v_addc_co_u32_e32 v1, vcc, 0, v9, vcc
	global_store_dwordx2 v[0:1], v[3:4], off
	global_store_dwordx2 v[0:1], v[5:6], off offset:2048
	s_endpgm
	.section	.rodata,"a",@progbits
	.p2align	6, 0x0
	.amdhsa_kernel _Z17sort_pairs_kernelI22helper_blocked_stripedxLj256ELj4ELj10EEvPKT0_PS1_
		.amdhsa_group_segment_fixed_size 8192
		.amdhsa_private_segment_fixed_size 0
		.amdhsa_kernarg_size 272
		.amdhsa_user_sgpr_count 6
		.amdhsa_user_sgpr_private_segment_buffer 1
		.amdhsa_user_sgpr_dispatch_ptr 0
		.amdhsa_user_sgpr_queue_ptr 0
		.amdhsa_user_sgpr_kernarg_segment_ptr 1
		.amdhsa_user_sgpr_dispatch_id 0
		.amdhsa_user_sgpr_flat_scratch_init 0
		.amdhsa_user_sgpr_private_segment_size 0
		.amdhsa_uses_dynamic_stack 0
		.amdhsa_system_sgpr_private_segment_wavefront_offset 0
		.amdhsa_system_sgpr_workgroup_id_x 1
		.amdhsa_system_sgpr_workgroup_id_y 0
		.amdhsa_system_sgpr_workgroup_id_z 0
		.amdhsa_system_sgpr_workgroup_info 0
		.amdhsa_system_vgpr_workitem_id 2
		.amdhsa_next_free_vgpr 56
		.amdhsa_next_free_sgpr 61
		.amdhsa_reserve_vcc 1
		.amdhsa_reserve_flat_scratch 0
		.amdhsa_float_round_mode_32 0
		.amdhsa_float_round_mode_16_64 0
		.amdhsa_float_denorm_mode_32 3
		.amdhsa_float_denorm_mode_16_64 3
		.amdhsa_dx10_clamp 1
		.amdhsa_ieee_mode 1
		.amdhsa_fp16_overflow 0
		.amdhsa_exception_fp_ieee_invalid_op 0
		.amdhsa_exception_fp_denorm_src 0
		.amdhsa_exception_fp_ieee_div_zero 0
		.amdhsa_exception_fp_ieee_overflow 0
		.amdhsa_exception_fp_ieee_underflow 0
		.amdhsa_exception_fp_ieee_inexact 0
		.amdhsa_exception_int_div_zero 0
	.end_amdhsa_kernel
	.section	.text._Z17sort_pairs_kernelI22helper_blocked_stripedxLj256ELj4ELj10EEvPKT0_PS1_,"axG",@progbits,_Z17sort_pairs_kernelI22helper_blocked_stripedxLj256ELj4ELj10EEvPKT0_PS1_,comdat
.Lfunc_end317:
	.size	_Z17sort_pairs_kernelI22helper_blocked_stripedxLj256ELj4ELj10EEvPKT0_PS1_, .Lfunc_end317-_Z17sort_pairs_kernelI22helper_blocked_stripedxLj256ELj4ELj10EEvPKT0_PS1_
                                        ; -- End function
	.set _Z17sort_pairs_kernelI22helper_blocked_stripedxLj256ELj4ELj10EEvPKT0_PS1_.num_vgpr, 56
	.set _Z17sort_pairs_kernelI22helper_blocked_stripedxLj256ELj4ELj10EEvPKT0_PS1_.num_agpr, 0
	.set _Z17sort_pairs_kernelI22helper_blocked_stripedxLj256ELj4ELj10EEvPKT0_PS1_.numbered_sgpr, 44
	.set _Z17sort_pairs_kernelI22helper_blocked_stripedxLj256ELj4ELj10EEvPKT0_PS1_.num_named_barrier, 0
	.set _Z17sort_pairs_kernelI22helper_blocked_stripedxLj256ELj4ELj10EEvPKT0_PS1_.private_seg_size, 0
	.set _Z17sort_pairs_kernelI22helper_blocked_stripedxLj256ELj4ELj10EEvPKT0_PS1_.uses_vcc, 1
	.set _Z17sort_pairs_kernelI22helper_blocked_stripedxLj256ELj4ELj10EEvPKT0_PS1_.uses_flat_scratch, 0
	.set _Z17sort_pairs_kernelI22helper_blocked_stripedxLj256ELj4ELj10EEvPKT0_PS1_.has_dyn_sized_stack, 0
	.set _Z17sort_pairs_kernelI22helper_blocked_stripedxLj256ELj4ELj10EEvPKT0_PS1_.has_recursion, 0
	.set _Z17sort_pairs_kernelI22helper_blocked_stripedxLj256ELj4ELj10EEvPKT0_PS1_.has_indirect_call, 0
	.section	.AMDGPU.csdata,"",@progbits
; Kernel info:
; codeLenInByte = 4216
; TotalNumSgprs: 48
; NumVgprs: 56
; ScratchSize: 0
; MemoryBound: 0
; FloatMode: 240
; IeeeMode: 1
; LDSByteSize: 8192 bytes/workgroup (compile time only)
; SGPRBlocks: 8
; VGPRBlocks: 13
; NumSGPRsForWavesPerEU: 65
; NumVGPRsForWavesPerEU: 56
; Occupancy: 4
; WaveLimiterHint : 1
; COMPUTE_PGM_RSRC2:SCRATCH_EN: 0
; COMPUTE_PGM_RSRC2:USER_SGPR: 6
; COMPUTE_PGM_RSRC2:TRAP_HANDLER: 0
; COMPUTE_PGM_RSRC2:TGID_X_EN: 1
; COMPUTE_PGM_RSRC2:TGID_Y_EN: 0
; COMPUTE_PGM_RSRC2:TGID_Z_EN: 0
; COMPUTE_PGM_RSRC2:TIDIG_COMP_CNT: 2
	.section	.text._Z16sort_keys_kernelI22helper_blocked_stripedxLj256ELj8ELj10EEvPKT0_PS1_,"axG",@progbits,_Z16sort_keys_kernelI22helper_blocked_stripedxLj256ELj8ELj10EEvPKT0_PS1_,comdat
	.protected	_Z16sort_keys_kernelI22helper_blocked_stripedxLj256ELj8ELj10EEvPKT0_PS1_ ; -- Begin function _Z16sort_keys_kernelI22helper_blocked_stripedxLj256ELj8ELj10EEvPKT0_PS1_
	.globl	_Z16sort_keys_kernelI22helper_blocked_stripedxLj256ELj8ELj10EEvPKT0_PS1_
	.p2align	8
	.type	_Z16sort_keys_kernelI22helper_blocked_stripedxLj256ELj8ELj10EEvPKT0_PS1_,@function
_Z16sort_keys_kernelI22helper_blocked_stripedxLj256ELj8ELj10EEvPKT0_PS1_: ; @_Z16sort_keys_kernelI22helper_blocked_stripedxLj256ELj8ELj10EEvPKT0_PS1_
; %bb.0:
	s_load_dwordx4 s[28:31], s[4:5], 0x0
	s_load_dword s2, s[4:5], 0x1c
	s_lshl_b32 s34, s6, 11
	s_mov_b32 s35, 0
	s_lshl_b64 s[36:37], s[34:35], 3
	s_waitcnt lgkmcnt(0)
	s_add_u32 s0, s28, s36
	s_addc_u32 s1, s29, s37
	v_lshlrev_b32_e32 v19, 6, v0
	global_load_dwordx4 v[3:6], v19, s[0:1] offset:48
	global_load_dwordx4 v[7:10], v19, s[0:1] offset:32
	;; [unrolled: 1-line block ×3, first 2 shown]
	global_load_dwordx4 v[15:18], v19, s[0:1]
	s_lshr_b32 s0, s2, 16
	v_mbcnt_lo_u32_b32 v20, -1, 0
	s_and_b32 s1, s2, 0xffff
	v_mad_u32_u24 v1, v2, s0, v1
	v_mbcnt_hi_u32_b32 v20, -1, v20
	v_mad_u64_u32 v[1:2], s[0:1], v1, s1, v[0:1]
	v_and_b32_e32 v2, 15, v20
	v_and_b32_e32 v21, 0xc0, v0
	v_cmp_eq_u32_e64 s[0:1], 0, v2
	v_cmp_lt_u32_e64 s[2:3], 1, v2
	v_cmp_lt_u32_e64 s[4:5], 3, v2
	;; [unrolled: 1-line block ×3, first 2 shown]
	v_and_b32_e32 v2, 16, v20
	v_and_b32_e32 v19, 0x3000, v19
	v_cmp_eq_u32_e64 s[8:9], 0, v2
	v_or_b32_e32 v2, 63, v21
	v_lshl_or_b32 v42, v20, 3, v19
	v_cmp_eq_u32_e64 s[12:13], v0, v2
	v_subrev_co_u32_e64 v2, s[18:19], 1, v20
	v_and_b32_e32 v19, 64, v20
	v_cmp_lt_i32_e32 vcc, v2, v19
	v_cndmask_b32_e32 v2, v2, v20, vcc
	v_lshlrev_b32_e32 v43, 4, v0
	v_lshlrev_b32_e32 v44, 2, v2
	v_lshrrev_b32_e32 v2, 4, v0
	v_lshrrev_b32_e32 v1, 4, v1
	s_mov_b32 s34, s35
	s_mov_b32 s26, s35
	v_add_lshl_u32 v41, v20, v21, 6
	v_cmp_lt_u32_e64 s[10:11], 31, v20
	v_and_b32_e32 v45, 12, v2
	v_mad_i32_i24 v46, v0, -12, v43
	v_and_b32_e32 v2, 3, v20
	v_and_b32_e32 v48, 0xffffffc, v1
	v_lshlrev_b32_e32 v1, 2, v0
	s_mov_b32 s27, s35
	v_mov_b32_e32 v19, s34
	v_mov_b32_e32 v21, s26
	v_cmp_gt_u32_e64 s[14:15], 4, v0
	v_cmp_lt_u32_e64 s[16:17], 63, v0
	v_cmp_eq_u32_e64 s[20:21], 0, v0
	v_cmp_eq_u32_e64 s[22:23], 0, v2
	v_cmp_lt_u32_e64 s[24:25], 1, v2
	v_add_u32_e32 v47, -4, v45
	v_mov_b32_e32 v20, s35
	v_mov_b32_e32 v22, s27
	;; [unrolled: 1-line block ×3, first 2 shown]
	v_add_u32_e32 v49, v46, v1
	s_branch .LBB318_2
.LBB318_1:                              ;   in Loop: Header=BB318_2 Depth=1
	v_lshlrev_b32_e32 v1, 3, v61
	s_barrier
	ds_write_b64 v1, v[39:40]
	v_lshlrev_b32_e32 v1, 3, v60
	ds_write_b64 v1, v[37:38]
	v_lshlrev_b32_e32 v1, 3, v59
	;; [unrolled: 2-line block ×7, first 2 shown]
	ds_write_b64 v1, v[17:18]
	s_waitcnt lgkmcnt(0)
	s_barrier
	ds_read2st64_b64 v[15:18], v49 offset1:4
	ds_read2st64_b64 v[11:14], v49 offset0:8 offset1:12
	ds_read2st64_b64 v[7:10], v49 offset0:16 offset1:20
	;; [unrolled: 1-line block ×3, first 2 shown]
	s_add_i32 s35, s35, 1
	s_waitcnt lgkmcnt(3)
	v_xor_b32_e32 v16, 0x80000000, v16
	v_xor_b32_e32 v18, 0x80000000, v18
	s_waitcnt lgkmcnt(2)
	v_xor_b32_e32 v12, 0x80000000, v12
	v_xor_b32_e32 v14, 0x80000000, v14
	;; [unrolled: 3-line block ×3, first 2 shown]
	s_waitcnt lgkmcnt(0)
	v_xor_b32_e32 v4, 0x80000000, v4
	s_cmp_eq_u32 s35, 10
	v_xor_b32_e32 v6, 0x80000000, v6
	s_cbranch_scc1 .LBB318_28
.LBB318_2:                              ; =>This Loop Header: Depth=1
                                        ;     Child Loop BB318_4 Depth 2
	s_waitcnt vmcnt(0)
	v_xor_b32_e32 v16, 0x80000000, v16
	v_xor_b32_e32 v18, 0x80000000, v18
	;; [unrolled: 1-line block ×8, first 2 shown]
	ds_write2_b64 v41, v[15:16], v[17:18] offset1:1
	ds_write2_b64 v41, v[11:12], v[13:14] offset0:2 offset1:3
	ds_write2_b64 v41, v[7:8], v[9:10] offset0:4 offset1:5
	;; [unrolled: 1-line block ×3, first 2 shown]
	; wave barrier
	ds_read2st64_b64 v[1:4], v42 offset1:1
	ds_read2st64_b64 v[5:8], v42 offset0:2 offset1:3
	ds_read2st64_b64 v[9:12], v42 offset0:4 offset1:5
	;; [unrolled: 1-line block ×3, first 2 shown]
	v_mov_b32_e32 v29, 0
	v_mov_b32_e32 v30, 0
	s_waitcnt lgkmcnt(0)
	s_barrier
	; wave barrier
	s_barrier
	s_branch .LBB318_4
.LBB318_3:                              ;   in Loop: Header=BB318_4 Depth=2
	s_andn2_b64 vcc, exec, s[26:27]
	s_cbranch_vccz .LBB318_1
.LBB318_4:                              ;   Parent Loop BB318_2 Depth=1
                                        ; =>  This Inner Loop Header: Depth=2
	v_mov_b32_e32 v40, v2
	v_mov_b32_e32 v39, v1
	v_lshrrev_b64 v[1:2], v29, v[39:40]
	v_mov_b32_e32 v36, v6
	v_lshlrev_b32_e32 v2, 4, v1
	v_and_b32_e32 v2, 0xff0, v2
	v_mov_b32_e32 v35, v5
	v_mov_b32_e32 v38, v4
	v_add_u32_e32 v5, v48, v2
	v_and_b32_e32 v2, 1, v1
	v_mov_b32_e32 v37, v3
	v_add_co_u32_e32 v3, vcc, -1, v2
	v_addc_co_u32_e64 v4, s[26:27], 0, -1, vcc
	v_cmp_ne_u32_e32 vcc, 0, v2
	v_lshlrev_b32_e32 v24, 30, v1
	v_xor_b32_e32 v2, vcc_hi, v4
	v_xor_b32_e32 v3, vcc_lo, v3
	v_cmp_gt_i64_e32 vcc, 0, v[23:24]
	v_not_b32_e32 v4, v24
	v_ashrrev_i32_e32 v4, 31, v4
	v_and_b32_e32 v3, exec_lo, v3
	v_xor_b32_e32 v6, vcc_hi, v4
	v_xor_b32_e32 v4, vcc_lo, v4
	v_lshlrev_b32_e32 v24, 29, v1
	v_and_b32_e32 v3, v3, v4
	v_cmp_gt_i64_e32 vcc, 0, v[23:24]
	v_not_b32_e32 v4, v24
	v_and_b32_e32 v2, exec_hi, v2
	v_ashrrev_i32_e32 v4, 31, v4
	v_and_b32_e32 v2, v2, v6
	v_xor_b32_e32 v6, vcc_hi, v4
	v_xor_b32_e32 v4, vcc_lo, v4
	v_lshlrev_b32_e32 v24, 28, v1
	v_and_b32_e32 v3, v3, v4
	v_cmp_gt_i64_e32 vcc, 0, v[23:24]
	v_not_b32_e32 v4, v24
	v_ashrrev_i32_e32 v4, 31, v4
	v_and_b32_e32 v2, v2, v6
	v_xor_b32_e32 v6, vcc_hi, v4
	v_xor_b32_e32 v4, vcc_lo, v4
	v_lshlrev_b32_e32 v24, 27, v1
	v_and_b32_e32 v3, v3, v4
	v_cmp_gt_i64_e32 vcc, 0, v[23:24]
	v_not_b32_e32 v4, v24
	;; [unrolled: 8-line block ×4, first 2 shown]
	v_ashrrev_i32_e32 v4, 31, v4
	v_lshlrev_b32_e32 v24, 24, v1
	v_and_b32_e32 v2, v2, v6
	v_xor_b32_e32 v6, vcc_hi, v4
	v_xor_b32_e32 v4, vcc_lo, v4
	v_cmp_gt_i64_e32 vcc, 0, v[23:24]
	v_not_b32_e32 v1, v24
	v_ashrrev_i32_e32 v1, 31, v1
	v_and_b32_e32 v3, v3, v4
	v_xor_b32_e32 v4, vcc_hi, v1
	v_xor_b32_e32 v1, vcc_lo, v1
	v_and_b32_e32 v2, v2, v6
	v_and_b32_e32 v1, v3, v1
	;; [unrolled: 1-line block ×3, first 2 shown]
	v_mbcnt_lo_u32_b32 v3, v1, 0
	v_mbcnt_hi_u32_b32 v6, v2, v3
	v_cmp_ne_u64_e32 vcc, 0, v[1:2]
	v_mov_b32_e32 v18, v16
	v_mov_b32_e32 v26, v14
	;; [unrolled: 1-line block ×5, first 2 shown]
	v_cmp_eq_u32_e64 s[26:27], 0, v6
	v_mov_b32_e32 v17, v15
	v_mov_b32_e32 v25, v13
	;; [unrolled: 1-line block ×5, first 2 shown]
	s_and_b64 s[28:29], vcc, s[26:27]
	ds_write2_b64 v43, v[19:20], v[21:22] offset0:2 offset1:3
	s_waitcnt lgkmcnt(0)
	s_barrier
	; wave barrier
	s_and_saveexec_b64 s[26:27], s[28:29]
; %bb.5:                                ;   in Loop: Header=BB318_4 Depth=2
	v_bcnt_u32_b32 v1, v1, 0
	v_bcnt_u32_b32 v1, v2, v1
	ds_write_b32 v5, v1 offset:16
; %bb.6:                                ;   in Loop: Header=BB318_4 Depth=2
	s_or_b64 exec, exec, s[26:27]
	v_lshrrev_b64 v[1:2], v29, v[37:38]
	v_lshlrev_b32_e32 v2, 4, v1
	v_and_b32_e32 v2, 0xff0, v2
	v_add_u32_e32 v8, v48, v2
	v_and_b32_e32 v2, 1, v1
	v_add_co_u32_e32 v3, vcc, -1, v2
	v_addc_co_u32_e64 v4, s[26:27], 0, -1, vcc
	v_cmp_ne_u32_e32 vcc, 0, v2
	v_lshlrev_b32_e32 v24, 30, v1
	v_xor_b32_e32 v2, vcc_hi, v4
	v_xor_b32_e32 v3, vcc_lo, v3
	v_cmp_gt_i64_e32 vcc, 0, v[23:24]
	v_not_b32_e32 v4, v24
	v_ashrrev_i32_e32 v4, 31, v4
	v_and_b32_e32 v3, exec_lo, v3
	v_xor_b32_e32 v9, vcc_hi, v4
	v_xor_b32_e32 v4, vcc_lo, v4
	v_lshlrev_b32_e32 v24, 29, v1
	v_and_b32_e32 v3, v3, v4
	v_cmp_gt_i64_e32 vcc, 0, v[23:24]
	v_not_b32_e32 v4, v24
	v_and_b32_e32 v2, exec_hi, v2
	v_ashrrev_i32_e32 v4, 31, v4
	v_and_b32_e32 v2, v2, v9
	v_xor_b32_e32 v9, vcc_hi, v4
	v_xor_b32_e32 v4, vcc_lo, v4
	v_lshlrev_b32_e32 v24, 28, v1
	v_and_b32_e32 v3, v3, v4
	v_cmp_gt_i64_e32 vcc, 0, v[23:24]
	v_not_b32_e32 v4, v24
	v_ashrrev_i32_e32 v4, 31, v4
	v_and_b32_e32 v2, v2, v9
	v_xor_b32_e32 v9, vcc_hi, v4
	v_xor_b32_e32 v4, vcc_lo, v4
	v_lshlrev_b32_e32 v24, 27, v1
	v_and_b32_e32 v3, v3, v4
	v_cmp_gt_i64_e32 vcc, 0, v[23:24]
	v_not_b32_e32 v4, v24
	;; [unrolled: 8-line block ×4, first 2 shown]
	v_ashrrev_i32_e32 v4, 31, v4
	v_lshlrev_b32_e32 v24, 24, v1
	v_and_b32_e32 v2, v2, v9
	v_xor_b32_e32 v9, vcc_hi, v4
	v_xor_b32_e32 v4, vcc_lo, v4
	v_cmp_gt_i64_e32 vcc, 0, v[23:24]
	v_not_b32_e32 v1, v24
	v_ashrrev_i32_e32 v1, 31, v1
	v_and_b32_e32 v3, v3, v4
	v_xor_b32_e32 v4, vcc_hi, v1
	v_xor_b32_e32 v1, vcc_lo, v1
	; wave barrier
	ds_read_b32 v7, v8 offset:16
	v_and_b32_e32 v2, v2, v9
	v_and_b32_e32 v1, v3, v1
	v_and_b32_e32 v2, v2, v4
	v_mbcnt_lo_u32_b32 v3, v1, 0
	v_mbcnt_hi_u32_b32 v9, v2, v3
	v_cmp_ne_u64_e32 vcc, 0, v[1:2]
	v_cmp_eq_u32_e64 s[26:27], 0, v9
	s_and_b64 s[28:29], vcc, s[26:27]
	; wave barrier
	s_and_saveexec_b64 s[26:27], s[28:29]
	s_cbranch_execz .LBB318_8
; %bb.7:                                ;   in Loop: Header=BB318_4 Depth=2
	v_bcnt_u32_b32 v1, v1, 0
	v_bcnt_u32_b32 v1, v2, v1
	s_waitcnt lgkmcnt(0)
	v_add_u32_e32 v1, v7, v1
	ds_write_b32 v8, v1 offset:16
.LBB318_8:                              ;   in Loop: Header=BB318_4 Depth=2
	s_or_b64 exec, exec, s[26:27]
	v_lshrrev_b64 v[1:2], v29, v[35:36]
	v_lshlrev_b32_e32 v2, 4, v1
	v_and_b32_e32 v2, 0xff0, v2
	v_add_u32_e32 v11, v48, v2
	v_and_b32_e32 v2, 1, v1
	v_add_co_u32_e32 v3, vcc, -1, v2
	v_addc_co_u32_e64 v4, s[26:27], 0, -1, vcc
	v_cmp_ne_u32_e32 vcc, 0, v2
	v_lshlrev_b32_e32 v24, 30, v1
	v_xor_b32_e32 v2, vcc_hi, v4
	v_xor_b32_e32 v3, vcc_lo, v3
	v_cmp_gt_i64_e32 vcc, 0, v[23:24]
	v_not_b32_e32 v4, v24
	v_ashrrev_i32_e32 v4, 31, v4
	v_and_b32_e32 v3, exec_lo, v3
	v_xor_b32_e32 v12, vcc_hi, v4
	v_xor_b32_e32 v4, vcc_lo, v4
	v_lshlrev_b32_e32 v24, 29, v1
	v_and_b32_e32 v3, v3, v4
	v_cmp_gt_i64_e32 vcc, 0, v[23:24]
	v_not_b32_e32 v4, v24
	v_and_b32_e32 v2, exec_hi, v2
	v_ashrrev_i32_e32 v4, 31, v4
	v_and_b32_e32 v2, v2, v12
	v_xor_b32_e32 v12, vcc_hi, v4
	v_xor_b32_e32 v4, vcc_lo, v4
	v_lshlrev_b32_e32 v24, 28, v1
	v_and_b32_e32 v3, v3, v4
	v_cmp_gt_i64_e32 vcc, 0, v[23:24]
	v_not_b32_e32 v4, v24
	v_ashrrev_i32_e32 v4, 31, v4
	v_and_b32_e32 v2, v2, v12
	v_xor_b32_e32 v12, vcc_hi, v4
	v_xor_b32_e32 v4, vcc_lo, v4
	v_lshlrev_b32_e32 v24, 27, v1
	v_and_b32_e32 v3, v3, v4
	v_cmp_gt_i64_e32 vcc, 0, v[23:24]
	v_not_b32_e32 v4, v24
	;; [unrolled: 8-line block ×4, first 2 shown]
	v_ashrrev_i32_e32 v4, 31, v4
	v_lshlrev_b32_e32 v24, 24, v1
	v_and_b32_e32 v2, v2, v12
	v_xor_b32_e32 v12, vcc_hi, v4
	v_xor_b32_e32 v4, vcc_lo, v4
	v_cmp_gt_i64_e32 vcc, 0, v[23:24]
	v_not_b32_e32 v1, v24
	v_ashrrev_i32_e32 v1, 31, v1
	v_and_b32_e32 v3, v3, v4
	v_xor_b32_e32 v4, vcc_hi, v1
	v_xor_b32_e32 v1, vcc_lo, v1
	; wave barrier
	ds_read_b32 v10, v11 offset:16
	v_and_b32_e32 v2, v2, v12
	v_and_b32_e32 v1, v3, v1
	;; [unrolled: 1-line block ×3, first 2 shown]
	v_mbcnt_lo_u32_b32 v3, v1, 0
	v_mbcnt_hi_u32_b32 v12, v2, v3
	v_cmp_ne_u64_e32 vcc, 0, v[1:2]
	v_cmp_eq_u32_e64 s[26:27], 0, v12
	s_and_b64 s[28:29], vcc, s[26:27]
	; wave barrier
	s_and_saveexec_b64 s[26:27], s[28:29]
	s_cbranch_execz .LBB318_10
; %bb.9:                                ;   in Loop: Header=BB318_4 Depth=2
	v_bcnt_u32_b32 v1, v1, 0
	v_bcnt_u32_b32 v1, v2, v1
	s_waitcnt lgkmcnt(0)
	v_add_u32_e32 v1, v10, v1
	ds_write_b32 v11, v1 offset:16
.LBB318_10:                             ;   in Loop: Header=BB318_4 Depth=2
	s_or_b64 exec, exec, s[26:27]
	v_lshrrev_b64 v[1:2], v29, v[33:34]
	v_lshlrev_b32_e32 v2, 4, v1
	v_and_b32_e32 v2, 0xff0, v2
	v_add_u32_e32 v14, v48, v2
	v_and_b32_e32 v2, 1, v1
	v_add_co_u32_e32 v3, vcc, -1, v2
	v_addc_co_u32_e64 v4, s[26:27], 0, -1, vcc
	v_cmp_ne_u32_e32 vcc, 0, v2
	v_lshlrev_b32_e32 v24, 30, v1
	v_xor_b32_e32 v2, vcc_hi, v4
	v_xor_b32_e32 v3, vcc_lo, v3
	v_cmp_gt_i64_e32 vcc, 0, v[23:24]
	v_not_b32_e32 v4, v24
	v_ashrrev_i32_e32 v4, 31, v4
	v_and_b32_e32 v3, exec_lo, v3
	v_xor_b32_e32 v15, vcc_hi, v4
	v_xor_b32_e32 v4, vcc_lo, v4
	v_lshlrev_b32_e32 v24, 29, v1
	v_and_b32_e32 v3, v3, v4
	v_cmp_gt_i64_e32 vcc, 0, v[23:24]
	v_not_b32_e32 v4, v24
	v_and_b32_e32 v2, exec_hi, v2
	v_ashrrev_i32_e32 v4, 31, v4
	v_and_b32_e32 v2, v2, v15
	v_xor_b32_e32 v15, vcc_hi, v4
	v_xor_b32_e32 v4, vcc_lo, v4
	v_lshlrev_b32_e32 v24, 28, v1
	v_and_b32_e32 v3, v3, v4
	v_cmp_gt_i64_e32 vcc, 0, v[23:24]
	v_not_b32_e32 v4, v24
	v_ashrrev_i32_e32 v4, 31, v4
	v_and_b32_e32 v2, v2, v15
	v_xor_b32_e32 v15, vcc_hi, v4
	v_xor_b32_e32 v4, vcc_lo, v4
	v_lshlrev_b32_e32 v24, 27, v1
	v_and_b32_e32 v3, v3, v4
	v_cmp_gt_i64_e32 vcc, 0, v[23:24]
	v_not_b32_e32 v4, v24
	;; [unrolled: 8-line block ×4, first 2 shown]
	v_ashrrev_i32_e32 v4, 31, v4
	v_lshlrev_b32_e32 v24, 24, v1
	v_and_b32_e32 v2, v2, v15
	v_xor_b32_e32 v15, vcc_hi, v4
	v_xor_b32_e32 v4, vcc_lo, v4
	v_cmp_gt_i64_e32 vcc, 0, v[23:24]
	v_not_b32_e32 v1, v24
	v_ashrrev_i32_e32 v1, 31, v1
	v_and_b32_e32 v3, v3, v4
	v_xor_b32_e32 v4, vcc_hi, v1
	v_xor_b32_e32 v1, vcc_lo, v1
	; wave barrier
	ds_read_b32 v13, v14 offset:16
	v_and_b32_e32 v2, v2, v15
	v_and_b32_e32 v1, v3, v1
	;; [unrolled: 1-line block ×3, first 2 shown]
	v_mbcnt_lo_u32_b32 v3, v1, 0
	v_mbcnt_hi_u32_b32 v15, v2, v3
	v_cmp_ne_u64_e32 vcc, 0, v[1:2]
	v_cmp_eq_u32_e64 s[26:27], 0, v15
	s_and_b64 s[28:29], vcc, s[26:27]
	; wave barrier
	s_and_saveexec_b64 s[26:27], s[28:29]
	s_cbranch_execz .LBB318_12
; %bb.11:                               ;   in Loop: Header=BB318_4 Depth=2
	v_bcnt_u32_b32 v1, v1, 0
	v_bcnt_u32_b32 v1, v2, v1
	s_waitcnt lgkmcnt(0)
	v_add_u32_e32 v1, v13, v1
	ds_write_b32 v14, v1 offset:16
.LBB318_12:                             ;   in Loop: Header=BB318_4 Depth=2
	s_or_b64 exec, exec, s[26:27]
	v_lshrrev_b64 v[1:2], v29, v[31:32]
	v_lshlrev_b32_e32 v2, 4, v1
	v_and_b32_e32 v2, 0xff0, v2
	v_add_u32_e32 v50, v48, v2
	v_and_b32_e32 v2, 1, v1
	v_add_co_u32_e32 v3, vcc, -1, v2
	v_addc_co_u32_e64 v4, s[26:27], 0, -1, vcc
	v_cmp_ne_u32_e32 vcc, 0, v2
	v_lshlrev_b32_e32 v24, 30, v1
	v_xor_b32_e32 v2, vcc_hi, v4
	v_xor_b32_e32 v3, vcc_lo, v3
	v_cmp_gt_i64_e32 vcc, 0, v[23:24]
	v_not_b32_e32 v4, v24
	v_ashrrev_i32_e32 v4, 31, v4
	v_and_b32_e32 v2, exec_hi, v2
	v_xor_b32_e32 v24, vcc_hi, v4
	v_and_b32_e32 v3, exec_lo, v3
	v_xor_b32_e32 v4, vcc_lo, v4
	v_and_b32_e32 v2, v2, v24
	v_lshlrev_b32_e32 v24, 29, v1
	v_and_b32_e32 v3, v3, v4
	v_cmp_gt_i64_e32 vcc, 0, v[23:24]
	v_not_b32_e32 v4, v24
	v_ashrrev_i32_e32 v4, 31, v4
	v_xor_b32_e32 v24, vcc_hi, v4
	v_xor_b32_e32 v4, vcc_lo, v4
	v_and_b32_e32 v2, v2, v24
	v_lshlrev_b32_e32 v24, 28, v1
	v_and_b32_e32 v3, v3, v4
	v_cmp_gt_i64_e32 vcc, 0, v[23:24]
	v_not_b32_e32 v4, v24
	v_ashrrev_i32_e32 v4, 31, v4
	v_xor_b32_e32 v24, vcc_hi, v4
	;; [unrolled: 8-line block ×5, first 2 shown]
	v_and_b32_e32 v2, v2, v24
	v_lshlrev_b32_e32 v24, 24, v1
	v_xor_b32_e32 v4, vcc_lo, v4
	v_cmp_gt_i64_e32 vcc, 0, v[23:24]
	v_not_b32_e32 v1, v24
	v_ashrrev_i32_e32 v1, 31, v1
	v_and_b32_e32 v3, v3, v4
	v_xor_b32_e32 v4, vcc_hi, v1
	v_xor_b32_e32 v1, vcc_lo, v1
	; wave barrier
	ds_read_b32 v16, v50 offset:16
	v_and_b32_e32 v1, v3, v1
	v_and_b32_e32 v2, v2, v4
	v_mbcnt_lo_u32_b32 v3, v1, 0
	v_mbcnt_hi_u32_b32 v51, v2, v3
	v_cmp_ne_u64_e32 vcc, 0, v[1:2]
	v_cmp_eq_u32_e64 s[26:27], 0, v51
	s_and_b64 s[28:29], vcc, s[26:27]
	; wave barrier
	s_and_saveexec_b64 s[26:27], s[28:29]
	s_cbranch_execz .LBB318_14
; %bb.13:                               ;   in Loop: Header=BB318_4 Depth=2
	v_bcnt_u32_b32 v1, v1, 0
	v_bcnt_u32_b32 v1, v2, v1
	s_waitcnt lgkmcnt(0)
	v_add_u32_e32 v1, v16, v1
	ds_write_b32 v50, v1 offset:16
.LBB318_14:                             ;   in Loop: Header=BB318_4 Depth=2
	s_or_b64 exec, exec, s[26:27]
	v_lshrrev_b64 v[1:2], v29, v[27:28]
	v_lshlrev_b32_e32 v2, 4, v1
	v_and_b32_e32 v2, 0xff0, v2
	v_add_u32_e32 v53, v48, v2
	v_and_b32_e32 v2, 1, v1
	v_add_co_u32_e32 v3, vcc, -1, v2
	v_addc_co_u32_e64 v4, s[26:27], 0, -1, vcc
	v_cmp_ne_u32_e32 vcc, 0, v2
	v_lshlrev_b32_e32 v24, 30, v1
	v_xor_b32_e32 v2, vcc_hi, v4
	v_xor_b32_e32 v3, vcc_lo, v3
	v_cmp_gt_i64_e32 vcc, 0, v[23:24]
	v_not_b32_e32 v4, v24
	v_ashrrev_i32_e32 v4, 31, v4
	v_and_b32_e32 v2, exec_hi, v2
	v_xor_b32_e32 v24, vcc_hi, v4
	v_and_b32_e32 v3, exec_lo, v3
	v_xor_b32_e32 v4, vcc_lo, v4
	v_and_b32_e32 v2, v2, v24
	v_lshlrev_b32_e32 v24, 29, v1
	v_and_b32_e32 v3, v3, v4
	v_cmp_gt_i64_e32 vcc, 0, v[23:24]
	v_not_b32_e32 v4, v24
	v_ashrrev_i32_e32 v4, 31, v4
	v_xor_b32_e32 v24, vcc_hi, v4
	v_xor_b32_e32 v4, vcc_lo, v4
	v_and_b32_e32 v2, v2, v24
	v_lshlrev_b32_e32 v24, 28, v1
	v_and_b32_e32 v3, v3, v4
	v_cmp_gt_i64_e32 vcc, 0, v[23:24]
	v_not_b32_e32 v4, v24
	v_ashrrev_i32_e32 v4, 31, v4
	v_xor_b32_e32 v24, vcc_hi, v4
	;; [unrolled: 8-line block ×5, first 2 shown]
	v_and_b32_e32 v2, v2, v24
	v_lshlrev_b32_e32 v24, 24, v1
	v_xor_b32_e32 v4, vcc_lo, v4
	v_cmp_gt_i64_e32 vcc, 0, v[23:24]
	v_not_b32_e32 v1, v24
	v_ashrrev_i32_e32 v1, 31, v1
	v_and_b32_e32 v3, v3, v4
	v_xor_b32_e32 v4, vcc_hi, v1
	v_xor_b32_e32 v1, vcc_lo, v1
	; wave barrier
	ds_read_b32 v52, v53 offset:16
	v_and_b32_e32 v1, v3, v1
	v_and_b32_e32 v2, v2, v4
	v_mbcnt_lo_u32_b32 v3, v1, 0
	v_mbcnt_hi_u32_b32 v54, v2, v3
	v_cmp_ne_u64_e32 vcc, 0, v[1:2]
	v_cmp_eq_u32_e64 s[26:27], 0, v54
	s_and_b64 s[28:29], vcc, s[26:27]
	; wave barrier
	s_and_saveexec_b64 s[26:27], s[28:29]
	s_cbranch_execz .LBB318_16
; %bb.15:                               ;   in Loop: Header=BB318_4 Depth=2
	v_bcnt_u32_b32 v1, v1, 0
	v_bcnt_u32_b32 v1, v2, v1
	s_waitcnt lgkmcnt(0)
	v_add_u32_e32 v1, v52, v1
	ds_write_b32 v53, v1 offset:16
.LBB318_16:                             ;   in Loop: Header=BB318_4 Depth=2
	s_or_b64 exec, exec, s[26:27]
	v_lshrrev_b64 v[1:2], v29, v[25:26]
	v_lshlrev_b32_e32 v2, 4, v1
	v_and_b32_e32 v2, 0xff0, v2
	v_add_u32_e32 v56, v48, v2
	v_and_b32_e32 v2, 1, v1
	v_add_co_u32_e32 v3, vcc, -1, v2
	v_addc_co_u32_e64 v4, s[26:27], 0, -1, vcc
	v_cmp_ne_u32_e32 vcc, 0, v2
	v_lshlrev_b32_e32 v24, 30, v1
	v_xor_b32_e32 v2, vcc_hi, v4
	v_xor_b32_e32 v3, vcc_lo, v3
	v_cmp_gt_i64_e32 vcc, 0, v[23:24]
	v_not_b32_e32 v4, v24
	v_ashrrev_i32_e32 v4, 31, v4
	v_and_b32_e32 v2, exec_hi, v2
	v_xor_b32_e32 v24, vcc_hi, v4
	v_and_b32_e32 v3, exec_lo, v3
	v_xor_b32_e32 v4, vcc_lo, v4
	v_and_b32_e32 v2, v2, v24
	v_lshlrev_b32_e32 v24, 29, v1
	v_and_b32_e32 v3, v3, v4
	v_cmp_gt_i64_e32 vcc, 0, v[23:24]
	v_not_b32_e32 v4, v24
	v_ashrrev_i32_e32 v4, 31, v4
	v_xor_b32_e32 v24, vcc_hi, v4
	v_xor_b32_e32 v4, vcc_lo, v4
	v_and_b32_e32 v2, v2, v24
	v_lshlrev_b32_e32 v24, 28, v1
	v_and_b32_e32 v3, v3, v4
	v_cmp_gt_i64_e32 vcc, 0, v[23:24]
	v_not_b32_e32 v4, v24
	v_ashrrev_i32_e32 v4, 31, v4
	v_xor_b32_e32 v24, vcc_hi, v4
	;; [unrolled: 8-line block ×5, first 2 shown]
	v_and_b32_e32 v2, v2, v24
	v_lshlrev_b32_e32 v24, 24, v1
	v_xor_b32_e32 v4, vcc_lo, v4
	v_cmp_gt_i64_e32 vcc, 0, v[23:24]
	v_not_b32_e32 v1, v24
	v_ashrrev_i32_e32 v1, 31, v1
	v_and_b32_e32 v3, v3, v4
	v_xor_b32_e32 v4, vcc_hi, v1
	v_xor_b32_e32 v1, vcc_lo, v1
	; wave barrier
	ds_read_b32 v55, v56 offset:16
	v_and_b32_e32 v1, v3, v1
	v_and_b32_e32 v2, v2, v4
	v_mbcnt_lo_u32_b32 v3, v1, 0
	v_mbcnt_hi_u32_b32 v57, v2, v3
	v_cmp_ne_u64_e32 vcc, 0, v[1:2]
	v_cmp_eq_u32_e64 s[26:27], 0, v57
	s_and_b64 s[28:29], vcc, s[26:27]
	; wave barrier
	s_and_saveexec_b64 s[26:27], s[28:29]
	s_cbranch_execz .LBB318_18
; %bb.17:                               ;   in Loop: Header=BB318_4 Depth=2
	v_bcnt_u32_b32 v1, v1, 0
	v_bcnt_u32_b32 v1, v2, v1
	s_waitcnt lgkmcnt(0)
	v_add_u32_e32 v1, v55, v1
	ds_write_b32 v56, v1 offset:16
.LBB318_18:                             ;   in Loop: Header=BB318_4 Depth=2
	s_or_b64 exec, exec, s[26:27]
	v_lshrrev_b64 v[1:2], v29, v[17:18]
	v_lshlrev_b32_e32 v2, 4, v1
	v_and_b32_e32 v2, 0xff0, v2
	v_add_u32_e32 v59, v48, v2
	v_and_b32_e32 v2, 1, v1
	v_add_co_u32_e32 v3, vcc, -1, v2
	v_addc_co_u32_e64 v4, s[26:27], 0, -1, vcc
	v_cmp_ne_u32_e32 vcc, 0, v2
	v_lshlrev_b32_e32 v24, 30, v1
	v_xor_b32_e32 v2, vcc_hi, v4
	v_xor_b32_e32 v3, vcc_lo, v3
	v_cmp_gt_i64_e32 vcc, 0, v[23:24]
	v_not_b32_e32 v4, v24
	v_ashrrev_i32_e32 v4, 31, v4
	v_and_b32_e32 v2, exec_hi, v2
	v_xor_b32_e32 v24, vcc_hi, v4
	v_and_b32_e32 v3, exec_lo, v3
	v_xor_b32_e32 v4, vcc_lo, v4
	v_and_b32_e32 v2, v2, v24
	v_lshlrev_b32_e32 v24, 29, v1
	v_and_b32_e32 v3, v3, v4
	v_cmp_gt_i64_e32 vcc, 0, v[23:24]
	v_not_b32_e32 v4, v24
	v_ashrrev_i32_e32 v4, 31, v4
	v_xor_b32_e32 v24, vcc_hi, v4
	v_xor_b32_e32 v4, vcc_lo, v4
	v_and_b32_e32 v2, v2, v24
	v_lshlrev_b32_e32 v24, 28, v1
	v_and_b32_e32 v3, v3, v4
	v_cmp_gt_i64_e32 vcc, 0, v[23:24]
	v_not_b32_e32 v4, v24
	v_ashrrev_i32_e32 v4, 31, v4
	v_xor_b32_e32 v24, vcc_hi, v4
	v_xor_b32_e32 v4, vcc_lo, v4
	v_and_b32_e32 v2, v2, v24
	v_lshlrev_b32_e32 v24, 27, v1
	v_and_b32_e32 v3, v3, v4
	v_cmp_gt_i64_e32 vcc, 0, v[23:24]
	v_not_b32_e32 v4, v24
	v_ashrrev_i32_e32 v4, 31, v4
	v_xor_b32_e32 v24, vcc_hi, v4
	v_xor_b32_e32 v4, vcc_lo, v4
	v_and_b32_e32 v2, v2, v24
	v_lshlrev_b32_e32 v24, 26, v1
	v_and_b32_e32 v3, v3, v4
	v_cmp_gt_i64_e32 vcc, 0, v[23:24]
	v_not_b32_e32 v4, v24
	v_ashrrev_i32_e32 v4, 31, v4
	v_xor_b32_e32 v24, vcc_hi, v4
	v_xor_b32_e32 v4, vcc_lo, v4
	v_and_b32_e32 v2, v2, v24
	v_lshlrev_b32_e32 v24, 25, v1
	v_and_b32_e32 v3, v3, v4
	v_cmp_gt_i64_e32 vcc, 0, v[23:24]
	v_not_b32_e32 v4, v24
	v_ashrrev_i32_e32 v4, 31, v4
	v_xor_b32_e32 v24, vcc_hi, v4
	v_and_b32_e32 v2, v2, v24
	v_lshlrev_b32_e32 v24, 24, v1
	v_xor_b32_e32 v4, vcc_lo, v4
	v_cmp_gt_i64_e32 vcc, 0, v[23:24]
	v_not_b32_e32 v1, v24
	v_ashrrev_i32_e32 v1, 31, v1
	v_and_b32_e32 v3, v3, v4
	v_xor_b32_e32 v4, vcc_hi, v1
	v_xor_b32_e32 v1, vcc_lo, v1
	; wave barrier
	ds_read_b32 v58, v59 offset:16
	v_and_b32_e32 v1, v3, v1
	v_and_b32_e32 v2, v2, v4
	v_mbcnt_lo_u32_b32 v3, v1, 0
	v_mbcnt_hi_u32_b32 v24, v2, v3
	v_cmp_ne_u64_e32 vcc, 0, v[1:2]
	v_cmp_eq_u32_e64 s[26:27], 0, v24
	s_and_b64 s[28:29], vcc, s[26:27]
	; wave barrier
	s_and_saveexec_b64 s[26:27], s[28:29]
	s_cbranch_execz .LBB318_20
; %bb.19:                               ;   in Loop: Header=BB318_4 Depth=2
	v_bcnt_u32_b32 v1, v1, 0
	v_bcnt_u32_b32 v1, v2, v1
	s_waitcnt lgkmcnt(0)
	v_add_u32_e32 v1, v58, v1
	ds_write_b32 v59, v1 offset:16
.LBB318_20:                             ;   in Loop: Header=BB318_4 Depth=2
	s_or_b64 exec, exec, s[26:27]
	; wave barrier
	s_waitcnt lgkmcnt(0)
	s_barrier
	ds_read2_b64 v[1:4], v43 offset0:2 offset1:3
	s_waitcnt lgkmcnt(0)
	v_add_u32_e32 v60, v2, v1
	v_add3_u32 v4, v60, v3, v4
	s_nop 1
	v_mov_b32_dpp v60, v4 row_shr:1 row_mask:0xf bank_mask:0xf
	v_cndmask_b32_e64 v60, v60, 0, s[0:1]
	v_add_u32_e32 v4, v60, v4
	s_nop 1
	v_mov_b32_dpp v60, v4 row_shr:2 row_mask:0xf bank_mask:0xf
	v_cndmask_b32_e64 v60, 0, v60, s[2:3]
	v_add_u32_e32 v4, v4, v60
	;; [unrolled: 4-line block ×4, first 2 shown]
	s_nop 1
	v_mov_b32_dpp v60, v4 row_bcast:15 row_mask:0xf bank_mask:0xf
	v_cndmask_b32_e64 v60, v60, 0, s[8:9]
	v_add_u32_e32 v4, v4, v60
	s_nop 1
	v_mov_b32_dpp v60, v4 row_bcast:31 row_mask:0xf bank_mask:0xf
	v_cndmask_b32_e64 v60, 0, v60, s[10:11]
	v_add_u32_e32 v4, v4, v60
	s_and_saveexec_b64 s[26:27], s[12:13]
; %bb.21:                               ;   in Loop: Header=BB318_4 Depth=2
	ds_write_b32 v45, v4
; %bb.22:                               ;   in Loop: Header=BB318_4 Depth=2
	s_or_b64 exec, exec, s[26:27]
	s_waitcnt lgkmcnt(0)
	s_barrier
	s_and_saveexec_b64 s[26:27], s[14:15]
	s_cbranch_execz .LBB318_24
; %bb.23:                               ;   in Loop: Header=BB318_4 Depth=2
	ds_read_b32 v60, v46
	s_waitcnt lgkmcnt(0)
	s_nop 0
	v_mov_b32_dpp v61, v60 row_shr:1 row_mask:0xf bank_mask:0xf
	v_cndmask_b32_e64 v61, v61, 0, s[22:23]
	v_add_u32_e32 v60, v61, v60
	s_nop 1
	v_mov_b32_dpp v61, v60 row_shr:2 row_mask:0xf bank_mask:0xf
	v_cndmask_b32_e64 v61, 0, v61, s[24:25]
	v_add_u32_e32 v60, v60, v61
	ds_write_b32 v46, v60
.LBB318_24:                             ;   in Loop: Header=BB318_4 Depth=2
	s_or_b64 exec, exec, s[26:27]
	v_mov_b32_e32 v60, 0
	s_waitcnt lgkmcnt(0)
	s_barrier
	s_and_saveexec_b64 s[26:27], s[16:17]
; %bb.25:                               ;   in Loop: Header=BB318_4 Depth=2
	ds_read_b32 v60, v47
; %bb.26:                               ;   in Loop: Header=BB318_4 Depth=2
	s_or_b64 exec, exec, s[26:27]
	s_waitcnt lgkmcnt(0)
	v_add_u32_e32 v4, v60, v4
	ds_bpermute_b32 v4, v44, v4
	v_cmp_lt_u32_e32 vcc, 55, v29
	s_and_b64 vcc, exec, vcc
	s_mov_b64 s[26:27], -1
	s_waitcnt lgkmcnt(0)
	v_cndmask_b32_e64 v4, v4, v60, s[18:19]
	v_cndmask_b32_e64 v60, v4, 0, s[20:21]
	v_add_u32_e32 v61, v60, v1
	v_add_u32_e32 v1, v61, v2
	;; [unrolled: 1-line block ×3, first 2 shown]
	ds_write2_b64 v43, v[60:61], v[1:2] offset0:2 offset1:3
	s_waitcnt lgkmcnt(0)
	s_barrier
	ds_read_b32 v1, v5 offset:16
	ds_read_b32 v2, v8 offset:16
	;; [unrolled: 1-line block ×8, first 2 shown]
	s_waitcnt lgkmcnt(7)
	v_add_u32_e32 v61, v1, v6
	s_waitcnt lgkmcnt(6)
	v_add3_u32 v60, v9, v7, v2
	s_waitcnt lgkmcnt(5)
	v_add3_u32 v59, v12, v10, v3
	;; [unrolled: 2-line block ×7, first 2 shown]
                                        ; implicit-def: $vgpr15_vgpr16
                                        ; implicit-def: $vgpr11_vgpr12
                                        ; implicit-def: $vgpr7_vgpr8
                                        ; implicit-def: $vgpr3_vgpr4
	s_cbranch_vccnz .LBB318_3
; %bb.27:                               ;   in Loop: Header=BB318_4 Depth=2
	v_lshlrev_b32_e32 v1, 3, v61
	s_barrier
	ds_write_b64 v1, v[39:40]
	v_lshlrev_b32_e32 v1, 3, v60
	ds_write_b64 v1, v[37:38]
	v_lshlrev_b32_e32 v1, 3, v59
	;; [unrolled: 2-line block ×7, first 2 shown]
	ds_write_b64 v1, v[17:18]
	s_waitcnt lgkmcnt(0)
	s_barrier
	ds_read2st64_b64 v[1:4], v42 offset1:1
	ds_read2st64_b64 v[5:8], v42 offset0:2 offset1:3
	ds_read2st64_b64 v[9:12], v42 offset0:4 offset1:5
	;; [unrolled: 1-line block ×3, first 2 shown]
	v_add_co_u32_e32 v29, vcc, 8, v29
	v_addc_co_u32_e32 v30, vcc, 0, v30, vcc
	s_mov_b64 s[26:27], 0
	s_waitcnt lgkmcnt(0)
	s_barrier
	s_branch .LBB318_3
.LBB318_28:
	s_add_u32 s0, s30, s36
	s_addc_u32 s1, s31, s37
	v_lshlrev_b32_e32 v0, 3, v0
	v_mov_b32_e32 v1, s1
	v_add_co_u32_e32 v2, vcc, s0, v0
	v_addc_co_u32_e32 v19, vcc, 0, v1, vcc
	global_store_dwordx2 v0, v[15:16], s[0:1]
	global_store_dwordx2 v0, v[17:18], s[0:1] offset:2048
	v_add_co_u32_e32 v0, vcc, 0x1000, v2
	v_addc_co_u32_e32 v1, vcc, 0, v19, vcc
	global_store_dwordx2 v[0:1], v[11:12], off
	global_store_dwordx2 v[0:1], v[13:14], off offset:2048
	v_add_co_u32_e32 v0, vcc, 0x2000, v2
	v_addc_co_u32_e32 v1, vcc, 0, v19, vcc
	global_store_dwordx2 v[0:1], v[7:8], off
	global_store_dwordx2 v[0:1], v[9:10], off offset:2048
	;; [unrolled: 4-line block ×3, first 2 shown]
	s_endpgm
	.section	.rodata,"a",@progbits
	.p2align	6, 0x0
	.amdhsa_kernel _Z16sort_keys_kernelI22helper_blocked_stripedxLj256ELj8ELj10EEvPKT0_PS1_
		.amdhsa_group_segment_fixed_size 16384
		.amdhsa_private_segment_fixed_size 0
		.amdhsa_kernarg_size 272
		.amdhsa_user_sgpr_count 6
		.amdhsa_user_sgpr_private_segment_buffer 1
		.amdhsa_user_sgpr_dispatch_ptr 0
		.amdhsa_user_sgpr_queue_ptr 0
		.amdhsa_user_sgpr_kernarg_segment_ptr 1
		.amdhsa_user_sgpr_dispatch_id 0
		.amdhsa_user_sgpr_flat_scratch_init 0
		.amdhsa_user_sgpr_private_segment_size 0
		.amdhsa_uses_dynamic_stack 0
		.amdhsa_system_sgpr_private_segment_wavefront_offset 0
		.amdhsa_system_sgpr_workgroup_id_x 1
		.amdhsa_system_sgpr_workgroup_id_y 0
		.amdhsa_system_sgpr_workgroup_id_z 0
		.amdhsa_system_sgpr_workgroup_info 0
		.amdhsa_system_vgpr_workitem_id 2
		.amdhsa_next_free_vgpr 62
		.amdhsa_next_free_sgpr 98
		.amdhsa_reserve_vcc 1
		.amdhsa_reserve_flat_scratch 0
		.amdhsa_float_round_mode_32 0
		.amdhsa_float_round_mode_16_64 0
		.amdhsa_float_denorm_mode_32 3
		.amdhsa_float_denorm_mode_16_64 3
		.amdhsa_dx10_clamp 1
		.amdhsa_ieee_mode 1
		.amdhsa_fp16_overflow 0
		.amdhsa_exception_fp_ieee_invalid_op 0
		.amdhsa_exception_fp_denorm_src 0
		.amdhsa_exception_fp_ieee_div_zero 0
		.amdhsa_exception_fp_ieee_overflow 0
		.amdhsa_exception_fp_ieee_underflow 0
		.amdhsa_exception_fp_ieee_inexact 0
		.amdhsa_exception_int_div_zero 0
	.end_amdhsa_kernel
	.section	.text._Z16sort_keys_kernelI22helper_blocked_stripedxLj256ELj8ELj10EEvPKT0_PS1_,"axG",@progbits,_Z16sort_keys_kernelI22helper_blocked_stripedxLj256ELj8ELj10EEvPKT0_PS1_,comdat
.Lfunc_end318:
	.size	_Z16sort_keys_kernelI22helper_blocked_stripedxLj256ELj8ELj10EEvPKT0_PS1_, .Lfunc_end318-_Z16sort_keys_kernelI22helper_blocked_stripedxLj256ELj8ELj10EEvPKT0_PS1_
                                        ; -- End function
	.set _Z16sort_keys_kernelI22helper_blocked_stripedxLj256ELj8ELj10EEvPKT0_PS1_.num_vgpr, 62
	.set _Z16sort_keys_kernelI22helper_blocked_stripedxLj256ELj8ELj10EEvPKT0_PS1_.num_agpr, 0
	.set _Z16sort_keys_kernelI22helper_blocked_stripedxLj256ELj8ELj10EEvPKT0_PS1_.numbered_sgpr, 38
	.set _Z16sort_keys_kernelI22helper_blocked_stripedxLj256ELj8ELj10EEvPKT0_PS1_.num_named_barrier, 0
	.set _Z16sort_keys_kernelI22helper_blocked_stripedxLj256ELj8ELj10EEvPKT0_PS1_.private_seg_size, 0
	.set _Z16sort_keys_kernelI22helper_blocked_stripedxLj256ELj8ELj10EEvPKT0_PS1_.uses_vcc, 1
	.set _Z16sort_keys_kernelI22helper_blocked_stripedxLj256ELj8ELj10EEvPKT0_PS1_.uses_flat_scratch, 0
	.set _Z16sort_keys_kernelI22helper_blocked_stripedxLj256ELj8ELj10EEvPKT0_PS1_.has_dyn_sized_stack, 0
	.set _Z16sort_keys_kernelI22helper_blocked_stripedxLj256ELj8ELj10EEvPKT0_PS1_.has_recursion, 0
	.set _Z16sort_keys_kernelI22helper_blocked_stripedxLj256ELj8ELj10EEvPKT0_PS1_.has_indirect_call, 0
	.section	.AMDGPU.csdata,"",@progbits
; Kernel info:
; codeLenInByte = 4604
; TotalNumSgprs: 42
; NumVgprs: 62
; ScratchSize: 0
; MemoryBound: 0
; FloatMode: 240
; IeeeMode: 1
; LDSByteSize: 16384 bytes/workgroup (compile time only)
; SGPRBlocks: 12
; VGPRBlocks: 15
; NumSGPRsForWavesPerEU: 102
; NumVGPRsForWavesPerEU: 62
; Occupancy: 4
; WaveLimiterHint : 1
; COMPUTE_PGM_RSRC2:SCRATCH_EN: 0
; COMPUTE_PGM_RSRC2:USER_SGPR: 6
; COMPUTE_PGM_RSRC2:TRAP_HANDLER: 0
; COMPUTE_PGM_RSRC2:TGID_X_EN: 1
; COMPUTE_PGM_RSRC2:TGID_Y_EN: 0
; COMPUTE_PGM_RSRC2:TGID_Z_EN: 0
; COMPUTE_PGM_RSRC2:TIDIG_COMP_CNT: 2
	.section	.text._Z17sort_pairs_kernelI22helper_blocked_stripedxLj256ELj8ELj10EEvPKT0_PS1_,"axG",@progbits,_Z17sort_pairs_kernelI22helper_blocked_stripedxLj256ELj8ELj10EEvPKT0_PS1_,comdat
	.protected	_Z17sort_pairs_kernelI22helper_blocked_stripedxLj256ELj8ELj10EEvPKT0_PS1_ ; -- Begin function _Z17sort_pairs_kernelI22helper_blocked_stripedxLj256ELj8ELj10EEvPKT0_PS1_
	.globl	_Z17sort_pairs_kernelI22helper_blocked_stripedxLj256ELj8ELj10EEvPKT0_PS1_
	.p2align	8
	.type	_Z17sort_pairs_kernelI22helper_blocked_stripedxLj256ELj8ELj10EEvPKT0_PS1_,@function
_Z17sort_pairs_kernelI22helper_blocked_stripedxLj256ELj8ELj10EEvPKT0_PS1_: ; @_Z17sort_pairs_kernelI22helper_blocked_stripedxLj256ELj8ELj10EEvPKT0_PS1_
; %bb.0:
	s_load_dwordx4 s[28:31], s[4:5], 0x0
	s_load_dword s24, s[4:5], 0x1c
	s_lshl_b32 s36, s6, 11
	s_mov_b32 s37, 0
	s_lshl_b64 s[34:35], s[36:37], 3
	s_waitcnt lgkmcnt(0)
	s_add_u32 s0, s28, s34
	s_addc_u32 s1, s29, s35
	v_lshlrev_b32_e32 v19, 6, v0
	global_load_dwordx4 v[15:18], v19, s[0:1]
	global_load_dwordx4 v[11:14], v19, s[0:1] offset:16
	global_load_dwordx4 v[7:10], v19, s[0:1] offset:32
	;; [unrolled: 1-line block ×3, first 2 shown]
	v_mbcnt_lo_u32_b32 v20, -1, 0
	v_mbcnt_hi_u32_b32 v20, -1, v20
	v_subrev_co_u32_e64 v25, s[8:9], 1, v20
	v_and_b32_e32 v26, 64, v20
	v_and_b32_e32 v19, 0x3000, v19
	v_cmp_lt_i32_e32 vcc, v25, v26
	v_lshl_or_b32 v77, v20, 3, v19
	v_cndmask_b32_e32 v19, v25, v20, vcc
	v_and_b32_e32 v23, 15, v20
	s_lshr_b32 s25, s24, 16
	v_and_b32_e32 v24, 16, v20
	v_cmp_eq_u32_e64 s[10:11], 0, v23
	v_cmp_lt_u32_e64 s[12:13], 1, v23
	v_cmp_lt_u32_e64 s[14:15], 3, v23
	;; [unrolled: 1-line block ×3, first 2 shown]
	s_and_b32 s24, s24, 0xffff
	v_mad_u32_u24 v1, v2, s25, v1
	v_cmp_eq_u32_e64 s[18:19], 0, v24
	v_mad_u64_u32 v[1:2], s[24:25], v1, s24, v[0:1]
	v_and_b32_e32 v21, 0xc0, v0
	v_lshrrev_b32_e32 v22, 4, v0
	v_lshlrev_b32_e32 v79, 2, v19
	v_lshlrev_b32_e32 v73, 4, v0
	v_add_lshl_u32 v74, v20, v21, 6
	v_cmp_lt_u32_e64 s[6:7], 31, v20
	v_or_b32_e32 v21, 63, v21
	v_and_b32_e32 v75, 12, v22
	v_and_b32_e32 v22, 3, v20
	v_lshrrev_b32_e32 v1, 4, v1
	s_mov_b32 s36, s37
	s_mov_b32 s27, s37
	v_mad_i32_i24 v76, v0, -12, v73
	v_cmp_eq_u32_e64 s[20:21], v0, v21
	v_and_b32_e32 v80, 0xffffffc, v1
	v_lshlrev_b32_e32 v1, 2, v0
	s_mov_b32 s26, s37
	v_mov_b32_e32 v35, s36
	v_mov_b32_e32 v38, s27
	v_cmp_gt_u32_e64 s[0:1], 4, v0
	v_cmp_lt_u32_e64 s[2:3], 63, v0
	v_cmp_eq_u32_e64 s[4:5], 0, v0
	v_cmp_eq_u32_e64 s[22:23], 0, v22
	v_cmp_lt_u32_e64 s[24:25], 1, v22
	v_add_u32_e32 v78, -4, v75
	v_mov_b32_e32 v36, s37
	v_mov_b32_e32 v37, s26
	;; [unrolled: 1-line block ×3, first 2 shown]
	v_add_u32_e32 v81, v76, v1
	s_waitcnt vmcnt(3)
	v_add_co_u32_e32 v31, vcc, 1, v15
	v_addc_co_u32_e32 v32, vcc, 0, v16, vcc
	v_add_co_u32_e32 v33, vcc, 1, v17
	v_addc_co_u32_e32 v34, vcc, 0, v18, vcc
	s_waitcnt vmcnt(2)
	v_add_co_u32_e32 v27, vcc, 1, v11
	v_addc_co_u32_e32 v28, vcc, 0, v12, vcc
	v_add_co_u32_e32 v29, vcc, 1, v13
	v_addc_co_u32_e32 v30, vcc, 0, v14, vcc
	;; [unrolled: 5-line block ×4, first 2 shown]
	s_branch .LBB319_2
.LBB319_1:                              ;   in Loop: Header=BB319_2 Depth=1
	v_lshlrev_b32_e32 v1, 3, v88
	v_lshlrev_b32_e32 v2, 3, v87
	;; [unrolled: 1-line block ×8, first 2 shown]
	s_barrier
	ds_write_b64 v1, v[71:72]
	ds_write_b64 v2, v[69:70]
	;; [unrolled: 1-line block ×8, first 2 shown]
	s_waitcnt lgkmcnt(0)
	s_barrier
	ds_read2st64_b64 v[15:18], v81 offset1:4
	ds_read2st64_b64 v[11:14], v81 offset0:8 offset1:12
	ds_read2st64_b64 v[7:10], v81 offset0:16 offset1:20
	;; [unrolled: 1-line block ×3, first 2 shown]
	s_waitcnt lgkmcnt(0)
	s_barrier
	ds_write_b64 v1, v[53:54]
	ds_write_b64 v2, v[51:52]
	;; [unrolled: 1-line block ×8, first 2 shown]
	s_waitcnt lgkmcnt(0)
	s_barrier
	ds_read2st64_b64 v[31:34], v81 offset1:4
	ds_read2st64_b64 v[27:30], v81 offset0:8 offset1:12
	ds_read2st64_b64 v[23:26], v81 offset0:16 offset1:20
	;; [unrolled: 1-line block ×3, first 2 shown]
	s_add_i32 s37, s37, 1
	v_xor_b32_e32 v16, 0x80000000, v16
	v_xor_b32_e32 v18, 0x80000000, v18
	;; [unrolled: 1-line block ×7, first 2 shown]
	s_cmp_eq_u32 s37, 10
	v_xor_b32_e32 v6, 0x80000000, v6
	s_cbranch_scc1 .LBB319_28
.LBB319_2:                              ; =>This Loop Header: Depth=1
                                        ;     Child Loop BB319_4 Depth 2
	v_xor_b32_e32 v16, 0x80000000, v16
	v_xor_b32_e32 v18, 0x80000000, v18
	;; [unrolled: 1-line block ×8, first 2 shown]
	ds_write2_b64 v74, v[15:16], v[17:18] offset1:1
	ds_write2_b64 v74, v[11:12], v[13:14] offset0:2 offset1:3
	ds_write2_b64 v74, v[7:8], v[9:10] offset0:4 offset1:5
	;; [unrolled: 1-line block ×3, first 2 shown]
	; wave barrier
	ds_read2st64_b64 v[1:4], v77 offset1:1
	ds_read2st64_b64 v[5:8], v77 offset0:2 offset1:3
	ds_read2st64_b64 v[9:12], v77 offset0:4 offset1:5
	;; [unrolled: 1-line block ×3, first 2 shown]
	; wave barrier
	s_waitcnt lgkmcnt(11)
	ds_write2_b64 v74, v[31:32], v[33:34] offset1:1
	s_waitcnt lgkmcnt(11)
	ds_write2_b64 v74, v[27:28], v[29:30] offset0:2 offset1:3
	s_waitcnt lgkmcnt(11)
	ds_write2_b64 v74, v[23:24], v[25:26] offset0:4 offset1:5
	;; [unrolled: 2-line block ×3, first 2 shown]
	; wave barrier
	ds_read2st64_b64 v[17:20], v77 offset1:1
	ds_read2st64_b64 v[21:24], v77 offset0:2 offset1:3
	ds_read2st64_b64 v[25:28], v77 offset0:4 offset1:5
	ds_read2st64_b64 v[29:32], v77 offset0:6 offset1:7
	v_mov_b32_e32 v55, 0
	v_mov_b32_e32 v56, 0
	s_waitcnt lgkmcnt(0)
	s_barrier
	s_branch .LBB319_4
.LBB319_3:                              ;   in Loop: Header=BB319_4 Depth=2
	s_andn2_b64 vcc, exec, s[26:27]
	s_cbranch_vccz .LBB319_1
.LBB319_4:                              ;   Parent Loop BB319_2 Depth=1
                                        ; =>  This Inner Loop Header: Depth=2
	v_mov_b32_e32 v72, v2
	v_mov_b32_e32 v71, v1
	v_lshrrev_b64 v[1:2], v55, v[71:72]
	v_mov_b32_e32 v68, v6
	v_lshlrev_b32_e32 v2, 4, v1
	v_and_b32_e32 v2, 0xff0, v2
	v_mov_b32_e32 v67, v5
	v_mov_b32_e32 v70, v4
	v_add_u32_e32 v5, v80, v2
	v_and_b32_e32 v2, 1, v1
	v_mov_b32_e32 v69, v3
	v_add_co_u32_e32 v3, vcc, -1, v2
	v_addc_co_u32_e64 v4, s[26:27], 0, -1, vcc
	v_cmp_ne_u32_e32 vcc, 0, v2
	v_lshlrev_b32_e32 v40, 30, v1
	v_xor_b32_e32 v2, vcc_hi, v4
	v_xor_b32_e32 v3, vcc_lo, v3
	v_cmp_gt_i64_e32 vcc, 0, v[39:40]
	v_not_b32_e32 v4, v40
	v_ashrrev_i32_e32 v4, 31, v4
	v_and_b32_e32 v3, exec_lo, v3
	v_xor_b32_e32 v6, vcc_hi, v4
	v_xor_b32_e32 v4, vcc_lo, v4
	v_lshlrev_b32_e32 v40, 29, v1
	v_and_b32_e32 v3, v3, v4
	v_cmp_gt_i64_e32 vcc, 0, v[39:40]
	v_not_b32_e32 v4, v40
	v_and_b32_e32 v2, exec_hi, v2
	v_ashrrev_i32_e32 v4, 31, v4
	v_and_b32_e32 v2, v2, v6
	v_xor_b32_e32 v6, vcc_hi, v4
	v_xor_b32_e32 v4, vcc_lo, v4
	v_lshlrev_b32_e32 v40, 28, v1
	v_and_b32_e32 v3, v3, v4
	v_cmp_gt_i64_e32 vcc, 0, v[39:40]
	v_not_b32_e32 v4, v40
	v_ashrrev_i32_e32 v4, 31, v4
	v_and_b32_e32 v2, v2, v6
	v_xor_b32_e32 v6, vcc_hi, v4
	v_xor_b32_e32 v4, vcc_lo, v4
	v_lshlrev_b32_e32 v40, 27, v1
	v_and_b32_e32 v3, v3, v4
	v_cmp_gt_i64_e32 vcc, 0, v[39:40]
	v_not_b32_e32 v4, v40
	;; [unrolled: 8-line block ×4, first 2 shown]
	v_ashrrev_i32_e32 v4, 31, v4
	v_lshlrev_b32_e32 v40, 24, v1
	v_and_b32_e32 v2, v2, v6
	v_xor_b32_e32 v6, vcc_hi, v4
	v_xor_b32_e32 v4, vcc_lo, v4
	v_cmp_gt_i64_e32 vcc, 0, v[39:40]
	v_not_b32_e32 v1, v40
	v_ashrrev_i32_e32 v1, 31, v1
	v_and_b32_e32 v3, v3, v4
	v_xor_b32_e32 v4, vcc_hi, v1
	v_xor_b32_e32 v1, vcc_lo, v1
	v_and_b32_e32 v2, v2, v6
	v_and_b32_e32 v1, v3, v1
	;; [unrolled: 1-line block ×3, first 2 shown]
	v_mbcnt_lo_u32_b32 v3, v1, 0
	v_mbcnt_hi_u32_b32 v6, v2, v3
	v_cmp_ne_u64_e32 vcc, 0, v[1:2]
	v_mov_b32_e32 v58, v16
	v_mov_b32_e32 v60, v14
	;; [unrolled: 1-line block ×13, first 2 shown]
	v_cmp_eq_u32_e64 s[26:27], 0, v6
	v_mov_b32_e32 v57, v15
	v_mov_b32_e32 v59, v13
	v_mov_b32_e32 v61, v11
	v_mov_b32_e32 v63, v9
	v_mov_b32_e32 v65, v7
	v_mov_b32_e32 v33, v31
	v_mov_b32_e32 v41, v29
	v_mov_b32_e32 v43, v27
	v_mov_b32_e32 v45, v25
	v_mov_b32_e32 v47, v23
	v_mov_b32_e32 v49, v21
	v_mov_b32_e32 v51, v19
	v_mov_b32_e32 v53, v17
	s_and_b64 s[28:29], vcc, s[26:27]
	ds_write2_b64 v73, v[35:36], v[37:38] offset0:2 offset1:3
	s_waitcnt lgkmcnt(0)
	s_barrier
	; wave barrier
	s_and_saveexec_b64 s[26:27], s[28:29]
; %bb.5:                                ;   in Loop: Header=BB319_4 Depth=2
	v_bcnt_u32_b32 v1, v1, 0
	v_bcnt_u32_b32 v1, v2, v1
	ds_write_b32 v5, v1 offset:16
; %bb.6:                                ;   in Loop: Header=BB319_4 Depth=2
	s_or_b64 exec, exec, s[26:27]
	v_lshrrev_b64 v[1:2], v55, v[69:70]
	v_lshlrev_b32_e32 v2, 4, v1
	v_and_b32_e32 v2, 0xff0, v2
	v_add_u32_e32 v8, v80, v2
	v_and_b32_e32 v2, 1, v1
	v_add_co_u32_e32 v3, vcc, -1, v2
	v_addc_co_u32_e64 v4, s[26:27], 0, -1, vcc
	v_cmp_ne_u32_e32 vcc, 0, v2
	v_lshlrev_b32_e32 v40, 30, v1
	v_xor_b32_e32 v2, vcc_hi, v4
	v_xor_b32_e32 v3, vcc_lo, v3
	v_cmp_gt_i64_e32 vcc, 0, v[39:40]
	v_not_b32_e32 v4, v40
	v_ashrrev_i32_e32 v4, 31, v4
	v_and_b32_e32 v3, exec_lo, v3
	v_xor_b32_e32 v9, vcc_hi, v4
	v_xor_b32_e32 v4, vcc_lo, v4
	v_lshlrev_b32_e32 v40, 29, v1
	v_and_b32_e32 v3, v3, v4
	v_cmp_gt_i64_e32 vcc, 0, v[39:40]
	v_not_b32_e32 v4, v40
	v_and_b32_e32 v2, exec_hi, v2
	v_ashrrev_i32_e32 v4, 31, v4
	v_and_b32_e32 v2, v2, v9
	v_xor_b32_e32 v9, vcc_hi, v4
	v_xor_b32_e32 v4, vcc_lo, v4
	v_lshlrev_b32_e32 v40, 28, v1
	v_and_b32_e32 v3, v3, v4
	v_cmp_gt_i64_e32 vcc, 0, v[39:40]
	v_not_b32_e32 v4, v40
	v_ashrrev_i32_e32 v4, 31, v4
	v_and_b32_e32 v2, v2, v9
	v_xor_b32_e32 v9, vcc_hi, v4
	v_xor_b32_e32 v4, vcc_lo, v4
	v_lshlrev_b32_e32 v40, 27, v1
	v_and_b32_e32 v3, v3, v4
	v_cmp_gt_i64_e32 vcc, 0, v[39:40]
	v_not_b32_e32 v4, v40
	;; [unrolled: 8-line block ×4, first 2 shown]
	v_ashrrev_i32_e32 v4, 31, v4
	v_lshlrev_b32_e32 v40, 24, v1
	v_and_b32_e32 v2, v2, v9
	v_xor_b32_e32 v9, vcc_hi, v4
	v_xor_b32_e32 v4, vcc_lo, v4
	v_cmp_gt_i64_e32 vcc, 0, v[39:40]
	v_not_b32_e32 v1, v40
	v_ashrrev_i32_e32 v1, 31, v1
	v_and_b32_e32 v3, v3, v4
	v_xor_b32_e32 v4, vcc_hi, v1
	v_xor_b32_e32 v1, vcc_lo, v1
	; wave barrier
	ds_read_b32 v7, v8 offset:16
	v_and_b32_e32 v2, v2, v9
	v_and_b32_e32 v1, v3, v1
	;; [unrolled: 1-line block ×3, first 2 shown]
	v_mbcnt_lo_u32_b32 v3, v1, 0
	v_mbcnt_hi_u32_b32 v9, v2, v3
	v_cmp_ne_u64_e32 vcc, 0, v[1:2]
	v_cmp_eq_u32_e64 s[26:27], 0, v9
	s_and_b64 s[28:29], vcc, s[26:27]
	; wave barrier
	s_and_saveexec_b64 s[26:27], s[28:29]
	s_cbranch_execz .LBB319_8
; %bb.7:                                ;   in Loop: Header=BB319_4 Depth=2
	v_bcnt_u32_b32 v1, v1, 0
	v_bcnt_u32_b32 v1, v2, v1
	s_waitcnt lgkmcnt(0)
	v_add_u32_e32 v1, v7, v1
	ds_write_b32 v8, v1 offset:16
.LBB319_8:                              ;   in Loop: Header=BB319_4 Depth=2
	s_or_b64 exec, exec, s[26:27]
	v_lshrrev_b64 v[1:2], v55, v[67:68]
	v_lshlrev_b32_e32 v2, 4, v1
	v_and_b32_e32 v2, 0xff0, v2
	v_add_u32_e32 v11, v80, v2
	v_and_b32_e32 v2, 1, v1
	v_add_co_u32_e32 v3, vcc, -1, v2
	v_addc_co_u32_e64 v4, s[26:27], 0, -1, vcc
	v_cmp_ne_u32_e32 vcc, 0, v2
	v_lshlrev_b32_e32 v40, 30, v1
	v_xor_b32_e32 v2, vcc_hi, v4
	v_xor_b32_e32 v3, vcc_lo, v3
	v_cmp_gt_i64_e32 vcc, 0, v[39:40]
	v_not_b32_e32 v4, v40
	v_ashrrev_i32_e32 v4, 31, v4
	v_and_b32_e32 v3, exec_lo, v3
	v_xor_b32_e32 v12, vcc_hi, v4
	v_xor_b32_e32 v4, vcc_lo, v4
	v_lshlrev_b32_e32 v40, 29, v1
	v_and_b32_e32 v3, v3, v4
	v_cmp_gt_i64_e32 vcc, 0, v[39:40]
	v_not_b32_e32 v4, v40
	v_and_b32_e32 v2, exec_hi, v2
	v_ashrrev_i32_e32 v4, 31, v4
	v_and_b32_e32 v2, v2, v12
	v_xor_b32_e32 v12, vcc_hi, v4
	v_xor_b32_e32 v4, vcc_lo, v4
	v_lshlrev_b32_e32 v40, 28, v1
	v_and_b32_e32 v3, v3, v4
	v_cmp_gt_i64_e32 vcc, 0, v[39:40]
	v_not_b32_e32 v4, v40
	v_ashrrev_i32_e32 v4, 31, v4
	v_and_b32_e32 v2, v2, v12
	v_xor_b32_e32 v12, vcc_hi, v4
	v_xor_b32_e32 v4, vcc_lo, v4
	v_lshlrev_b32_e32 v40, 27, v1
	v_and_b32_e32 v3, v3, v4
	v_cmp_gt_i64_e32 vcc, 0, v[39:40]
	v_not_b32_e32 v4, v40
	;; [unrolled: 8-line block ×4, first 2 shown]
	v_ashrrev_i32_e32 v4, 31, v4
	v_lshlrev_b32_e32 v40, 24, v1
	v_and_b32_e32 v2, v2, v12
	v_xor_b32_e32 v12, vcc_hi, v4
	v_xor_b32_e32 v4, vcc_lo, v4
	v_cmp_gt_i64_e32 vcc, 0, v[39:40]
	v_not_b32_e32 v1, v40
	v_ashrrev_i32_e32 v1, 31, v1
	v_and_b32_e32 v3, v3, v4
	v_xor_b32_e32 v4, vcc_hi, v1
	v_xor_b32_e32 v1, vcc_lo, v1
	; wave barrier
	ds_read_b32 v10, v11 offset:16
	v_and_b32_e32 v2, v2, v12
	v_and_b32_e32 v1, v3, v1
	;; [unrolled: 1-line block ×3, first 2 shown]
	v_mbcnt_lo_u32_b32 v3, v1, 0
	v_mbcnt_hi_u32_b32 v12, v2, v3
	v_cmp_ne_u64_e32 vcc, 0, v[1:2]
	v_cmp_eq_u32_e64 s[26:27], 0, v12
	s_and_b64 s[28:29], vcc, s[26:27]
	; wave barrier
	s_and_saveexec_b64 s[26:27], s[28:29]
	s_cbranch_execz .LBB319_10
; %bb.9:                                ;   in Loop: Header=BB319_4 Depth=2
	v_bcnt_u32_b32 v1, v1, 0
	v_bcnt_u32_b32 v1, v2, v1
	s_waitcnt lgkmcnt(0)
	v_add_u32_e32 v1, v10, v1
	ds_write_b32 v11, v1 offset:16
.LBB319_10:                             ;   in Loop: Header=BB319_4 Depth=2
	s_or_b64 exec, exec, s[26:27]
	v_lshrrev_b64 v[1:2], v55, v[65:66]
	v_lshlrev_b32_e32 v2, 4, v1
	v_and_b32_e32 v2, 0xff0, v2
	v_add_u32_e32 v14, v80, v2
	v_and_b32_e32 v2, 1, v1
	v_add_co_u32_e32 v3, vcc, -1, v2
	v_addc_co_u32_e64 v4, s[26:27], 0, -1, vcc
	v_cmp_ne_u32_e32 vcc, 0, v2
	v_lshlrev_b32_e32 v40, 30, v1
	v_xor_b32_e32 v2, vcc_hi, v4
	v_xor_b32_e32 v3, vcc_lo, v3
	v_cmp_gt_i64_e32 vcc, 0, v[39:40]
	v_not_b32_e32 v4, v40
	v_ashrrev_i32_e32 v4, 31, v4
	v_and_b32_e32 v3, exec_lo, v3
	v_xor_b32_e32 v15, vcc_hi, v4
	v_xor_b32_e32 v4, vcc_lo, v4
	v_lshlrev_b32_e32 v40, 29, v1
	v_and_b32_e32 v3, v3, v4
	v_cmp_gt_i64_e32 vcc, 0, v[39:40]
	v_not_b32_e32 v4, v40
	v_and_b32_e32 v2, exec_hi, v2
	v_ashrrev_i32_e32 v4, 31, v4
	v_and_b32_e32 v2, v2, v15
	v_xor_b32_e32 v15, vcc_hi, v4
	v_xor_b32_e32 v4, vcc_lo, v4
	v_lshlrev_b32_e32 v40, 28, v1
	v_and_b32_e32 v3, v3, v4
	v_cmp_gt_i64_e32 vcc, 0, v[39:40]
	v_not_b32_e32 v4, v40
	v_ashrrev_i32_e32 v4, 31, v4
	v_and_b32_e32 v2, v2, v15
	v_xor_b32_e32 v15, vcc_hi, v4
	v_xor_b32_e32 v4, vcc_lo, v4
	v_lshlrev_b32_e32 v40, 27, v1
	v_and_b32_e32 v3, v3, v4
	v_cmp_gt_i64_e32 vcc, 0, v[39:40]
	v_not_b32_e32 v4, v40
	;; [unrolled: 8-line block ×4, first 2 shown]
	v_ashrrev_i32_e32 v4, 31, v4
	v_lshlrev_b32_e32 v40, 24, v1
	v_and_b32_e32 v2, v2, v15
	v_xor_b32_e32 v15, vcc_hi, v4
	v_xor_b32_e32 v4, vcc_lo, v4
	v_cmp_gt_i64_e32 vcc, 0, v[39:40]
	v_not_b32_e32 v1, v40
	v_ashrrev_i32_e32 v1, 31, v1
	v_and_b32_e32 v3, v3, v4
	v_xor_b32_e32 v4, vcc_hi, v1
	v_xor_b32_e32 v1, vcc_lo, v1
	; wave barrier
	ds_read_b32 v13, v14 offset:16
	v_and_b32_e32 v2, v2, v15
	v_and_b32_e32 v1, v3, v1
	;; [unrolled: 1-line block ×3, first 2 shown]
	v_mbcnt_lo_u32_b32 v3, v1, 0
	v_mbcnt_hi_u32_b32 v15, v2, v3
	v_cmp_ne_u64_e32 vcc, 0, v[1:2]
	v_cmp_eq_u32_e64 s[26:27], 0, v15
	s_and_b64 s[28:29], vcc, s[26:27]
	; wave barrier
	s_and_saveexec_b64 s[26:27], s[28:29]
	s_cbranch_execz .LBB319_12
; %bb.11:                               ;   in Loop: Header=BB319_4 Depth=2
	v_bcnt_u32_b32 v1, v1, 0
	v_bcnt_u32_b32 v1, v2, v1
	s_waitcnt lgkmcnt(0)
	v_add_u32_e32 v1, v13, v1
	ds_write_b32 v14, v1 offset:16
.LBB319_12:                             ;   in Loop: Header=BB319_4 Depth=2
	s_or_b64 exec, exec, s[26:27]
	v_lshrrev_b64 v[1:2], v55, v[63:64]
	v_lshlrev_b32_e32 v2, 4, v1
	v_and_b32_e32 v2, 0xff0, v2
	v_add_u32_e32 v17, v80, v2
	v_and_b32_e32 v2, 1, v1
	v_add_co_u32_e32 v3, vcc, -1, v2
	v_addc_co_u32_e64 v4, s[26:27], 0, -1, vcc
	v_cmp_ne_u32_e32 vcc, 0, v2
	v_lshlrev_b32_e32 v40, 30, v1
	v_xor_b32_e32 v2, vcc_hi, v4
	v_xor_b32_e32 v3, vcc_lo, v3
	v_cmp_gt_i64_e32 vcc, 0, v[39:40]
	v_not_b32_e32 v4, v40
	v_ashrrev_i32_e32 v4, 31, v4
	v_and_b32_e32 v3, exec_lo, v3
	v_xor_b32_e32 v18, vcc_hi, v4
	v_xor_b32_e32 v4, vcc_lo, v4
	v_lshlrev_b32_e32 v40, 29, v1
	v_and_b32_e32 v3, v3, v4
	v_cmp_gt_i64_e32 vcc, 0, v[39:40]
	v_not_b32_e32 v4, v40
	v_and_b32_e32 v2, exec_hi, v2
	v_ashrrev_i32_e32 v4, 31, v4
	v_and_b32_e32 v2, v2, v18
	v_xor_b32_e32 v18, vcc_hi, v4
	v_xor_b32_e32 v4, vcc_lo, v4
	v_lshlrev_b32_e32 v40, 28, v1
	v_and_b32_e32 v3, v3, v4
	v_cmp_gt_i64_e32 vcc, 0, v[39:40]
	v_not_b32_e32 v4, v40
	v_ashrrev_i32_e32 v4, 31, v4
	v_and_b32_e32 v2, v2, v18
	v_xor_b32_e32 v18, vcc_hi, v4
	v_xor_b32_e32 v4, vcc_lo, v4
	v_lshlrev_b32_e32 v40, 27, v1
	v_and_b32_e32 v3, v3, v4
	v_cmp_gt_i64_e32 vcc, 0, v[39:40]
	v_not_b32_e32 v4, v40
	;; [unrolled: 8-line block ×4, first 2 shown]
	v_ashrrev_i32_e32 v4, 31, v4
	v_lshlrev_b32_e32 v40, 24, v1
	v_and_b32_e32 v2, v2, v18
	v_xor_b32_e32 v18, vcc_hi, v4
	v_xor_b32_e32 v4, vcc_lo, v4
	v_cmp_gt_i64_e32 vcc, 0, v[39:40]
	v_not_b32_e32 v1, v40
	v_ashrrev_i32_e32 v1, 31, v1
	v_and_b32_e32 v3, v3, v4
	v_xor_b32_e32 v4, vcc_hi, v1
	v_xor_b32_e32 v1, vcc_lo, v1
	; wave barrier
	ds_read_b32 v16, v17 offset:16
	v_and_b32_e32 v2, v2, v18
	v_and_b32_e32 v1, v3, v1
	;; [unrolled: 1-line block ×3, first 2 shown]
	v_mbcnt_lo_u32_b32 v3, v1, 0
	v_mbcnt_hi_u32_b32 v18, v2, v3
	v_cmp_ne_u64_e32 vcc, 0, v[1:2]
	v_cmp_eq_u32_e64 s[26:27], 0, v18
	s_and_b64 s[28:29], vcc, s[26:27]
	; wave barrier
	s_and_saveexec_b64 s[26:27], s[28:29]
	s_cbranch_execz .LBB319_14
; %bb.13:                               ;   in Loop: Header=BB319_4 Depth=2
	v_bcnt_u32_b32 v1, v1, 0
	v_bcnt_u32_b32 v1, v2, v1
	s_waitcnt lgkmcnt(0)
	v_add_u32_e32 v1, v16, v1
	ds_write_b32 v17, v1 offset:16
.LBB319_14:                             ;   in Loop: Header=BB319_4 Depth=2
	s_or_b64 exec, exec, s[26:27]
	v_lshrrev_b64 v[1:2], v55, v[61:62]
	v_lshlrev_b32_e32 v2, 4, v1
	v_and_b32_e32 v2, 0xff0, v2
	v_add_u32_e32 v20, v80, v2
	v_and_b32_e32 v2, 1, v1
	v_add_co_u32_e32 v3, vcc, -1, v2
	v_addc_co_u32_e64 v4, s[26:27], 0, -1, vcc
	v_cmp_ne_u32_e32 vcc, 0, v2
	v_lshlrev_b32_e32 v40, 30, v1
	v_xor_b32_e32 v2, vcc_hi, v4
	v_xor_b32_e32 v3, vcc_lo, v3
	v_cmp_gt_i64_e32 vcc, 0, v[39:40]
	v_not_b32_e32 v4, v40
	v_ashrrev_i32_e32 v4, 31, v4
	v_and_b32_e32 v3, exec_lo, v3
	v_xor_b32_e32 v21, vcc_hi, v4
	v_xor_b32_e32 v4, vcc_lo, v4
	v_lshlrev_b32_e32 v40, 29, v1
	v_and_b32_e32 v3, v3, v4
	v_cmp_gt_i64_e32 vcc, 0, v[39:40]
	v_not_b32_e32 v4, v40
	v_and_b32_e32 v2, exec_hi, v2
	v_ashrrev_i32_e32 v4, 31, v4
	v_and_b32_e32 v2, v2, v21
	v_xor_b32_e32 v21, vcc_hi, v4
	v_xor_b32_e32 v4, vcc_lo, v4
	v_lshlrev_b32_e32 v40, 28, v1
	v_and_b32_e32 v3, v3, v4
	v_cmp_gt_i64_e32 vcc, 0, v[39:40]
	v_not_b32_e32 v4, v40
	v_ashrrev_i32_e32 v4, 31, v4
	v_and_b32_e32 v2, v2, v21
	v_xor_b32_e32 v21, vcc_hi, v4
	v_xor_b32_e32 v4, vcc_lo, v4
	v_lshlrev_b32_e32 v40, 27, v1
	v_and_b32_e32 v3, v3, v4
	v_cmp_gt_i64_e32 vcc, 0, v[39:40]
	v_not_b32_e32 v4, v40
	v_ashrrev_i32_e32 v4, 31, v4
	v_and_b32_e32 v2, v2, v21
	v_xor_b32_e32 v21, vcc_hi, v4
	v_xor_b32_e32 v4, vcc_lo, v4
	v_lshlrev_b32_e32 v40, 26, v1
	v_and_b32_e32 v3, v3, v4
	v_cmp_gt_i64_e32 vcc, 0, v[39:40]
	v_not_b32_e32 v4, v40
	v_ashrrev_i32_e32 v4, 31, v4
	v_and_b32_e32 v2, v2, v21
	v_xor_b32_e32 v21, vcc_hi, v4
	v_xor_b32_e32 v4, vcc_lo, v4
	v_lshlrev_b32_e32 v40, 25, v1
	v_and_b32_e32 v3, v3, v4
	v_cmp_gt_i64_e32 vcc, 0, v[39:40]
	v_not_b32_e32 v4, v40
	v_ashrrev_i32_e32 v4, 31, v4
	v_lshlrev_b32_e32 v40, 24, v1
	v_and_b32_e32 v2, v2, v21
	v_xor_b32_e32 v21, vcc_hi, v4
	v_xor_b32_e32 v4, vcc_lo, v4
	v_cmp_gt_i64_e32 vcc, 0, v[39:40]
	v_not_b32_e32 v1, v40
	v_ashrrev_i32_e32 v1, 31, v1
	v_and_b32_e32 v3, v3, v4
	v_xor_b32_e32 v4, vcc_hi, v1
	v_xor_b32_e32 v1, vcc_lo, v1
	; wave barrier
	ds_read_b32 v19, v20 offset:16
	v_and_b32_e32 v2, v2, v21
	v_and_b32_e32 v1, v3, v1
	;; [unrolled: 1-line block ×3, first 2 shown]
	v_mbcnt_lo_u32_b32 v3, v1, 0
	v_mbcnt_hi_u32_b32 v21, v2, v3
	v_cmp_ne_u64_e32 vcc, 0, v[1:2]
	v_cmp_eq_u32_e64 s[26:27], 0, v21
	s_and_b64 s[28:29], vcc, s[26:27]
	; wave barrier
	s_and_saveexec_b64 s[26:27], s[28:29]
	s_cbranch_execz .LBB319_16
; %bb.15:                               ;   in Loop: Header=BB319_4 Depth=2
	v_bcnt_u32_b32 v1, v1, 0
	v_bcnt_u32_b32 v1, v2, v1
	s_waitcnt lgkmcnt(0)
	v_add_u32_e32 v1, v19, v1
	ds_write_b32 v20, v1 offset:16
.LBB319_16:                             ;   in Loop: Header=BB319_4 Depth=2
	s_or_b64 exec, exec, s[26:27]
	v_lshrrev_b64 v[1:2], v55, v[59:60]
	v_lshlrev_b32_e32 v2, 4, v1
	v_and_b32_e32 v2, 0xff0, v2
	v_add_u32_e32 v23, v80, v2
	v_and_b32_e32 v2, 1, v1
	v_add_co_u32_e32 v3, vcc, -1, v2
	v_addc_co_u32_e64 v4, s[26:27], 0, -1, vcc
	v_cmp_ne_u32_e32 vcc, 0, v2
	v_lshlrev_b32_e32 v40, 30, v1
	v_xor_b32_e32 v2, vcc_hi, v4
	v_xor_b32_e32 v3, vcc_lo, v3
	v_cmp_gt_i64_e32 vcc, 0, v[39:40]
	v_not_b32_e32 v4, v40
	v_ashrrev_i32_e32 v4, 31, v4
	v_and_b32_e32 v3, exec_lo, v3
	v_xor_b32_e32 v24, vcc_hi, v4
	v_xor_b32_e32 v4, vcc_lo, v4
	v_lshlrev_b32_e32 v40, 29, v1
	v_and_b32_e32 v3, v3, v4
	v_cmp_gt_i64_e32 vcc, 0, v[39:40]
	v_not_b32_e32 v4, v40
	v_and_b32_e32 v2, exec_hi, v2
	v_ashrrev_i32_e32 v4, 31, v4
	v_and_b32_e32 v2, v2, v24
	v_xor_b32_e32 v24, vcc_hi, v4
	v_xor_b32_e32 v4, vcc_lo, v4
	v_lshlrev_b32_e32 v40, 28, v1
	v_and_b32_e32 v3, v3, v4
	v_cmp_gt_i64_e32 vcc, 0, v[39:40]
	v_not_b32_e32 v4, v40
	v_ashrrev_i32_e32 v4, 31, v4
	v_and_b32_e32 v2, v2, v24
	v_xor_b32_e32 v24, vcc_hi, v4
	v_xor_b32_e32 v4, vcc_lo, v4
	v_lshlrev_b32_e32 v40, 27, v1
	v_and_b32_e32 v3, v3, v4
	v_cmp_gt_i64_e32 vcc, 0, v[39:40]
	v_not_b32_e32 v4, v40
	;; [unrolled: 8-line block ×4, first 2 shown]
	v_ashrrev_i32_e32 v4, 31, v4
	v_lshlrev_b32_e32 v40, 24, v1
	v_and_b32_e32 v2, v2, v24
	v_xor_b32_e32 v24, vcc_hi, v4
	v_xor_b32_e32 v4, vcc_lo, v4
	v_cmp_gt_i64_e32 vcc, 0, v[39:40]
	v_not_b32_e32 v1, v40
	v_ashrrev_i32_e32 v1, 31, v1
	v_and_b32_e32 v3, v3, v4
	v_xor_b32_e32 v4, vcc_hi, v1
	v_xor_b32_e32 v1, vcc_lo, v1
	; wave barrier
	ds_read_b32 v22, v23 offset:16
	v_and_b32_e32 v2, v2, v24
	v_and_b32_e32 v1, v3, v1
	;; [unrolled: 1-line block ×3, first 2 shown]
	v_mbcnt_lo_u32_b32 v3, v1, 0
	v_mbcnt_hi_u32_b32 v24, v2, v3
	v_cmp_ne_u64_e32 vcc, 0, v[1:2]
	v_cmp_eq_u32_e64 s[26:27], 0, v24
	s_and_b64 s[28:29], vcc, s[26:27]
	; wave barrier
	s_and_saveexec_b64 s[26:27], s[28:29]
	s_cbranch_execz .LBB319_18
; %bb.17:                               ;   in Loop: Header=BB319_4 Depth=2
	v_bcnt_u32_b32 v1, v1, 0
	v_bcnt_u32_b32 v1, v2, v1
	s_waitcnt lgkmcnt(0)
	v_add_u32_e32 v1, v22, v1
	ds_write_b32 v23, v1 offset:16
.LBB319_18:                             ;   in Loop: Header=BB319_4 Depth=2
	s_or_b64 exec, exec, s[26:27]
	v_lshrrev_b64 v[1:2], v55, v[57:58]
	v_lshlrev_b32_e32 v2, 4, v1
	v_and_b32_e32 v2, 0xff0, v2
	v_add_u32_e32 v26, v80, v2
	v_and_b32_e32 v2, 1, v1
	v_add_co_u32_e32 v3, vcc, -1, v2
	v_addc_co_u32_e64 v4, s[26:27], 0, -1, vcc
	v_cmp_ne_u32_e32 vcc, 0, v2
	v_lshlrev_b32_e32 v40, 30, v1
	v_xor_b32_e32 v2, vcc_hi, v4
	v_xor_b32_e32 v3, vcc_lo, v3
	v_cmp_gt_i64_e32 vcc, 0, v[39:40]
	v_not_b32_e32 v4, v40
	v_ashrrev_i32_e32 v4, 31, v4
	v_and_b32_e32 v3, exec_lo, v3
	v_xor_b32_e32 v27, vcc_hi, v4
	v_xor_b32_e32 v4, vcc_lo, v4
	v_lshlrev_b32_e32 v40, 29, v1
	v_and_b32_e32 v3, v3, v4
	v_cmp_gt_i64_e32 vcc, 0, v[39:40]
	v_not_b32_e32 v4, v40
	v_and_b32_e32 v2, exec_hi, v2
	v_ashrrev_i32_e32 v4, 31, v4
	v_and_b32_e32 v2, v2, v27
	v_xor_b32_e32 v27, vcc_hi, v4
	v_xor_b32_e32 v4, vcc_lo, v4
	v_lshlrev_b32_e32 v40, 28, v1
	v_and_b32_e32 v3, v3, v4
	v_cmp_gt_i64_e32 vcc, 0, v[39:40]
	v_not_b32_e32 v4, v40
	v_ashrrev_i32_e32 v4, 31, v4
	v_and_b32_e32 v2, v2, v27
	v_xor_b32_e32 v27, vcc_hi, v4
	v_xor_b32_e32 v4, vcc_lo, v4
	v_lshlrev_b32_e32 v40, 27, v1
	v_and_b32_e32 v3, v3, v4
	v_cmp_gt_i64_e32 vcc, 0, v[39:40]
	v_not_b32_e32 v4, v40
	;; [unrolled: 8-line block ×4, first 2 shown]
	v_ashrrev_i32_e32 v4, 31, v4
	v_lshlrev_b32_e32 v40, 24, v1
	v_and_b32_e32 v2, v2, v27
	v_xor_b32_e32 v27, vcc_hi, v4
	v_xor_b32_e32 v4, vcc_lo, v4
	v_cmp_gt_i64_e32 vcc, 0, v[39:40]
	v_not_b32_e32 v1, v40
	v_ashrrev_i32_e32 v1, 31, v1
	v_and_b32_e32 v3, v3, v4
	v_xor_b32_e32 v4, vcc_hi, v1
	v_xor_b32_e32 v1, vcc_lo, v1
	; wave barrier
	ds_read_b32 v25, v26 offset:16
	v_and_b32_e32 v2, v2, v27
	v_and_b32_e32 v1, v3, v1
	;; [unrolled: 1-line block ×3, first 2 shown]
	v_mbcnt_lo_u32_b32 v3, v1, 0
	v_mbcnt_hi_u32_b32 v27, v2, v3
	v_cmp_ne_u64_e32 vcc, 0, v[1:2]
	v_cmp_eq_u32_e64 s[26:27], 0, v27
	s_and_b64 s[28:29], vcc, s[26:27]
	; wave barrier
	s_and_saveexec_b64 s[26:27], s[28:29]
	s_cbranch_execz .LBB319_20
; %bb.19:                               ;   in Loop: Header=BB319_4 Depth=2
	v_bcnt_u32_b32 v1, v1, 0
	v_bcnt_u32_b32 v1, v2, v1
	s_waitcnt lgkmcnt(0)
	v_add_u32_e32 v1, v25, v1
	ds_write_b32 v26, v1 offset:16
.LBB319_20:                             ;   in Loop: Header=BB319_4 Depth=2
	s_or_b64 exec, exec, s[26:27]
	; wave barrier
	s_waitcnt lgkmcnt(0)
	s_barrier
	ds_read2_b64 v[1:4], v73 offset0:2 offset1:3
	s_waitcnt lgkmcnt(0)
	v_add_u32_e32 v28, v2, v1
	v_add3_u32 v4, v28, v3, v4
	s_nop 1
	v_mov_b32_dpp v28, v4 row_shr:1 row_mask:0xf bank_mask:0xf
	v_cndmask_b32_e64 v28, v28, 0, s[10:11]
	v_add_u32_e32 v4, v28, v4
	s_nop 1
	v_mov_b32_dpp v28, v4 row_shr:2 row_mask:0xf bank_mask:0xf
	v_cndmask_b32_e64 v28, 0, v28, s[12:13]
	v_add_u32_e32 v4, v4, v28
	;; [unrolled: 4-line block ×4, first 2 shown]
	s_nop 1
	v_mov_b32_dpp v28, v4 row_bcast:15 row_mask:0xf bank_mask:0xf
	v_cndmask_b32_e64 v28, v28, 0, s[18:19]
	v_add_u32_e32 v4, v4, v28
	s_nop 1
	v_mov_b32_dpp v28, v4 row_bcast:31 row_mask:0xf bank_mask:0xf
	v_cndmask_b32_e64 v28, 0, v28, s[6:7]
	v_add_u32_e32 v4, v4, v28
	s_and_saveexec_b64 s[26:27], s[20:21]
; %bb.21:                               ;   in Loop: Header=BB319_4 Depth=2
	ds_write_b32 v75, v4
; %bb.22:                               ;   in Loop: Header=BB319_4 Depth=2
	s_or_b64 exec, exec, s[26:27]
	s_waitcnt lgkmcnt(0)
	s_barrier
	s_and_saveexec_b64 s[26:27], s[0:1]
	s_cbranch_execz .LBB319_24
; %bb.23:                               ;   in Loop: Header=BB319_4 Depth=2
	ds_read_b32 v28, v76
	s_waitcnt lgkmcnt(0)
	s_nop 0
	v_mov_b32_dpp v29, v28 row_shr:1 row_mask:0xf bank_mask:0xf
	v_cndmask_b32_e64 v29, v29, 0, s[22:23]
	v_add_u32_e32 v28, v29, v28
	s_nop 1
	v_mov_b32_dpp v29, v28 row_shr:2 row_mask:0xf bank_mask:0xf
	v_cndmask_b32_e64 v29, 0, v29, s[24:25]
	v_add_u32_e32 v28, v28, v29
	ds_write_b32 v76, v28
.LBB319_24:                             ;   in Loop: Header=BB319_4 Depth=2
	s_or_b64 exec, exec, s[26:27]
	v_mov_b32_e32 v28, 0
	s_waitcnt lgkmcnt(0)
	s_barrier
	s_and_saveexec_b64 s[26:27], s[2:3]
; %bb.25:                               ;   in Loop: Header=BB319_4 Depth=2
	ds_read_b32 v28, v78
; %bb.26:                               ;   in Loop: Header=BB319_4 Depth=2
	s_or_b64 exec, exec, s[26:27]
	s_waitcnt lgkmcnt(0)
	v_add_u32_e32 v4, v28, v4
	ds_bpermute_b32 v4, v79, v4
	v_cmp_lt_u32_e32 vcc, 55, v55
	s_and_b64 vcc, exec, vcc
	s_mov_b64 s[26:27], -1
	s_waitcnt lgkmcnt(0)
	v_cndmask_b32_e64 v4, v4, v28, s[8:9]
	v_cndmask_b32_e64 v28, v4, 0, s[4:5]
	v_add_u32_e32 v29, v28, v1
	v_add_u32_e32 v1, v29, v2
	;; [unrolled: 1-line block ×3, first 2 shown]
	ds_write2_b64 v73, v[28:29], v[1:2] offset0:2 offset1:3
	s_waitcnt lgkmcnt(0)
	s_barrier
	ds_read_b32 v1, v5 offset:16
	ds_read_b32 v2, v8 offset:16
	;; [unrolled: 1-line block ×8, first 2 shown]
	s_waitcnt lgkmcnt(7)
	v_add_u32_e32 v88, v1, v6
	s_waitcnt lgkmcnt(6)
	v_add3_u32 v87, v9, v7, v2
	s_waitcnt lgkmcnt(5)
	v_add3_u32 v86, v12, v10, v3
	;; [unrolled: 2-line block ×7, first 2 shown]
                                        ; implicit-def: $vgpr15_vgpr16
                                        ; implicit-def: $vgpr11_vgpr12
                                        ; implicit-def: $vgpr7_vgpr8
                                        ; implicit-def: $vgpr3_vgpr4
                                        ; implicit-def: $vgpr31_vgpr32
                                        ; implicit-def: $vgpr27_vgpr28
                                        ; implicit-def: $vgpr23_vgpr24
                                        ; implicit-def: $vgpr19_vgpr20
	s_cbranch_vccnz .LBB319_3
; %bb.27:                               ;   in Loop: Header=BB319_4 Depth=2
	v_lshlrev_b32_e32 v17, 3, v88
	v_lshlrev_b32_e32 v18, 3, v87
	;; [unrolled: 1-line block ×8, first 2 shown]
	s_barrier
	ds_write_b64 v17, v[71:72]
	ds_write_b64 v18, v[69:70]
	;; [unrolled: 1-line block ×8, first 2 shown]
	s_waitcnt lgkmcnt(0)
	s_barrier
	ds_read2st64_b64 v[1:4], v77 offset1:1
	ds_read2st64_b64 v[5:8], v77 offset0:2 offset1:3
	ds_read2st64_b64 v[9:12], v77 offset0:4 offset1:5
	;; [unrolled: 1-line block ×3, first 2 shown]
	s_waitcnt lgkmcnt(0)
	s_barrier
	ds_write_b64 v17, v[53:54]
	ds_write_b64 v18, v[51:52]
	;; [unrolled: 1-line block ×8, first 2 shown]
	s_waitcnt lgkmcnt(0)
	s_barrier
	ds_read2st64_b64 v[17:20], v77 offset1:1
	ds_read2st64_b64 v[21:24], v77 offset0:2 offset1:3
	ds_read2st64_b64 v[25:28], v77 offset0:4 offset1:5
	;; [unrolled: 1-line block ×3, first 2 shown]
	v_add_co_u32_e32 v55, vcc, 8, v55
	v_addc_co_u32_e32 v56, vcc, 0, v56, vcc
	s_mov_b64 s[26:27], 0
	s_waitcnt lgkmcnt(0)
	s_barrier
	s_branch .LBB319_3
.LBB319_28:
	s_waitcnt lgkmcnt(3)
	v_add_co_u32_e32 v1, vcc, v15, v31
	v_addc_co_u32_e32 v2, vcc, v16, v32, vcc
	v_add_co_u32_e32 v15, vcc, v17, v33
	v_addc_co_u32_e32 v16, vcc, v18, v34, vcc
	s_waitcnt lgkmcnt(2)
	v_add_co_u32_e32 v11, vcc, v11, v27
	v_addc_co_u32_e32 v12, vcc, v12, v28, vcc
	v_add_co_u32_e32 v13, vcc, v13, v29
	v_addc_co_u32_e32 v14, vcc, v14, v30, vcc
	;; [unrolled: 5-line block ×3, first 2 shown]
	s_waitcnt lgkmcnt(0)
	v_add_co_u32_e32 v3, vcc, v3, v19
	v_addc_co_u32_e32 v4, vcc, v4, v20, vcc
	v_add_co_u32_e32 v5, vcc, v5, v21
	s_add_u32 s0, s30, s34
	v_addc_co_u32_e32 v6, vcc, v6, v22, vcc
	s_addc_u32 s1, s31, s35
	v_lshlrev_b32_e32 v0, 3, v0
	v_mov_b32_e32 v17, s1
	v_add_co_u32_e32 v18, vcc, s0, v0
	v_addc_co_u32_e32 v17, vcc, 0, v17, vcc
	global_store_dwordx2 v0, v[1:2], s[0:1]
	global_store_dwordx2 v0, v[15:16], s[0:1] offset:2048
	s_movk_i32 s0, 0x1000
	v_add_co_u32_e32 v0, vcc, s0, v18
	v_addc_co_u32_e32 v1, vcc, 0, v17, vcc
	global_store_dwordx2 v[0:1], v[11:12], off
	global_store_dwordx2 v[0:1], v[13:14], off offset:2048
	v_add_co_u32_e32 v0, vcc, 0x2000, v18
	v_addc_co_u32_e32 v1, vcc, 0, v17, vcc
	global_store_dwordx2 v[0:1], v[7:8], off
	global_store_dwordx2 v[0:1], v[9:10], off offset:2048
	;; [unrolled: 4-line block ×3, first 2 shown]
	s_endpgm
	.section	.rodata,"a",@progbits
	.p2align	6, 0x0
	.amdhsa_kernel _Z17sort_pairs_kernelI22helper_blocked_stripedxLj256ELj8ELj10EEvPKT0_PS1_
		.amdhsa_group_segment_fixed_size 16384
		.amdhsa_private_segment_fixed_size 0
		.amdhsa_kernarg_size 272
		.amdhsa_user_sgpr_count 6
		.amdhsa_user_sgpr_private_segment_buffer 1
		.amdhsa_user_sgpr_dispatch_ptr 0
		.amdhsa_user_sgpr_queue_ptr 0
		.amdhsa_user_sgpr_kernarg_segment_ptr 1
		.amdhsa_user_sgpr_dispatch_id 0
		.amdhsa_user_sgpr_flat_scratch_init 0
		.amdhsa_user_sgpr_private_segment_size 0
		.amdhsa_uses_dynamic_stack 0
		.amdhsa_system_sgpr_private_segment_wavefront_offset 0
		.amdhsa_system_sgpr_workgroup_id_x 1
		.amdhsa_system_sgpr_workgroup_id_y 0
		.amdhsa_system_sgpr_workgroup_id_z 0
		.amdhsa_system_sgpr_workgroup_info 0
		.amdhsa_system_vgpr_workitem_id 2
		.amdhsa_next_free_vgpr 89
		.amdhsa_next_free_sgpr 98
		.amdhsa_reserve_vcc 1
		.amdhsa_reserve_flat_scratch 0
		.amdhsa_float_round_mode_32 0
		.amdhsa_float_round_mode_16_64 0
		.amdhsa_float_denorm_mode_32 3
		.amdhsa_float_denorm_mode_16_64 3
		.amdhsa_dx10_clamp 1
		.amdhsa_ieee_mode 1
		.amdhsa_fp16_overflow 0
		.amdhsa_exception_fp_ieee_invalid_op 0
		.amdhsa_exception_fp_denorm_src 0
		.amdhsa_exception_fp_ieee_div_zero 0
		.amdhsa_exception_fp_ieee_overflow 0
		.amdhsa_exception_fp_ieee_underflow 0
		.amdhsa_exception_fp_ieee_inexact 0
		.amdhsa_exception_int_div_zero 0
	.end_amdhsa_kernel
	.section	.text._Z17sort_pairs_kernelI22helper_blocked_stripedxLj256ELj8ELj10EEvPKT0_PS1_,"axG",@progbits,_Z17sort_pairs_kernelI22helper_blocked_stripedxLj256ELj8ELj10EEvPKT0_PS1_,comdat
.Lfunc_end319:
	.size	_Z17sort_pairs_kernelI22helper_blocked_stripedxLj256ELj8ELj10EEvPKT0_PS1_, .Lfunc_end319-_Z17sort_pairs_kernelI22helper_blocked_stripedxLj256ELj8ELj10EEvPKT0_PS1_
                                        ; -- End function
	.set _Z17sort_pairs_kernelI22helper_blocked_stripedxLj256ELj8ELj10EEvPKT0_PS1_.num_vgpr, 89
	.set _Z17sort_pairs_kernelI22helper_blocked_stripedxLj256ELj8ELj10EEvPKT0_PS1_.num_agpr, 0
	.set _Z17sort_pairs_kernelI22helper_blocked_stripedxLj256ELj8ELj10EEvPKT0_PS1_.numbered_sgpr, 38
	.set _Z17sort_pairs_kernelI22helper_blocked_stripedxLj256ELj8ELj10EEvPKT0_PS1_.num_named_barrier, 0
	.set _Z17sort_pairs_kernelI22helper_blocked_stripedxLj256ELj8ELj10EEvPKT0_PS1_.private_seg_size, 0
	.set _Z17sort_pairs_kernelI22helper_blocked_stripedxLj256ELj8ELj10EEvPKT0_PS1_.uses_vcc, 1
	.set _Z17sort_pairs_kernelI22helper_blocked_stripedxLj256ELj8ELj10EEvPKT0_PS1_.uses_flat_scratch, 0
	.set _Z17sort_pairs_kernelI22helper_blocked_stripedxLj256ELj8ELj10EEvPKT0_PS1_.has_dyn_sized_stack, 0
	.set _Z17sort_pairs_kernelI22helper_blocked_stripedxLj256ELj8ELj10EEvPKT0_PS1_.has_recursion, 0
	.set _Z17sort_pairs_kernelI22helper_blocked_stripedxLj256ELj8ELj10EEvPKT0_PS1_.has_indirect_call, 0
	.section	.AMDGPU.csdata,"",@progbits
; Kernel info:
; codeLenInByte = 5108
; TotalNumSgprs: 42
; NumVgprs: 89
; ScratchSize: 0
; MemoryBound: 0
; FloatMode: 240
; IeeeMode: 1
; LDSByteSize: 16384 bytes/workgroup (compile time only)
; SGPRBlocks: 12
; VGPRBlocks: 22
; NumSGPRsForWavesPerEU: 102
; NumVGPRsForWavesPerEU: 89
; Occupancy: 2
; WaveLimiterHint : 1
; COMPUTE_PGM_RSRC2:SCRATCH_EN: 0
; COMPUTE_PGM_RSRC2:USER_SGPR: 6
; COMPUTE_PGM_RSRC2:TRAP_HANDLER: 0
; COMPUTE_PGM_RSRC2:TGID_X_EN: 1
; COMPUTE_PGM_RSRC2:TGID_Y_EN: 0
; COMPUTE_PGM_RSRC2:TGID_Z_EN: 0
; COMPUTE_PGM_RSRC2:TIDIG_COMP_CNT: 2
	.section	.text._Z16sort_keys_kernelI22helper_blocked_stripedxLj320ELj1ELj10EEvPKT0_PS1_,"axG",@progbits,_Z16sort_keys_kernelI22helper_blocked_stripedxLj320ELj1ELj10EEvPKT0_PS1_,comdat
	.protected	_Z16sort_keys_kernelI22helper_blocked_stripedxLj320ELj1ELj10EEvPKT0_PS1_ ; -- Begin function _Z16sort_keys_kernelI22helper_blocked_stripedxLj320ELj1ELj10EEvPKT0_PS1_
	.globl	_Z16sort_keys_kernelI22helper_blocked_stripedxLj320ELj1ELj10EEvPKT0_PS1_
	.p2align	8
	.type	_Z16sort_keys_kernelI22helper_blocked_stripedxLj320ELj1ELj10EEvPKT0_PS1_,@function
_Z16sort_keys_kernelI22helper_blocked_stripedxLj320ELj1ELj10EEvPKT0_PS1_: ; @_Z16sort_keys_kernelI22helper_blocked_stripedxLj320ELj1ELj10EEvPKT0_PS1_
; %bb.0:
	s_load_dwordx4 s[28:31], s[4:5], 0x0
	s_load_dword s26, s[4:5], 0x1c
	s_mul_i32 s36, s6, 0x140
	s_mov_b32 s37, 0
	s_lshl_b64 s[34:35], s[36:37], 3
	s_waitcnt lgkmcnt(0)
	s_add_u32 s0, s28, s34
	s_addc_u32 s1, s29, s35
	v_lshlrev_b32_e32 v3, 3, v0
	global_load_dwordx2 v[7:8], v3, s[0:1]
	s_lshr_b32 s27, s26, 16
	s_and_b32 s26, s26, 0xffff
	v_mad_u32_u24 v1, v2, s27, v1
	v_mbcnt_lo_u32_b32 v4, -1, 0
	v_mad_u64_u32 v[1:2], s[26:27], v1, s26, v[0:1]
	v_mbcnt_hi_u32_b32 v4, -1, v4
	v_and_b32_e32 v5, 0x1c0, v0
	v_subrev_co_u32_e64 v16, s[8:9], 1, v4
	v_and_b32_e32 v17, 64, v4
	v_lshlrev_b32_e32 v11, 4, v0
	v_lshrrev_b32_e32 v6, 4, v0
	v_and_b32_e32 v10, 15, v4
	v_min_u32_e32 v15, 0x100, v5
	v_cmp_lt_i32_e32 vcc, v16, v17
	v_lshlrev_b32_e32 v9, 2, v0
	v_and_b32_e32 v14, 16, v4
	v_and_b32_e32 v12, 28, v6
	v_mad_i32_i24 v13, v0, -12, v11
	v_and_b32_e32 v6, 7, v4
	v_lshlrev_b32_e32 v5, 3, v5
	v_cmp_eq_u32_e64 s[10:11], 0, v10
	v_cmp_lt_u32_e64 s[12:13], 1, v10
	v_cmp_lt_u32_e64 s[14:15], 3, v10
	;; [unrolled: 1-line block ×3, first 2 shown]
	v_or_b32_e32 v10, 63, v15
	v_cndmask_b32_e32 v17, v16, v4, vcc
	v_lshrrev_b32_e32 v1, 4, v1
	v_mov_b32_e32 v3, 0
	v_cmp_gt_u32_e64 s[0:1], 5, v0
	v_cmp_lt_u32_e64 s[2:3], 63, v0
	v_cmp_eq_u32_e64 s[4:5], 0, v0
	v_cmp_lt_u32_e64 s[6:7], 31, v4
	v_cmp_eq_u32_e64 s[18:19], 0, v14
	v_cmp_eq_u32_e64 s[20:21], 0, v6
	v_cmp_lt_u32_e64 s[22:23], 1, v6
	v_cmp_lt_u32_e64 s[24:25], 3, v6
	v_add_u32_e32 v14, -4, v12
	v_lshl_add_u32 v15, v4, 3, v5
	v_add_u32_e32 v16, v13, v9
	v_cmp_eq_u32_e64 s[26:27], v0, v10
	v_lshlrev_b32_e32 v17, 2, v17
	v_and_b32_e32 v18, 0xffffffc, v1
	v_mov_b32_e32 v19, 20
	s_waitcnt vmcnt(0)
	v_xor_b32_e32 v8, 0x80000000, v8
	s_branch .LBB320_2
.LBB320_1:                              ;   in Loop: Header=BB320_2 Depth=1
	v_lshlrev_b32_e32 v1, 3, v4
	s_barrier
	ds_write_b64 v1, v[5:6]
	s_waitcnt lgkmcnt(0)
	s_barrier
	ds_read_b64 v[7:8], v16
	s_add_i32 s37, s37, 1
	s_cmp_eq_u32 s37, 10
	s_cbranch_scc1 .LBB320_14
.LBB320_2:                              ; =>This Loop Header: Depth=1
                                        ;     Child Loop BB320_4 Depth 2
	v_mov_b32_e32 v1, 0
	v_mov_b32_e32 v2, 0
	s_branch .LBB320_4
.LBB320_3:                              ;   in Loop: Header=BB320_4 Depth=2
	s_andn2_b64 vcc, exec, s[28:29]
	s_cbranch_vccz .LBB320_1
.LBB320_4:                              ;   Parent Loop BB320_2 Depth=1
                                        ; =>  This Inner Loop Header: Depth=2
	s_waitcnt lgkmcnt(0)
	v_mov_b32_e32 v5, v7
	v_mov_b32_e32 v6, v8
	v_lshrrev_b64 v[7:8], v1, v[5:6]
	ds_write2_b32 v11, v3, v3 offset0:5 offset1:6
	ds_write2_b32 v11, v3, v3 offset0:7 offset1:8
	v_and_b32_e32 v4, 1, v7
	v_add_co_u32_e32 v8, vcc, -1, v4
	v_addc_co_u32_e64 v10, s[28:29], 0, -1, vcc
	v_cmp_ne_u32_e32 vcc, 0, v4
	v_xor_b32_e32 v4, vcc_hi, v10
	v_and_b32_e32 v10, exec_hi, v4
	v_lshlrev_b32_e32 v4, 30, v7
	v_xor_b32_e32 v8, vcc_lo, v8
	v_cmp_gt_i64_e32 vcc, 0, v[3:4]
	v_not_b32_e32 v4, v4
	v_ashrrev_i32_e32 v4, 31, v4
	v_and_b32_e32 v8, exec_lo, v8
	v_xor_b32_e32 v20, vcc_hi, v4
	v_xor_b32_e32 v4, vcc_lo, v4
	v_and_b32_e32 v8, v8, v4
	v_lshlrev_b32_e32 v4, 29, v7
	v_cmp_gt_i64_e32 vcc, 0, v[3:4]
	v_not_b32_e32 v4, v4
	v_ashrrev_i32_e32 v4, 31, v4
	v_and_b32_e32 v10, v10, v20
	v_xor_b32_e32 v20, vcc_hi, v4
	v_xor_b32_e32 v4, vcc_lo, v4
	v_and_b32_e32 v8, v8, v4
	v_lshlrev_b32_e32 v4, 28, v7
	v_cmp_gt_i64_e32 vcc, 0, v[3:4]
	v_not_b32_e32 v4, v4
	v_ashrrev_i32_e32 v4, 31, v4
	v_and_b32_e32 v10, v10, v20
	;; [unrolled: 8-line block ×5, first 2 shown]
	v_xor_b32_e32 v20, vcc_hi, v4
	v_xor_b32_e32 v4, vcc_lo, v4
	v_and_b32_e32 v10, v10, v20
	v_and_b32_e32 v20, v8, v4
	v_lshlrev_b32_e32 v4, 24, v7
	v_cmp_gt_i64_e32 vcc, 0, v[3:4]
	v_not_b32_e32 v4, v4
	v_ashrrev_i32_e32 v4, 31, v4
	v_mul_u32_u24_sdwa v9, v7, v19 dst_sel:DWORD dst_unused:UNUSED_PAD src0_sel:BYTE_0 src1_sel:DWORD
	v_xor_b32_e32 v7, vcc_hi, v4
	v_xor_b32_e32 v4, vcc_lo, v4
	v_and_b32_e32 v8, v10, v7
	v_and_b32_e32 v7, v20, v4
	v_mbcnt_lo_u32_b32 v4, v7, 0
	v_mbcnt_hi_u32_b32 v4, v8, v4
	v_cmp_ne_u64_e32 vcc, 0, v[7:8]
	v_cmp_eq_u32_e64 s[28:29], 0, v4
	s_and_b64 s[38:39], vcc, s[28:29]
	v_add_u32_e32 v20, v18, v9
	s_waitcnt lgkmcnt(0)
	s_barrier
	; wave barrier
	s_and_saveexec_b64 s[28:29], s[38:39]
; %bb.5:                                ;   in Loop: Header=BB320_4 Depth=2
	v_bcnt_u32_b32 v7, v7, 0
	v_bcnt_u32_b32 v7, v8, v7
	ds_write_b32 v20, v7 offset:20
; %bb.6:                                ;   in Loop: Header=BB320_4 Depth=2
	s_or_b64 exec, exec, s[28:29]
	; wave barrier
	s_waitcnt lgkmcnt(0)
	s_barrier
	ds_read2_b32 v[9:10], v11 offset0:5 offset1:6
	ds_read2_b32 v[7:8], v11 offset0:7 offset1:8
	s_waitcnt lgkmcnt(1)
	v_add_u32_e32 v21, v10, v9
	s_waitcnt lgkmcnt(0)
	v_add3_u32 v8, v21, v7, v8
	s_nop 1
	v_mov_b32_dpp v21, v8 row_shr:1 row_mask:0xf bank_mask:0xf
	v_cndmask_b32_e64 v21, v21, 0, s[10:11]
	v_add_u32_e32 v8, v21, v8
	s_nop 1
	v_mov_b32_dpp v21, v8 row_shr:2 row_mask:0xf bank_mask:0xf
	v_cndmask_b32_e64 v21, 0, v21, s[12:13]
	v_add_u32_e32 v8, v8, v21
	;; [unrolled: 4-line block ×4, first 2 shown]
	s_nop 1
	v_mov_b32_dpp v21, v8 row_bcast:15 row_mask:0xf bank_mask:0xf
	v_cndmask_b32_e64 v21, v21, 0, s[18:19]
	v_add_u32_e32 v8, v8, v21
	s_nop 1
	v_mov_b32_dpp v21, v8 row_bcast:31 row_mask:0xf bank_mask:0xf
	v_cndmask_b32_e64 v21, 0, v21, s[6:7]
	v_add_u32_e32 v8, v8, v21
	s_and_saveexec_b64 s[28:29], s[26:27]
; %bb.7:                                ;   in Loop: Header=BB320_4 Depth=2
	ds_write_b32 v12, v8
; %bb.8:                                ;   in Loop: Header=BB320_4 Depth=2
	s_or_b64 exec, exec, s[28:29]
	s_waitcnt lgkmcnt(0)
	s_barrier
	s_and_saveexec_b64 s[28:29], s[0:1]
	s_cbranch_execz .LBB320_10
; %bb.9:                                ;   in Loop: Header=BB320_4 Depth=2
	ds_read_b32 v21, v13
	s_waitcnt lgkmcnt(0)
	s_nop 0
	v_mov_b32_dpp v22, v21 row_shr:1 row_mask:0xf bank_mask:0xf
	v_cndmask_b32_e64 v22, v22, 0, s[20:21]
	v_add_u32_e32 v21, v22, v21
	s_nop 1
	v_mov_b32_dpp v22, v21 row_shr:2 row_mask:0xf bank_mask:0xf
	v_cndmask_b32_e64 v22, 0, v22, s[22:23]
	v_add_u32_e32 v21, v21, v22
	;; [unrolled: 4-line block ×3, first 2 shown]
	ds_write_b32 v13, v21
.LBB320_10:                             ;   in Loop: Header=BB320_4 Depth=2
	s_or_b64 exec, exec, s[28:29]
	v_mov_b32_e32 v21, 0
	s_waitcnt lgkmcnt(0)
	s_barrier
	s_and_saveexec_b64 s[28:29], s[2:3]
; %bb.11:                               ;   in Loop: Header=BB320_4 Depth=2
	ds_read_b32 v21, v14
; %bb.12:                               ;   in Loop: Header=BB320_4 Depth=2
	s_or_b64 exec, exec, s[28:29]
	s_waitcnt lgkmcnt(0)
	v_add_u32_e32 v8, v21, v8
	ds_bpermute_b32 v8, v17, v8
	v_cmp_lt_u32_e32 vcc, 55, v1
	s_and_b64 vcc, exec, vcc
	s_mov_b64 s[28:29], -1
	s_waitcnt lgkmcnt(0)
	v_cndmask_b32_e64 v8, v8, v21, s[8:9]
	v_cndmask_b32_e64 v8, v8, 0, s[4:5]
	v_add_u32_e32 v9, v8, v9
	v_add_u32_e32 v10, v9, v10
	;; [unrolled: 1-line block ×3, first 2 shown]
	ds_write2_b32 v11, v8, v9 offset0:5 offset1:6
	ds_write2_b32 v11, v10, v7 offset0:7 offset1:8
	s_waitcnt lgkmcnt(0)
	s_barrier
	ds_read_b32 v7, v20 offset:20
	s_waitcnt lgkmcnt(0)
	v_add_u32_e32 v4, v7, v4
                                        ; implicit-def: $vgpr7_vgpr8
	s_cbranch_vccnz .LBB320_3
; %bb.13:                               ;   in Loop: Header=BB320_4 Depth=2
	v_lshlrev_b32_e32 v7, 3, v4
	s_barrier
	ds_write_b64 v7, v[5:6]
	s_waitcnt lgkmcnt(0)
	s_barrier
	ds_read_b64 v[7:8], v15
	v_add_co_u32_e32 v1, vcc, 8, v1
	v_addc_co_u32_e32 v2, vcc, 0, v2, vcc
	s_mov_b64 s[28:29], 0
	s_waitcnt lgkmcnt(0)
	s_barrier
	s_branch .LBB320_3
.LBB320_14:
	s_add_u32 s0, s30, s34
	s_waitcnt lgkmcnt(0)
	v_xor_b32_e32 v8, 0x80000000, v8
	s_addc_u32 s1, s31, s35
	v_lshlrev_b32_e32 v0, 3, v0
	global_store_dwordx2 v0, v[7:8], s[0:1]
	s_endpgm
	.section	.rodata,"a",@progbits
	.p2align	6, 0x0
	.amdhsa_kernel _Z16sort_keys_kernelI22helper_blocked_stripedxLj320ELj1ELj10EEvPKT0_PS1_
		.amdhsa_group_segment_fixed_size 5152
		.amdhsa_private_segment_fixed_size 0
		.amdhsa_kernarg_size 272
		.amdhsa_user_sgpr_count 6
		.amdhsa_user_sgpr_private_segment_buffer 1
		.amdhsa_user_sgpr_dispatch_ptr 0
		.amdhsa_user_sgpr_queue_ptr 0
		.amdhsa_user_sgpr_kernarg_segment_ptr 1
		.amdhsa_user_sgpr_dispatch_id 0
		.amdhsa_user_sgpr_flat_scratch_init 0
		.amdhsa_user_sgpr_private_segment_size 0
		.amdhsa_uses_dynamic_stack 0
		.amdhsa_system_sgpr_private_segment_wavefront_offset 0
		.amdhsa_system_sgpr_workgroup_id_x 1
		.amdhsa_system_sgpr_workgroup_id_y 0
		.amdhsa_system_sgpr_workgroup_id_z 0
		.amdhsa_system_sgpr_workgroup_info 0
		.amdhsa_system_vgpr_workitem_id 2
		.amdhsa_next_free_vgpr 23
		.amdhsa_next_free_sgpr 40
		.amdhsa_reserve_vcc 1
		.amdhsa_reserve_flat_scratch 0
		.amdhsa_float_round_mode_32 0
		.amdhsa_float_round_mode_16_64 0
		.amdhsa_float_denorm_mode_32 3
		.amdhsa_float_denorm_mode_16_64 3
		.amdhsa_dx10_clamp 1
		.amdhsa_ieee_mode 1
		.amdhsa_fp16_overflow 0
		.amdhsa_exception_fp_ieee_invalid_op 0
		.amdhsa_exception_fp_denorm_src 0
		.amdhsa_exception_fp_ieee_div_zero 0
		.amdhsa_exception_fp_ieee_overflow 0
		.amdhsa_exception_fp_ieee_underflow 0
		.amdhsa_exception_fp_ieee_inexact 0
		.amdhsa_exception_int_div_zero 0
	.end_amdhsa_kernel
	.section	.text._Z16sort_keys_kernelI22helper_blocked_stripedxLj320ELj1ELj10EEvPKT0_PS1_,"axG",@progbits,_Z16sort_keys_kernelI22helper_blocked_stripedxLj320ELj1ELj10EEvPKT0_PS1_,comdat
.Lfunc_end320:
	.size	_Z16sort_keys_kernelI22helper_blocked_stripedxLj320ELj1ELj10EEvPKT0_PS1_, .Lfunc_end320-_Z16sort_keys_kernelI22helper_blocked_stripedxLj320ELj1ELj10EEvPKT0_PS1_
                                        ; -- End function
	.set _Z16sort_keys_kernelI22helper_blocked_stripedxLj320ELj1ELj10EEvPKT0_PS1_.num_vgpr, 23
	.set _Z16sort_keys_kernelI22helper_blocked_stripedxLj320ELj1ELj10EEvPKT0_PS1_.num_agpr, 0
	.set _Z16sort_keys_kernelI22helper_blocked_stripedxLj320ELj1ELj10EEvPKT0_PS1_.numbered_sgpr, 40
	.set _Z16sort_keys_kernelI22helper_blocked_stripedxLj320ELj1ELj10EEvPKT0_PS1_.num_named_barrier, 0
	.set _Z16sort_keys_kernelI22helper_blocked_stripedxLj320ELj1ELj10EEvPKT0_PS1_.private_seg_size, 0
	.set _Z16sort_keys_kernelI22helper_blocked_stripedxLj320ELj1ELj10EEvPKT0_PS1_.uses_vcc, 1
	.set _Z16sort_keys_kernelI22helper_blocked_stripedxLj320ELj1ELj10EEvPKT0_PS1_.uses_flat_scratch, 0
	.set _Z16sort_keys_kernelI22helper_blocked_stripedxLj320ELj1ELj10EEvPKT0_PS1_.has_dyn_sized_stack, 0
	.set _Z16sort_keys_kernelI22helper_blocked_stripedxLj320ELj1ELj10EEvPKT0_PS1_.has_recursion, 0
	.set _Z16sort_keys_kernelI22helper_blocked_stripedxLj320ELj1ELj10EEvPKT0_PS1_.has_indirect_call, 0
	.section	.AMDGPU.csdata,"",@progbits
; Kernel info:
; codeLenInByte = 1324
; TotalNumSgprs: 44
; NumVgprs: 23
; ScratchSize: 0
; MemoryBound: 0
; FloatMode: 240
; IeeeMode: 1
; LDSByteSize: 5152 bytes/workgroup (compile time only)
; SGPRBlocks: 5
; VGPRBlocks: 5
; NumSGPRsForWavesPerEU: 44
; NumVGPRsForWavesPerEU: 23
; Occupancy: 10
; WaveLimiterHint : 0
; COMPUTE_PGM_RSRC2:SCRATCH_EN: 0
; COMPUTE_PGM_RSRC2:USER_SGPR: 6
; COMPUTE_PGM_RSRC2:TRAP_HANDLER: 0
; COMPUTE_PGM_RSRC2:TGID_X_EN: 1
; COMPUTE_PGM_RSRC2:TGID_Y_EN: 0
; COMPUTE_PGM_RSRC2:TGID_Z_EN: 0
; COMPUTE_PGM_RSRC2:TIDIG_COMP_CNT: 2
	.section	.text._Z17sort_pairs_kernelI22helper_blocked_stripedxLj320ELj1ELj10EEvPKT0_PS1_,"axG",@progbits,_Z17sort_pairs_kernelI22helper_blocked_stripedxLj320ELj1ELj10EEvPKT0_PS1_,comdat
	.protected	_Z17sort_pairs_kernelI22helper_blocked_stripedxLj320ELj1ELj10EEvPKT0_PS1_ ; -- Begin function _Z17sort_pairs_kernelI22helper_blocked_stripedxLj320ELj1ELj10EEvPKT0_PS1_
	.globl	_Z17sort_pairs_kernelI22helper_blocked_stripedxLj320ELj1ELj10EEvPKT0_PS1_
	.p2align	8
	.type	_Z17sort_pairs_kernelI22helper_blocked_stripedxLj320ELj1ELj10EEvPKT0_PS1_,@function
_Z17sort_pairs_kernelI22helper_blocked_stripedxLj320ELj1ELj10EEvPKT0_PS1_: ; @_Z17sort_pairs_kernelI22helper_blocked_stripedxLj320ELj1ELj10EEvPKT0_PS1_
; %bb.0:
	s_load_dwordx4 s[28:31], s[4:5], 0x0
	s_load_dword s26, s[4:5], 0x1c
	s_mul_i32 s36, s6, 0x140
	s_mov_b32 s37, 0
	s_lshl_b64 s[34:35], s[36:37], 3
	s_waitcnt lgkmcnt(0)
	s_add_u32 s0, s28, s34
	s_addc_u32 s1, s29, s35
	v_lshlrev_b32_e32 v3, 3, v0
	global_load_dwordx2 v[9:10], v3, s[0:1]
	s_lshr_b32 s27, s26, 16
	v_mbcnt_lo_u32_b32 v4, -1, 0
	s_and_b32 s26, s26, 0xffff
	v_mad_u32_u24 v1, v2, s27, v1
	v_mbcnt_hi_u32_b32 v4, -1, v4
	v_mad_u64_u32 v[1:2], s[26:27], v1, s26, v[0:1]
	v_subrev_co_u32_e64 v16, s[8:9], 1, v4
	v_and_b32_e32 v17, 64, v4
	v_and_b32_e32 v5, 0x1c0, v0
	;; [unrolled: 1-line block ×3, first 2 shown]
	v_cmp_lt_i32_e32 vcc, v16, v17
	v_lshlrev_b32_e32 v13, 4, v0
	v_lshrrev_b32_e32 v6, 4, v0
	v_and_b32_e32 v8, 15, v4
	v_min_u32_e32 v12, 0x100, v5
	v_cmp_eq_u32_e64 s[18:19], 0, v11
	v_cndmask_b32_e32 v11, v16, v4, vcc
	v_lshlrev_b32_e32 v7, 2, v0
	v_and_b32_e32 v14, 28, v6
	v_mad_i32_i24 v15, v0, -12, v13
	v_and_b32_e32 v6, 7, v4
	v_lshlrev_b32_e32 v5, 3, v5
	v_cmp_eq_u32_e64 s[10:11], 0, v8
	v_cmp_lt_u32_e64 s[12:13], 1, v8
	v_cmp_lt_u32_e64 s[14:15], 3, v8
	;; [unrolled: 1-line block ×3, first 2 shown]
	v_or_b32_e32 v8, 63, v12
	v_lshlrev_b32_e32 v18, 2, v11
	v_lshrrev_b32_e32 v1, 4, v1
	v_mov_b32_e32 v3, 0
	v_cmp_gt_u32_e64 s[0:1], 5, v0
	v_cmp_lt_u32_e64 s[2:3], 63, v0
	v_cmp_eq_u32_e64 s[4:5], 0, v0
	v_cmp_lt_u32_e64 s[6:7], 31, v4
	v_cmp_eq_u32_e64 s[20:21], 0, v6
	v_cmp_lt_u32_e64 s[22:23], 1, v6
	v_cmp_lt_u32_e64 s[24:25], 3, v6
	v_lshl_add_u32 v16, v4, 3, v5
	v_add_u32_e32 v17, v15, v7
	v_cmp_eq_u32_e64 s[26:27], v0, v8
	v_and_b32_e32 v19, 0xffffffc, v1
	s_waitcnt vmcnt(0)
	v_add_co_u32_e32 v11, vcc, 1, v9
	v_addc_co_u32_e32 v12, vcc, 0, v10, vcc
	v_xor_b32_e32 v10, 0x80000000, v10
	s_branch .LBB321_2
.LBB321_1:                              ;   in Loop: Header=BB321_2 Depth=1
	v_lshlrev_b32_e32 v4, 3, v4
	s_barrier
	ds_write_b64 v4, v[7:8]
	s_waitcnt lgkmcnt(0)
	s_barrier
	ds_read_b64 v[9:10], v17
	s_waitcnt lgkmcnt(0)
	s_barrier
	ds_write_b64 v4, v[1:2]
	s_waitcnt lgkmcnt(0)
	s_barrier
	ds_read_b64 v[11:12], v17
	s_add_i32 s37, s37, 1
	s_cmp_eq_u32 s37, 10
	s_cbranch_scc1 .LBB321_14
.LBB321_2:                              ; =>This Loop Header: Depth=1
                                        ;     Child Loop BB321_4 Depth 2
	v_mov_b32_e32 v5, 0
	v_mov_b32_e32 v6, 0
	s_branch .LBB321_4
.LBB321_3:                              ;   in Loop: Header=BB321_4 Depth=2
	s_andn2_b64 vcc, exec, s[28:29]
	s_cbranch_vccz .LBB321_1
.LBB321_4:                              ;   Parent Loop BB321_2 Depth=1
                                        ; =>  This Inner Loop Header: Depth=2
	v_mov_b32_e32 v7, v9
	v_mov_b32_e32 v8, v10
	v_lshrrev_b64 v[9:10], v5, v[7:8]
	s_waitcnt lgkmcnt(0)
	v_mov_b32_e32 v1, v11
	v_mov_b32_e32 v4, 20
	v_mov_b32_e32 v2, v12
	v_mul_u32_u24_sdwa v11, v9, v4 dst_sel:DWORD dst_unused:UNUSED_PAD src0_sel:BYTE_0 src1_sel:DWORD
	v_and_b32_e32 v4, 1, v9
	v_add_co_u32_e32 v10, vcc, -1, v4
	v_addc_co_u32_e64 v12, s[28:29], 0, -1, vcc
	v_cmp_ne_u32_e32 vcc, 0, v4
	v_xor_b32_e32 v4, vcc_hi, v12
	v_and_b32_e32 v12, exec_hi, v4
	v_lshlrev_b32_e32 v4, 30, v9
	v_xor_b32_e32 v10, vcc_lo, v10
	v_cmp_gt_i64_e32 vcc, 0, v[3:4]
	v_not_b32_e32 v4, v4
	v_ashrrev_i32_e32 v4, 31, v4
	v_and_b32_e32 v10, exec_lo, v10
	v_xor_b32_e32 v20, vcc_hi, v4
	v_xor_b32_e32 v4, vcc_lo, v4
	v_and_b32_e32 v10, v10, v4
	v_lshlrev_b32_e32 v4, 29, v9
	v_cmp_gt_i64_e32 vcc, 0, v[3:4]
	v_not_b32_e32 v4, v4
	v_ashrrev_i32_e32 v4, 31, v4
	v_and_b32_e32 v12, v12, v20
	v_xor_b32_e32 v20, vcc_hi, v4
	v_xor_b32_e32 v4, vcc_lo, v4
	v_and_b32_e32 v10, v10, v4
	v_lshlrev_b32_e32 v4, 28, v9
	v_cmp_gt_i64_e32 vcc, 0, v[3:4]
	v_not_b32_e32 v4, v4
	v_ashrrev_i32_e32 v4, 31, v4
	v_and_b32_e32 v12, v12, v20
	;; [unrolled: 8-line block ×5, first 2 shown]
	v_xor_b32_e32 v20, vcc_hi, v4
	v_xor_b32_e32 v4, vcc_lo, v4
	v_and_b32_e32 v12, v12, v20
	v_and_b32_e32 v20, v10, v4
	v_lshlrev_b32_e32 v4, 24, v9
	v_cmp_gt_i64_e32 vcc, 0, v[3:4]
	v_not_b32_e32 v4, v4
	v_ashrrev_i32_e32 v4, 31, v4
	v_xor_b32_e32 v9, vcc_hi, v4
	v_xor_b32_e32 v4, vcc_lo, v4
	v_and_b32_e32 v10, v12, v9
	v_and_b32_e32 v9, v20, v4
	v_mbcnt_lo_u32_b32 v4, v9, 0
	v_mbcnt_hi_u32_b32 v4, v10, v4
	v_cmp_ne_u64_e32 vcc, 0, v[9:10]
	v_cmp_eq_u32_e64 s[28:29], 0, v4
	s_and_b64 s[38:39], vcc, s[28:29]
	v_add_u32_e32 v20, v19, v11
	ds_write2_b32 v13, v3, v3 offset0:5 offset1:6
	ds_write2_b32 v13, v3, v3 offset0:7 offset1:8
	s_waitcnt lgkmcnt(0)
	s_barrier
	; wave barrier
	s_and_saveexec_b64 s[28:29], s[38:39]
; %bb.5:                                ;   in Loop: Header=BB321_4 Depth=2
	v_bcnt_u32_b32 v9, v9, 0
	v_bcnt_u32_b32 v9, v10, v9
	ds_write_b32 v20, v9 offset:20
; %bb.6:                                ;   in Loop: Header=BB321_4 Depth=2
	s_or_b64 exec, exec, s[28:29]
	; wave barrier
	s_waitcnt lgkmcnt(0)
	s_barrier
	ds_read2_b32 v[11:12], v13 offset0:5 offset1:6
	ds_read2_b32 v[9:10], v13 offset0:7 offset1:8
	s_waitcnt lgkmcnt(1)
	v_add_u32_e32 v21, v12, v11
	s_waitcnt lgkmcnt(0)
	v_add3_u32 v10, v21, v9, v10
	s_nop 1
	v_mov_b32_dpp v21, v10 row_shr:1 row_mask:0xf bank_mask:0xf
	v_cndmask_b32_e64 v21, v21, 0, s[10:11]
	v_add_u32_e32 v10, v21, v10
	s_nop 1
	v_mov_b32_dpp v21, v10 row_shr:2 row_mask:0xf bank_mask:0xf
	v_cndmask_b32_e64 v21, 0, v21, s[12:13]
	v_add_u32_e32 v10, v10, v21
	s_nop 1
	v_mov_b32_dpp v21, v10 row_shr:4 row_mask:0xf bank_mask:0xf
	v_cndmask_b32_e64 v21, 0, v21, s[14:15]
	v_add_u32_e32 v10, v10, v21
	s_nop 1
	v_mov_b32_dpp v21, v10 row_shr:8 row_mask:0xf bank_mask:0xf
	v_cndmask_b32_e64 v21, 0, v21, s[16:17]
	v_add_u32_e32 v10, v10, v21
	s_nop 1
	v_mov_b32_dpp v21, v10 row_bcast:15 row_mask:0xf bank_mask:0xf
	v_cndmask_b32_e64 v21, v21, 0, s[18:19]
	v_add_u32_e32 v10, v10, v21
	s_nop 1
	v_mov_b32_dpp v21, v10 row_bcast:31 row_mask:0xf bank_mask:0xf
	v_cndmask_b32_e64 v21, 0, v21, s[6:7]
	v_add_u32_e32 v10, v10, v21
	s_and_saveexec_b64 s[28:29], s[26:27]
; %bb.7:                                ;   in Loop: Header=BB321_4 Depth=2
	ds_write_b32 v14, v10
; %bb.8:                                ;   in Loop: Header=BB321_4 Depth=2
	s_or_b64 exec, exec, s[28:29]
	s_waitcnt lgkmcnt(0)
	s_barrier
	s_and_saveexec_b64 s[28:29], s[0:1]
	s_cbranch_execz .LBB321_10
; %bb.9:                                ;   in Loop: Header=BB321_4 Depth=2
	ds_read_b32 v21, v15
	s_waitcnt lgkmcnt(0)
	s_nop 0
	v_mov_b32_dpp v22, v21 row_shr:1 row_mask:0xf bank_mask:0xf
	v_cndmask_b32_e64 v22, v22, 0, s[20:21]
	v_add_u32_e32 v21, v22, v21
	s_nop 1
	v_mov_b32_dpp v22, v21 row_shr:2 row_mask:0xf bank_mask:0xf
	v_cndmask_b32_e64 v22, 0, v22, s[22:23]
	v_add_u32_e32 v21, v21, v22
	;; [unrolled: 4-line block ×3, first 2 shown]
	ds_write_b32 v15, v21
.LBB321_10:                             ;   in Loop: Header=BB321_4 Depth=2
	s_or_b64 exec, exec, s[28:29]
	v_mov_b32_e32 v21, 0
	s_waitcnt lgkmcnt(0)
	s_barrier
	s_and_saveexec_b64 s[28:29], s[2:3]
; %bb.11:                               ;   in Loop: Header=BB321_4 Depth=2
	v_add_u32_e32 v21, -4, v14
	ds_read_b32 v21, v21
; %bb.12:                               ;   in Loop: Header=BB321_4 Depth=2
	s_or_b64 exec, exec, s[28:29]
	s_waitcnt lgkmcnt(0)
	v_add_u32_e32 v10, v21, v10
	ds_bpermute_b32 v10, v18, v10
	v_cmp_lt_u32_e32 vcc, 55, v5
	s_and_b64 vcc, exec, vcc
	s_mov_b64 s[28:29], -1
	s_waitcnt lgkmcnt(0)
	v_cndmask_b32_e64 v10, v10, v21, s[8:9]
	v_cndmask_b32_e64 v10, v10, 0, s[4:5]
	v_add_u32_e32 v11, v10, v11
	v_add_u32_e32 v12, v11, v12
	;; [unrolled: 1-line block ×3, first 2 shown]
	ds_write2_b32 v13, v10, v11 offset0:5 offset1:6
	ds_write2_b32 v13, v12, v9 offset0:7 offset1:8
	s_waitcnt lgkmcnt(0)
	s_barrier
	ds_read_b32 v9, v20 offset:20
                                        ; implicit-def: $vgpr11_vgpr12
	s_waitcnt lgkmcnt(0)
	v_add_u32_e32 v4, v9, v4
                                        ; implicit-def: $vgpr9_vgpr10
	s_cbranch_vccnz .LBB321_3
; %bb.13:                               ;   in Loop: Header=BB321_4 Depth=2
	v_lshlrev_b32_e32 v11, 3, v4
	s_barrier
	ds_write_b64 v11, v[7:8]
	s_waitcnt lgkmcnt(0)
	s_barrier
	ds_read_b64 v[9:10], v16
	s_waitcnt lgkmcnt(0)
	s_barrier
	ds_write_b64 v11, v[1:2]
	s_waitcnt lgkmcnt(0)
	s_barrier
	ds_read_b64 v[11:12], v16
	v_add_co_u32_e32 v5, vcc, 8, v5
	v_addc_co_u32_e32 v6, vcc, 0, v6, vcc
	s_mov_b64 s[28:29], 0
	s_waitcnt lgkmcnt(0)
	s_barrier
	s_branch .LBB321_3
.LBB321_14:
	s_waitcnt lgkmcnt(0)
	v_add_co_u32_e32 v1, vcc, v11, v9
	v_addc_co_u32_e32 v2, vcc, v12, v10, vcc
	s_add_u32 s0, s30, s34
	v_add_u32_e32 v2, 0x80000000, v2
	s_addc_u32 s1, s31, s35
	v_lshlrev_b32_e32 v0, 3, v0
	global_store_dwordx2 v0, v[1:2], s[0:1]
	s_endpgm
	.section	.rodata,"a",@progbits
	.p2align	6, 0x0
	.amdhsa_kernel _Z17sort_pairs_kernelI22helper_blocked_stripedxLj320ELj1ELj10EEvPKT0_PS1_
		.amdhsa_group_segment_fixed_size 5152
		.amdhsa_private_segment_fixed_size 0
		.amdhsa_kernarg_size 272
		.amdhsa_user_sgpr_count 6
		.amdhsa_user_sgpr_private_segment_buffer 1
		.amdhsa_user_sgpr_dispatch_ptr 0
		.amdhsa_user_sgpr_queue_ptr 0
		.amdhsa_user_sgpr_kernarg_segment_ptr 1
		.amdhsa_user_sgpr_dispatch_id 0
		.amdhsa_user_sgpr_flat_scratch_init 0
		.amdhsa_user_sgpr_private_segment_size 0
		.amdhsa_uses_dynamic_stack 0
		.amdhsa_system_sgpr_private_segment_wavefront_offset 0
		.amdhsa_system_sgpr_workgroup_id_x 1
		.amdhsa_system_sgpr_workgroup_id_y 0
		.amdhsa_system_sgpr_workgroup_id_z 0
		.amdhsa_system_sgpr_workgroup_info 0
		.amdhsa_system_vgpr_workitem_id 2
		.amdhsa_next_free_vgpr 23
		.amdhsa_next_free_sgpr 40
		.amdhsa_reserve_vcc 1
		.amdhsa_reserve_flat_scratch 0
		.amdhsa_float_round_mode_32 0
		.amdhsa_float_round_mode_16_64 0
		.amdhsa_float_denorm_mode_32 3
		.amdhsa_float_denorm_mode_16_64 3
		.amdhsa_dx10_clamp 1
		.amdhsa_ieee_mode 1
		.amdhsa_fp16_overflow 0
		.amdhsa_exception_fp_ieee_invalid_op 0
		.amdhsa_exception_fp_denorm_src 0
		.amdhsa_exception_fp_ieee_div_zero 0
		.amdhsa_exception_fp_ieee_overflow 0
		.amdhsa_exception_fp_ieee_underflow 0
		.amdhsa_exception_fp_ieee_inexact 0
		.amdhsa_exception_int_div_zero 0
	.end_amdhsa_kernel
	.section	.text._Z17sort_pairs_kernelI22helper_blocked_stripedxLj320ELj1ELj10EEvPKT0_PS1_,"axG",@progbits,_Z17sort_pairs_kernelI22helper_blocked_stripedxLj320ELj1ELj10EEvPKT0_PS1_,comdat
.Lfunc_end321:
	.size	_Z17sort_pairs_kernelI22helper_blocked_stripedxLj320ELj1ELj10EEvPKT0_PS1_, .Lfunc_end321-_Z17sort_pairs_kernelI22helper_blocked_stripedxLj320ELj1ELj10EEvPKT0_PS1_
                                        ; -- End function
	.set _Z17sort_pairs_kernelI22helper_blocked_stripedxLj320ELj1ELj10EEvPKT0_PS1_.num_vgpr, 23
	.set _Z17sort_pairs_kernelI22helper_blocked_stripedxLj320ELj1ELj10EEvPKT0_PS1_.num_agpr, 0
	.set _Z17sort_pairs_kernelI22helper_blocked_stripedxLj320ELj1ELj10EEvPKT0_PS1_.numbered_sgpr, 40
	.set _Z17sort_pairs_kernelI22helper_blocked_stripedxLj320ELj1ELj10EEvPKT0_PS1_.num_named_barrier, 0
	.set _Z17sort_pairs_kernelI22helper_blocked_stripedxLj320ELj1ELj10EEvPKT0_PS1_.private_seg_size, 0
	.set _Z17sort_pairs_kernelI22helper_blocked_stripedxLj320ELj1ELj10EEvPKT0_PS1_.uses_vcc, 1
	.set _Z17sort_pairs_kernelI22helper_blocked_stripedxLj320ELj1ELj10EEvPKT0_PS1_.uses_flat_scratch, 0
	.set _Z17sort_pairs_kernelI22helper_blocked_stripedxLj320ELj1ELj10EEvPKT0_PS1_.has_dyn_sized_stack, 0
	.set _Z17sort_pairs_kernelI22helper_blocked_stripedxLj320ELj1ELj10EEvPKT0_PS1_.has_recursion, 0
	.set _Z17sort_pairs_kernelI22helper_blocked_stripedxLj320ELj1ELj10EEvPKT0_PS1_.has_indirect_call, 0
	.section	.AMDGPU.csdata,"",@progbits
; Kernel info:
; codeLenInByte = 1412
; TotalNumSgprs: 44
; NumVgprs: 23
; ScratchSize: 0
; MemoryBound: 0
; FloatMode: 240
; IeeeMode: 1
; LDSByteSize: 5152 bytes/workgroup (compile time only)
; SGPRBlocks: 5
; VGPRBlocks: 5
; NumSGPRsForWavesPerEU: 44
; NumVGPRsForWavesPerEU: 23
; Occupancy: 10
; WaveLimiterHint : 0
; COMPUTE_PGM_RSRC2:SCRATCH_EN: 0
; COMPUTE_PGM_RSRC2:USER_SGPR: 6
; COMPUTE_PGM_RSRC2:TRAP_HANDLER: 0
; COMPUTE_PGM_RSRC2:TGID_X_EN: 1
; COMPUTE_PGM_RSRC2:TGID_Y_EN: 0
; COMPUTE_PGM_RSRC2:TGID_Z_EN: 0
; COMPUTE_PGM_RSRC2:TIDIG_COMP_CNT: 2
	.section	.text._Z16sort_keys_kernelI22helper_blocked_stripedxLj320ELj3ELj10EEvPKT0_PS1_,"axG",@progbits,_Z16sort_keys_kernelI22helper_blocked_stripedxLj320ELj3ELj10EEvPKT0_PS1_,comdat
	.protected	_Z16sort_keys_kernelI22helper_blocked_stripedxLj320ELj3ELj10EEvPKT0_PS1_ ; -- Begin function _Z16sort_keys_kernelI22helper_blocked_stripedxLj320ELj3ELj10EEvPKT0_PS1_
	.globl	_Z16sort_keys_kernelI22helper_blocked_stripedxLj320ELj3ELj10EEvPKT0_PS1_
	.p2align	8
	.type	_Z16sort_keys_kernelI22helper_blocked_stripedxLj320ELj3ELj10EEvPKT0_PS1_,@function
_Z16sort_keys_kernelI22helper_blocked_stripedxLj320ELj3ELj10EEvPKT0_PS1_: ; @_Z16sort_keys_kernelI22helper_blocked_stripedxLj320ELj3ELj10EEvPKT0_PS1_
; %bb.0:
	s_load_dwordx4 s[28:31], s[4:5], 0x0
	s_load_dword s2, s[4:5], 0x1c
	s_mul_i32 s34, s6, 0x3c0
	s_mov_b32 s35, 0
	s_lshl_b64 s[36:37], s[34:35], 3
	s_waitcnt lgkmcnt(0)
	s_add_u32 s0, s28, s36
	v_mul_u32_u24_e32 v3, 3, v0
	s_addc_u32 s1, s29, s37
	v_lshlrev_b32_e32 v7, 3, v3
	global_load_dwordx2 v[8:9], v7, s[0:1] offset:16
	global_load_dwordx4 v[3:6], v7, s[0:1]
	s_lshr_b32 s0, s2, 16
	v_mbcnt_lo_u32_b32 v7, -1, 0
	s_and_b32 s1, s2, 0xffff
	v_mad_u32_u24 v1, v2, s0, v1
	v_mbcnt_hi_u32_b32 v7, -1, v7
	v_mad_u64_u32 v[1:2], s[0:1], v1, s1, v[0:1]
	v_lshrrev_b32_e32 v10, 6, v0
	v_and_b32_e32 v2, 15, v7
	v_mul_u32_u24_e32 v11, 0xc0, v10
	v_cmp_eq_u32_e64 s[0:1], 0, v2
	v_cmp_lt_u32_e64 s[2:3], 1, v2
	v_cmp_lt_u32_e64 s[4:5], 3, v2
	;; [unrolled: 1-line block ×3, first 2 shown]
	v_and_b32_e32 v2, 16, v7
	v_lshlrev_b32_e32 v11, 3, v11
	v_lshlrev_b32_e32 v12, 3, v7
	v_cmp_eq_u32_e64 s[8:9], 0, v2
	v_and_b32_e32 v2, 0x1c0, v0
	v_mad_u32_u24 v17, v7, 24, v11
	v_add_u32_e32 v18, v12, v11
	v_min_u32_e32 v11, 0x100, v2
	v_or_b32_e32 v11, 63, v11
	v_cmp_eq_u32_e64 s[12:13], v0, v11
	v_subrev_co_u32_e64 v11, s[18:19], 1, v7
	v_and_b32_e32 v13, 64, v7
	v_lshlrev_b32_e32 v19, 4, v0
	v_cmp_lt_i32_e32 vcc, v11, v13
	v_lshrrev_b32_e32 v1, 4, v1
	v_cmp_lt_u32_e64 s[10:11], 31, v7
	v_cndmask_b32_e32 v11, v11, v7, vcc
	v_lshlrev_b32_e32 v21, 2, v10
	v_mad_i32_i24 v22, v0, -12, v19
	v_and_b32_e32 v7, 7, v7
	v_mul_u32_u24_e32 v2, 24, v2
	v_and_b32_e32 v24, 0xffffffc, v1
	v_lshlrev_b32_e32 v1, 2, v0
	v_cmp_gt_u32_e64 s[14:15], 5, v0
	v_cmp_lt_u32_e64 s[16:17], 63, v0
	v_lshlrev_b32_e32 v20, 2, v11
	v_cmp_eq_u32_e64 s[20:21], 0, v0
	v_cmp_eq_u32_e64 s[22:23], 0, v7
	v_cmp_lt_u32_e64 s[24:25], 1, v7
	v_cmp_lt_u32_e64 s[26:27], 3, v7
	v_add_u32_e32 v23, -4, v21
	v_add_u32_e32 v25, v12, v2
	v_mov_b32_e32 v7, 0
	v_add_u32_e32 v26, v22, v1
	v_mov_b32_e32 v27, 20
	s_branch .LBB322_2
.LBB322_1:                              ;   in Loop: Header=BB322_2 Depth=1
	v_lshlrev_b32_e32 v1, 3, v30
	s_barrier
	ds_write_b64 v1, v[13:14]
	v_lshlrev_b32_e32 v1, 3, v28
	ds_write_b64 v1, v[11:12]
	v_lshlrev_b32_e32 v1, 3, v8
	ds_write_b64 v1, v[5:6]
	s_waitcnt lgkmcnt(0)
	s_barrier
	ds_read2st64_b64 v[3:6], v26 offset1:5
	ds_read_b64 v[8:9], v26 offset:5120
	s_add_i32 s35, s35, 1
	s_cmp_eq_u32 s35, 10
	s_waitcnt lgkmcnt(1)
	v_xor_b32_e32 v4, 0x80000000, v4
	v_xor_b32_e32 v6, 0x80000000, v6
	s_waitcnt lgkmcnt(0)
	v_xor_b32_e32 v9, 0x80000000, v9
	s_cbranch_scc1 .LBB322_18
.LBB322_2:                              ; =>This Loop Header: Depth=1
                                        ;     Child Loop BB322_4 Depth 2
	s_waitcnt vmcnt(0)
	v_xor_b32_e32 v4, 0x80000000, v4
	v_xor_b32_e32 v6, 0x80000000, v6
	v_xor_b32_e32 v9, 0x80000000, v9
	ds_write2_b64 v17, v[3:4], v[5:6] offset1:1
	ds_write_b64 v17, v[8:9] offset:16
	; wave barrier
	ds_read2st64_b64 v[1:4], v18 offset1:1
	ds_read_b64 v[15:16], v18 offset:1024
	v_mov_b32_e32 v9, 0
	v_mov_b32_e32 v10, 0
	s_waitcnt lgkmcnt(0)
	s_barrier
	; wave barrier
	s_barrier
	s_branch .LBB322_4
.LBB322_3:                              ;   in Loop: Header=BB322_4 Depth=2
	s_andn2_b64 vcc, exec, s[28:29]
	s_cbranch_vccz .LBB322_1
.LBB322_4:                              ;   Parent Loop BB322_2 Depth=1
                                        ; =>  This Inner Loop Header: Depth=2
	v_mov_b32_e32 v14, v2
	v_mov_b32_e32 v13, v1
	v_lshrrev_b64 v[1:2], v9, v[13:14]
	v_mov_b32_e32 v12, v4
	v_and_b32_e32 v2, 1, v1
	v_mov_b32_e32 v11, v3
	v_add_co_u32_e32 v4, vcc, -1, v2
	v_addc_co_u32_e64 v8, s[28:29], 0, -1, vcc
	v_cmp_ne_u32_e32 vcc, 0, v2
	v_xor_b32_e32 v2, vcc_hi, v8
	v_lshlrev_b32_e32 v8, 30, v1
	v_xor_b32_e32 v4, vcc_lo, v4
	v_cmp_gt_i64_e32 vcc, 0, v[7:8]
	v_not_b32_e32 v8, v8
	v_mov_b32_e32 v5, v15
	v_ashrrev_i32_e32 v8, 31, v8
	v_mov_b32_e32 v6, v16
	v_and_b32_e32 v4, exec_lo, v4
	v_xor_b32_e32 v15, vcc_hi, v8
	v_xor_b32_e32 v8, vcc_lo, v8
	v_and_b32_e32 v4, v4, v8
	v_lshlrev_b32_e32 v8, 29, v1
	v_cmp_gt_i64_e32 vcc, 0, v[7:8]
	v_not_b32_e32 v8, v8
	v_and_b32_e32 v2, exec_hi, v2
	v_ashrrev_i32_e32 v8, 31, v8
	v_and_b32_e32 v2, v2, v15
	v_xor_b32_e32 v15, vcc_hi, v8
	v_xor_b32_e32 v8, vcc_lo, v8
	v_and_b32_e32 v4, v4, v8
	v_lshlrev_b32_e32 v8, 28, v1
	v_cmp_gt_i64_e32 vcc, 0, v[7:8]
	v_not_b32_e32 v8, v8
	v_ashrrev_i32_e32 v8, 31, v8
	v_and_b32_e32 v2, v2, v15
	v_xor_b32_e32 v15, vcc_hi, v8
	v_xor_b32_e32 v8, vcc_lo, v8
	v_and_b32_e32 v4, v4, v8
	v_lshlrev_b32_e32 v8, 27, v1
	v_cmp_gt_i64_e32 vcc, 0, v[7:8]
	v_not_b32_e32 v8, v8
	;; [unrolled: 8-line block ×4, first 2 shown]
	v_ashrrev_i32_e32 v8, 31, v8
	v_and_b32_e32 v2, v2, v15
	v_xor_b32_e32 v15, vcc_hi, v8
	v_xor_b32_e32 v8, vcc_lo, v8
	v_and_b32_e32 v4, v4, v8
	v_lshlrev_b32_e32 v8, 24, v1
	v_mul_u32_u24_sdwa v3, v1, v27 dst_sel:DWORD dst_unused:UNUSED_PAD src0_sel:BYTE_0 src1_sel:DWORD
	v_cmp_gt_i64_e32 vcc, 0, v[7:8]
	v_not_b32_e32 v1, v8
	v_ashrrev_i32_e32 v1, 31, v1
	v_xor_b32_e32 v8, vcc_hi, v1
	v_xor_b32_e32 v1, vcc_lo, v1
	v_and_b32_e32 v2, v2, v15
	v_and_b32_e32 v1, v4, v1
	;; [unrolled: 1-line block ×3, first 2 shown]
	v_mbcnt_lo_u32_b32 v4, v1, 0
	v_mbcnt_hi_u32_b32 v15, v2, v4
	v_cmp_ne_u64_e32 vcc, 0, v[1:2]
	v_cmp_eq_u32_e64 s[28:29], 0, v15
	s_and_b64 s[38:39], vcc, s[28:29]
	v_add_u32_e32 v16, v24, v3
	ds_write2_b32 v19, v7, v7 offset0:5 offset1:6
	ds_write2_b32 v19, v7, v7 offset0:7 offset1:8
	s_waitcnt lgkmcnt(0)
	s_barrier
	; wave barrier
	s_and_saveexec_b64 s[28:29], s[38:39]
; %bb.5:                                ;   in Loop: Header=BB322_4 Depth=2
	v_bcnt_u32_b32 v1, v1, 0
	v_bcnt_u32_b32 v1, v2, v1
	ds_write_b32 v16, v1 offset:20
; %bb.6:                                ;   in Loop: Header=BB322_4 Depth=2
	s_or_b64 exec, exec, s[28:29]
	v_lshrrev_b64 v[1:2], v9, v[11:12]
	v_and_b32_e32 v2, 0xff, v1
	v_mul_u32_u24_e32 v3, 20, v2
	v_mad_u32_u24 v2, v2, 20, v24
	; wave barrier
	ds_read_b32 v28, v2 offset:20
	v_and_b32_e32 v2, 1, v1
	v_add_co_u32_e32 v4, vcc, -1, v2
	v_addc_co_u32_e64 v8, s[28:29], 0, -1, vcc
	v_cmp_ne_u32_e32 vcc, 0, v2
	v_xor_b32_e32 v2, vcc_hi, v8
	v_lshlrev_b32_e32 v8, 30, v1
	v_xor_b32_e32 v4, vcc_lo, v4
	v_cmp_gt_i64_e32 vcc, 0, v[7:8]
	v_not_b32_e32 v8, v8
	v_ashrrev_i32_e32 v8, 31, v8
	v_and_b32_e32 v4, exec_lo, v4
	v_xor_b32_e32 v29, vcc_hi, v8
	v_xor_b32_e32 v8, vcc_lo, v8
	v_and_b32_e32 v4, v4, v8
	v_lshlrev_b32_e32 v8, 29, v1
	v_cmp_gt_i64_e32 vcc, 0, v[7:8]
	v_not_b32_e32 v8, v8
	v_and_b32_e32 v2, exec_hi, v2
	v_ashrrev_i32_e32 v8, 31, v8
	v_and_b32_e32 v2, v2, v29
	v_xor_b32_e32 v29, vcc_hi, v8
	v_xor_b32_e32 v8, vcc_lo, v8
	v_and_b32_e32 v4, v4, v8
	v_lshlrev_b32_e32 v8, 28, v1
	v_cmp_gt_i64_e32 vcc, 0, v[7:8]
	v_not_b32_e32 v8, v8
	v_ashrrev_i32_e32 v8, 31, v8
	v_and_b32_e32 v2, v2, v29
	v_xor_b32_e32 v29, vcc_hi, v8
	v_xor_b32_e32 v8, vcc_lo, v8
	v_and_b32_e32 v4, v4, v8
	v_lshlrev_b32_e32 v8, 27, v1
	v_cmp_gt_i64_e32 vcc, 0, v[7:8]
	v_not_b32_e32 v8, v8
	;; [unrolled: 8-line block ×5, first 2 shown]
	v_ashrrev_i32_e32 v1, 31, v1
	v_xor_b32_e32 v8, vcc_hi, v1
	v_xor_b32_e32 v1, vcc_lo, v1
	v_and_b32_e32 v2, v2, v29
	v_and_b32_e32 v1, v4, v1
	;; [unrolled: 1-line block ×3, first 2 shown]
	v_mbcnt_lo_u32_b32 v4, v1, 0
	v_mbcnt_hi_u32_b32 v29, v2, v4
	v_cmp_ne_u64_e32 vcc, 0, v[1:2]
	v_cmp_eq_u32_e64 s[28:29], 0, v29
	s_and_b64 s[38:39], vcc, s[28:29]
	v_add_u32_e32 v30, v24, v3
	; wave barrier
	s_and_saveexec_b64 s[28:29], s[38:39]
	s_cbranch_execz .LBB322_8
; %bb.7:                                ;   in Loop: Header=BB322_4 Depth=2
	v_bcnt_u32_b32 v1, v1, 0
	v_bcnt_u32_b32 v1, v2, v1
	s_waitcnt lgkmcnt(0)
	v_add_u32_e32 v1, v28, v1
	ds_write_b32 v30, v1 offset:20
.LBB322_8:                              ;   in Loop: Header=BB322_4 Depth=2
	s_or_b64 exec, exec, s[28:29]
	v_lshrrev_b64 v[1:2], v9, v[5:6]
	v_and_b32_e32 v2, 0xff, v1
	v_mul_u32_u24_e32 v3, 20, v2
	v_mad_u32_u24 v2, v2, 20, v24
	; wave barrier
	ds_read_b32 v31, v2 offset:20
	v_and_b32_e32 v2, 1, v1
	v_add_co_u32_e32 v4, vcc, -1, v2
	v_addc_co_u32_e64 v8, s[28:29], 0, -1, vcc
	v_cmp_ne_u32_e32 vcc, 0, v2
	v_xor_b32_e32 v2, vcc_hi, v8
	v_lshlrev_b32_e32 v8, 30, v1
	v_xor_b32_e32 v4, vcc_lo, v4
	v_cmp_gt_i64_e32 vcc, 0, v[7:8]
	v_not_b32_e32 v8, v8
	v_ashrrev_i32_e32 v8, 31, v8
	v_and_b32_e32 v4, exec_lo, v4
	v_xor_b32_e32 v32, vcc_hi, v8
	v_xor_b32_e32 v8, vcc_lo, v8
	v_and_b32_e32 v4, v4, v8
	v_lshlrev_b32_e32 v8, 29, v1
	v_cmp_gt_i64_e32 vcc, 0, v[7:8]
	v_not_b32_e32 v8, v8
	v_and_b32_e32 v2, exec_hi, v2
	v_ashrrev_i32_e32 v8, 31, v8
	v_and_b32_e32 v2, v2, v32
	v_xor_b32_e32 v32, vcc_hi, v8
	v_xor_b32_e32 v8, vcc_lo, v8
	v_and_b32_e32 v4, v4, v8
	v_lshlrev_b32_e32 v8, 28, v1
	v_cmp_gt_i64_e32 vcc, 0, v[7:8]
	v_not_b32_e32 v8, v8
	v_ashrrev_i32_e32 v8, 31, v8
	v_and_b32_e32 v2, v2, v32
	v_xor_b32_e32 v32, vcc_hi, v8
	v_xor_b32_e32 v8, vcc_lo, v8
	v_and_b32_e32 v4, v4, v8
	v_lshlrev_b32_e32 v8, 27, v1
	v_cmp_gt_i64_e32 vcc, 0, v[7:8]
	v_not_b32_e32 v8, v8
	;; [unrolled: 8-line block ×5, first 2 shown]
	v_ashrrev_i32_e32 v1, 31, v1
	v_xor_b32_e32 v8, vcc_hi, v1
	v_xor_b32_e32 v1, vcc_lo, v1
	v_and_b32_e32 v2, v2, v32
	v_and_b32_e32 v1, v4, v1
	v_and_b32_e32 v2, v2, v8
	v_mbcnt_lo_u32_b32 v4, v1, 0
	v_mbcnt_hi_u32_b32 v8, v2, v4
	v_cmp_ne_u64_e32 vcc, 0, v[1:2]
	v_cmp_eq_u32_e64 s[28:29], 0, v8
	s_and_b64 s[38:39], vcc, s[28:29]
	v_add_u32_e32 v32, v24, v3
	; wave barrier
	s_and_saveexec_b64 s[28:29], s[38:39]
	s_cbranch_execz .LBB322_10
; %bb.9:                                ;   in Loop: Header=BB322_4 Depth=2
	v_bcnt_u32_b32 v1, v1, 0
	v_bcnt_u32_b32 v1, v2, v1
	s_waitcnt lgkmcnt(0)
	v_add_u32_e32 v1, v31, v1
	ds_write_b32 v32, v1 offset:20
.LBB322_10:                             ;   in Loop: Header=BB322_4 Depth=2
	s_or_b64 exec, exec, s[28:29]
	; wave barrier
	s_waitcnt lgkmcnt(0)
	s_barrier
	ds_read2_b32 v[3:4], v19 offset0:5 offset1:6
	ds_read2_b32 v[1:2], v19 offset0:7 offset1:8
	s_waitcnt lgkmcnt(1)
	v_add_u32_e32 v33, v4, v3
	s_waitcnt lgkmcnt(0)
	v_add3_u32 v2, v33, v1, v2
	s_nop 1
	v_mov_b32_dpp v33, v2 row_shr:1 row_mask:0xf bank_mask:0xf
	v_cndmask_b32_e64 v33, v33, 0, s[0:1]
	v_add_u32_e32 v2, v33, v2
	s_nop 1
	v_mov_b32_dpp v33, v2 row_shr:2 row_mask:0xf bank_mask:0xf
	v_cndmask_b32_e64 v33, 0, v33, s[2:3]
	v_add_u32_e32 v2, v2, v33
	;; [unrolled: 4-line block ×4, first 2 shown]
	s_nop 1
	v_mov_b32_dpp v33, v2 row_bcast:15 row_mask:0xf bank_mask:0xf
	v_cndmask_b32_e64 v33, v33, 0, s[8:9]
	v_add_u32_e32 v2, v2, v33
	s_nop 1
	v_mov_b32_dpp v33, v2 row_bcast:31 row_mask:0xf bank_mask:0xf
	v_cndmask_b32_e64 v33, 0, v33, s[10:11]
	v_add_u32_e32 v2, v2, v33
	s_and_saveexec_b64 s[28:29], s[12:13]
; %bb.11:                               ;   in Loop: Header=BB322_4 Depth=2
	ds_write_b32 v21, v2
; %bb.12:                               ;   in Loop: Header=BB322_4 Depth=2
	s_or_b64 exec, exec, s[28:29]
	s_waitcnt lgkmcnt(0)
	s_barrier
	s_and_saveexec_b64 s[28:29], s[14:15]
	s_cbranch_execz .LBB322_14
; %bb.13:                               ;   in Loop: Header=BB322_4 Depth=2
	ds_read_b32 v33, v22
	s_waitcnt lgkmcnt(0)
	s_nop 0
	v_mov_b32_dpp v34, v33 row_shr:1 row_mask:0xf bank_mask:0xf
	v_cndmask_b32_e64 v34, v34, 0, s[22:23]
	v_add_u32_e32 v33, v34, v33
	s_nop 1
	v_mov_b32_dpp v34, v33 row_shr:2 row_mask:0xf bank_mask:0xf
	v_cndmask_b32_e64 v34, 0, v34, s[24:25]
	v_add_u32_e32 v33, v33, v34
	;; [unrolled: 4-line block ×3, first 2 shown]
	ds_write_b32 v22, v33
.LBB322_14:                             ;   in Loop: Header=BB322_4 Depth=2
	s_or_b64 exec, exec, s[28:29]
	v_mov_b32_e32 v33, 0
	s_waitcnt lgkmcnt(0)
	s_barrier
	s_and_saveexec_b64 s[28:29], s[16:17]
; %bb.15:                               ;   in Loop: Header=BB322_4 Depth=2
	ds_read_b32 v33, v23
; %bb.16:                               ;   in Loop: Header=BB322_4 Depth=2
	s_or_b64 exec, exec, s[28:29]
	s_waitcnt lgkmcnt(0)
	v_add_u32_e32 v2, v33, v2
	ds_bpermute_b32 v2, v20, v2
	v_cmp_lt_u32_e32 vcc, 55, v9
	s_and_b64 vcc, exec, vcc
	s_mov_b64 s[28:29], -1
	s_waitcnt lgkmcnt(0)
	v_cndmask_b32_e64 v2, v2, v33, s[18:19]
	v_cndmask_b32_e64 v2, v2, 0, s[20:21]
	v_add_u32_e32 v3, v2, v3
	v_add_u32_e32 v4, v3, v4
	;; [unrolled: 1-line block ×3, first 2 shown]
	ds_write2_b32 v19, v2, v3 offset0:5 offset1:6
	ds_write2_b32 v19, v4, v1 offset0:7 offset1:8
	s_waitcnt lgkmcnt(0)
	s_barrier
	ds_read_b32 v1, v16 offset:20
	ds_read_b32 v2, v30 offset:20
	;; [unrolled: 1-line block ×3, first 2 shown]
	s_waitcnt lgkmcnt(2)
	v_add_u32_e32 v30, v1, v15
	s_waitcnt lgkmcnt(1)
	v_add3_u32 v28, v29, v28, v2
	s_waitcnt lgkmcnt(0)
	v_add3_u32 v8, v8, v31, v3
                                        ; implicit-def: $vgpr15_vgpr16
                                        ; implicit-def: $vgpr3_vgpr4
	s_cbranch_vccnz .LBB322_3
; %bb.17:                               ;   in Loop: Header=BB322_4 Depth=2
	v_lshlrev_b32_e32 v1, 3, v30
	s_barrier
	ds_write_b64 v1, v[13:14]
	v_lshlrev_b32_e32 v1, 3, v28
	ds_write_b64 v1, v[11:12]
	v_lshlrev_b32_e32 v1, 3, v8
	ds_write_b64 v1, v[5:6]
	s_waitcnt lgkmcnt(0)
	s_barrier
	ds_read2st64_b64 v[1:4], v25 offset1:1
	ds_read_b64 v[15:16], v25 offset:1024
	v_add_co_u32_e32 v9, vcc, 8, v9
	v_addc_co_u32_e32 v10, vcc, 0, v10, vcc
	s_mov_b64 s[28:29], 0
	s_waitcnt lgkmcnt(0)
	s_barrier
	s_branch .LBB322_3
.LBB322_18:
	s_add_u32 s0, s30, s36
	s_addc_u32 s1, s31, s37
	v_lshlrev_b32_e32 v0, 3, v0
	v_mov_b32_e32 v1, s1
	v_add_co_u32_e32 v2, vcc, s0, v0
	v_addc_co_u32_e32 v1, vcc, 0, v1, vcc
	global_store_dwordx2 v0, v[3:4], s[0:1]
	global_store_dwordx2 v0, v[5:6], s[0:1] offset:2560
	v_add_co_u32_e32 v0, vcc, 0x1000, v2
	v_addc_co_u32_e32 v1, vcc, 0, v1, vcc
	global_store_dwordx2 v[0:1], v[8:9], off offset:1024
	s_endpgm
	.section	.rodata,"a",@progbits
	.p2align	6, 0x0
	.amdhsa_kernel _Z16sort_keys_kernelI22helper_blocked_stripedxLj320ELj3ELj10EEvPKT0_PS1_
		.amdhsa_group_segment_fixed_size 7680
		.amdhsa_private_segment_fixed_size 0
		.amdhsa_kernarg_size 272
		.amdhsa_user_sgpr_count 6
		.amdhsa_user_sgpr_private_segment_buffer 1
		.amdhsa_user_sgpr_dispatch_ptr 0
		.amdhsa_user_sgpr_queue_ptr 0
		.amdhsa_user_sgpr_kernarg_segment_ptr 1
		.amdhsa_user_sgpr_dispatch_id 0
		.amdhsa_user_sgpr_flat_scratch_init 0
		.amdhsa_user_sgpr_private_segment_size 0
		.amdhsa_uses_dynamic_stack 0
		.amdhsa_system_sgpr_private_segment_wavefront_offset 0
		.amdhsa_system_sgpr_workgroup_id_x 1
		.amdhsa_system_sgpr_workgroup_id_y 0
		.amdhsa_system_sgpr_workgroup_id_z 0
		.amdhsa_system_sgpr_workgroup_info 0
		.amdhsa_system_vgpr_workitem_id 2
		.amdhsa_next_free_vgpr 35
		.amdhsa_next_free_sgpr 40
		.amdhsa_reserve_vcc 1
		.amdhsa_reserve_flat_scratch 0
		.amdhsa_float_round_mode_32 0
		.amdhsa_float_round_mode_16_64 0
		.amdhsa_float_denorm_mode_32 3
		.amdhsa_float_denorm_mode_16_64 3
		.amdhsa_dx10_clamp 1
		.amdhsa_ieee_mode 1
		.amdhsa_fp16_overflow 0
		.amdhsa_exception_fp_ieee_invalid_op 0
		.amdhsa_exception_fp_denorm_src 0
		.amdhsa_exception_fp_ieee_div_zero 0
		.amdhsa_exception_fp_ieee_overflow 0
		.amdhsa_exception_fp_ieee_underflow 0
		.amdhsa_exception_fp_ieee_inexact 0
		.amdhsa_exception_int_div_zero 0
	.end_amdhsa_kernel
	.section	.text._Z16sort_keys_kernelI22helper_blocked_stripedxLj320ELj3ELj10EEvPKT0_PS1_,"axG",@progbits,_Z16sort_keys_kernelI22helper_blocked_stripedxLj320ELj3ELj10EEvPKT0_PS1_,comdat
.Lfunc_end322:
	.size	_Z16sort_keys_kernelI22helper_blocked_stripedxLj320ELj3ELj10EEvPKT0_PS1_, .Lfunc_end322-_Z16sort_keys_kernelI22helper_blocked_stripedxLj320ELj3ELj10EEvPKT0_PS1_
                                        ; -- End function
	.set _Z16sort_keys_kernelI22helper_blocked_stripedxLj320ELj3ELj10EEvPKT0_PS1_.num_vgpr, 35
	.set _Z16sort_keys_kernelI22helper_blocked_stripedxLj320ELj3ELj10EEvPKT0_PS1_.num_agpr, 0
	.set _Z16sort_keys_kernelI22helper_blocked_stripedxLj320ELj3ELj10EEvPKT0_PS1_.numbered_sgpr, 40
	.set _Z16sort_keys_kernelI22helper_blocked_stripedxLj320ELj3ELj10EEvPKT0_PS1_.num_named_barrier, 0
	.set _Z16sort_keys_kernelI22helper_blocked_stripedxLj320ELj3ELj10EEvPKT0_PS1_.private_seg_size, 0
	.set _Z16sort_keys_kernelI22helper_blocked_stripedxLj320ELj3ELj10EEvPKT0_PS1_.uses_vcc, 1
	.set _Z16sort_keys_kernelI22helper_blocked_stripedxLj320ELj3ELj10EEvPKT0_PS1_.uses_flat_scratch, 0
	.set _Z16sort_keys_kernelI22helper_blocked_stripedxLj320ELj3ELj10EEvPKT0_PS1_.has_dyn_sized_stack, 0
	.set _Z16sort_keys_kernelI22helper_blocked_stripedxLj320ELj3ELj10EEvPKT0_PS1_.has_recursion, 0
	.set _Z16sort_keys_kernelI22helper_blocked_stripedxLj320ELj3ELj10EEvPKT0_PS1_.has_indirect_call, 0
	.section	.AMDGPU.csdata,"",@progbits
; Kernel info:
; codeLenInByte = 2348
; TotalNumSgprs: 44
; NumVgprs: 35
; ScratchSize: 0
; MemoryBound: 0
; FloatMode: 240
; IeeeMode: 1
; LDSByteSize: 7680 bytes/workgroup (compile time only)
; SGPRBlocks: 5
; VGPRBlocks: 8
; NumSGPRsForWavesPerEU: 44
; NumVGPRsForWavesPerEU: 35
; Occupancy: 7
; WaveLimiterHint : 1
; COMPUTE_PGM_RSRC2:SCRATCH_EN: 0
; COMPUTE_PGM_RSRC2:USER_SGPR: 6
; COMPUTE_PGM_RSRC2:TRAP_HANDLER: 0
; COMPUTE_PGM_RSRC2:TGID_X_EN: 1
; COMPUTE_PGM_RSRC2:TGID_Y_EN: 0
; COMPUTE_PGM_RSRC2:TGID_Z_EN: 0
; COMPUTE_PGM_RSRC2:TIDIG_COMP_CNT: 2
	.section	.text._Z17sort_pairs_kernelI22helper_blocked_stripedxLj320ELj3ELj10EEvPKT0_PS1_,"axG",@progbits,_Z17sort_pairs_kernelI22helper_blocked_stripedxLj320ELj3ELj10EEvPKT0_PS1_,comdat
	.protected	_Z17sort_pairs_kernelI22helper_blocked_stripedxLj320ELj3ELj10EEvPKT0_PS1_ ; -- Begin function _Z17sort_pairs_kernelI22helper_blocked_stripedxLj320ELj3ELj10EEvPKT0_PS1_
	.globl	_Z17sort_pairs_kernelI22helper_blocked_stripedxLj320ELj3ELj10EEvPKT0_PS1_
	.p2align	8
	.type	_Z17sort_pairs_kernelI22helper_blocked_stripedxLj320ELj3ELj10EEvPKT0_PS1_,@function
_Z17sort_pairs_kernelI22helper_blocked_stripedxLj320ELj3ELj10EEvPKT0_PS1_: ; @_Z17sort_pairs_kernelI22helper_blocked_stripedxLj320ELj3ELj10EEvPKT0_PS1_
; %bb.0:
	s_load_dwordx4 s[28:31], s[4:5], 0x0
	s_load_dword s26, s[4:5], 0x1c
	s_mul_i32 s36, s6, 0x3c0
	s_mov_b32 s37, 0
	s_lshl_b64 s[34:35], s[36:37], 3
	s_waitcnt lgkmcnt(0)
	s_add_u32 s0, s28, s34
	v_mul_u32_u24_e32 v3, 3, v0
	s_addc_u32 s1, s29, s35
	v_lshlrev_b32_e32 v7, 3, v3
	global_load_dwordx4 v[3:6], v7, s[0:1]
	global_load_dwordx2 v[12:13], v7, s[0:1] offset:16
	v_mbcnt_lo_u32_b32 v7, -1, 0
	v_mbcnt_hi_u32_b32 v7, -1, v7
	v_lshrrev_b32_e32 v8, 6, v0
	v_mul_u32_u24_e32 v11, 0xc0, v8
	v_subrev_co_u32_e64 v18, s[8:9], 1, v7
	v_and_b32_e32 v19, 64, v7
	s_lshr_b32 s27, s26, 16
	v_and_b32_e32 v16, 16, v7
	v_lshlrev_b32_e32 v11, 3, v11
	v_cmp_lt_i32_e32 vcc, v18, v19
	s_and_b32 s26, s26, 0xffff
	v_mad_u32_u24 v1, v2, s27, v1
	v_and_b32_e32 v9, 0x1c0, v0
	v_lshlrev_b32_e32 v14, 3, v7
	v_and_b32_e32 v15, 15, v7
	v_cmp_lt_u32_e64 s[6:7], 31, v7
	v_lshlrev_b32_e32 v31, 2, v8
	v_and_b32_e32 v8, 7, v7
	v_cmp_eq_u32_e64 s[18:19], 0, v16
	v_cndmask_b32_e32 v16, v18, v7, vcc
	v_mad_u32_u24 v36, v7, 24, v11
	v_mad_u64_u32 v[1:2], s[26:27], v1, s26, v[0:1]
	v_lshlrev_b32_e32 v30, 4, v0
	v_min_u32_e32 v17, 0x100, v9
	v_mul_u32_u24_e32 v9, 24, v9
	v_cmp_eq_u32_e64 s[20:21], 0, v8
	v_cmp_lt_u32_e64 s[22:23], 1, v8
	v_cmp_lt_u32_e64 s[24:25], 3, v8
	v_lshlrev_b32_e32 v10, 2, v0
	v_mad_i32_i24 v32, v0, -12, v30
	v_add_u32_e32 v33, v14, v9
	v_add_u32_e32 v34, v32, v10
	v_cmp_eq_u32_e64 s[10:11], 0, v15
	v_cmp_lt_u32_e64 s[12:13], 1, v15
	v_cmp_lt_u32_e64 s[14:15], 3, v15
	v_cmp_lt_u32_e64 s[16:17], 7, v15
	v_or_b32_e32 v15, 63, v17
	v_add_u32_e32 v37, v14, v11
	v_lshrrev_b32_e32 v1, 4, v1
	v_mov_b32_e32 v29, 20
	v_cmp_gt_u32_e64 s[0:1], 5, v0
	v_cmp_lt_u32_e64 s[2:3], 63, v0
	v_cmp_eq_u32_e64 s[4:5], 0, v0
	v_add_u32_e32 v35, -4, v31
	v_cmp_eq_u32_e64 s[26:27], v0, v15
	v_lshlrev_b32_e32 v38, 2, v16
	v_and_b32_e32 v39, 0xffffffc, v1
	v_mov_b32_e32 v11, 0
	s_waitcnt vmcnt(1)
	v_add_co_u32_e32 v7, vcc, 1, v3
	v_addc_co_u32_e32 v8, vcc, 0, v4, vcc
	v_add_co_u32_e32 v9, vcc, 1, v5
	v_addc_co_u32_e32 v10, vcc, 0, v6, vcc
	s_waitcnt vmcnt(0)
	v_add_co_u32_e32 v14, vcc, 1, v12
	v_addc_co_u32_e32 v15, vcc, 0, v13, vcc
	s_branch .LBB323_2
.LBB323_1:                              ;   in Loop: Header=BB323_2 Depth=1
	v_lshlrev_b32_e32 v1, 3, v41
	v_lshlrev_b32_e32 v2, 3, v40
	;; [unrolled: 1-line block ×3, first 2 shown]
	s_barrier
	ds_write_b64 v1, v[19:20]
	ds_write_b64 v2, v[17:18]
	;; [unrolled: 1-line block ×3, first 2 shown]
	s_waitcnt lgkmcnt(0)
	s_barrier
	ds_read2st64_b64 v[3:6], v34 offset1:5
	ds_read_b64 v[12:13], v34 offset:5120
	s_waitcnt lgkmcnt(0)
	s_barrier
	ds_write_b64 v1, v[15:16]
	ds_write_b64 v2, v[9:10]
	;; [unrolled: 1-line block ×3, first 2 shown]
	s_waitcnt lgkmcnt(0)
	s_barrier
	ds_read2st64_b64 v[7:10], v34 offset1:5
	ds_read_b64 v[14:15], v34 offset:5120
	s_add_i32 s37, s37, 1
	v_xor_b32_e32 v4, 0x80000000, v4
	v_xor_b32_e32 v6, 0x80000000, v6
	s_cmp_eq_u32 s37, 10
	v_xor_b32_e32 v13, 0x80000000, v13
	s_cbranch_scc1 .LBB323_18
.LBB323_2:                              ; =>This Loop Header: Depth=1
                                        ;     Child Loop BB323_4 Depth 2
	v_xor_b32_e32 v4, 0x80000000, v4
	v_xor_b32_e32 v6, 0x80000000, v6
	;; [unrolled: 1-line block ×3, first 2 shown]
	ds_write2_b64 v36, v[3:4], v[5:6] offset1:1
	ds_write_b64 v36, v[12:13] offset:16
	; wave barrier
	ds_read2st64_b64 v[1:4], v37 offset1:1
	ds_read_b64 v[25:26], v37 offset:1024
	; wave barrier
	s_waitcnt lgkmcnt(5)
	ds_write2_b64 v36, v[7:8], v[9:10] offset1:1
	s_waitcnt lgkmcnt(5)
	ds_write_b64 v36, v[14:15] offset:16
	; wave barrier
	ds_read2st64_b64 v[5:8], v37 offset1:1
	ds_read_b64 v[27:28], v37 offset:1024
	v_mov_b32_e32 v13, 0
	v_mov_b32_e32 v14, 0
	s_waitcnt lgkmcnt(0)
	s_barrier
	s_branch .LBB323_4
.LBB323_3:                              ;   in Loop: Header=BB323_4 Depth=2
	s_andn2_b64 vcc, exec, s[28:29]
	s_cbranch_vccz .LBB323_1
.LBB323_4:                              ;   Parent Loop BB323_2 Depth=1
                                        ; =>  This Inner Loop Header: Depth=2
	v_mov_b32_e32 v20, v2
	v_mov_b32_e32 v19, v1
	v_lshrrev_b64 v[1:2], v13, v[19:20]
	v_mov_b32_e32 v18, v4
	v_and_b32_e32 v2, 1, v1
	v_mov_b32_e32 v17, v3
	v_add_co_u32_e32 v3, vcc, -1, v2
	v_addc_co_u32_e64 v4, s[28:29], 0, -1, vcc
	v_cmp_ne_u32_e32 vcc, 0, v2
	v_lshlrev_b32_e32 v12, 30, v1
	v_xor_b32_e32 v2, vcc_hi, v4
	v_cmp_gt_i64_e64 s[28:29], 0, v[11:12]
	v_not_b32_e32 v4, v12
	v_mov_b32_e32 v16, v6
	v_ashrrev_i32_e32 v4, 31, v4
	v_xor_b32_e32 v3, vcc_lo, v3
	v_mov_b32_e32 v15, v5
	v_xor_b32_e32 v5, s29, v4
	v_and_b32_e32 v3, exec_lo, v3
	v_xor_b32_e32 v4, s28, v4
	v_lshlrev_b32_e32 v12, 29, v1
	v_and_b32_e32 v3, v3, v4
	v_cmp_gt_i64_e32 vcc, 0, v[11:12]
	v_not_b32_e32 v4, v12
	v_and_b32_e32 v2, exec_hi, v2
	v_ashrrev_i32_e32 v4, 31, v4
	v_and_b32_e32 v2, v2, v5
	v_xor_b32_e32 v5, vcc_hi, v4
	v_xor_b32_e32 v4, vcc_lo, v4
	v_lshlrev_b32_e32 v12, 28, v1
	v_and_b32_e32 v3, v3, v4
	v_cmp_gt_i64_e32 vcc, 0, v[11:12]
	v_not_b32_e32 v4, v12
	v_ashrrev_i32_e32 v4, 31, v4
	v_and_b32_e32 v2, v2, v5
	v_xor_b32_e32 v5, vcc_hi, v4
	v_xor_b32_e32 v4, vcc_lo, v4
	v_lshlrev_b32_e32 v12, 27, v1
	v_and_b32_e32 v3, v3, v4
	v_cmp_gt_i64_e32 vcc, 0, v[11:12]
	v_not_b32_e32 v4, v12
	;; [unrolled: 8-line block ×4, first 2 shown]
	v_ashrrev_i32_e32 v4, 31, v4
	v_and_b32_e32 v2, v2, v5
	v_xor_b32_e32 v5, vcc_hi, v4
	v_xor_b32_e32 v4, vcc_lo, v4
	v_lshlrev_b32_e32 v12, 24, v1
	v_and_b32_e32 v3, v3, v4
	v_mul_u32_u24_sdwa v4, v1, v29 dst_sel:DWORD dst_unused:UNUSED_PAD src0_sel:BYTE_0 src1_sel:DWORD
	v_cmp_gt_i64_e32 vcc, 0, v[11:12]
	v_not_b32_e32 v1, v12
	v_ashrrev_i32_e32 v1, 31, v1
	v_and_b32_e32 v2, v2, v5
	v_xor_b32_e32 v5, vcc_hi, v1
	v_xor_b32_e32 v1, vcc_lo, v1
	v_and_b32_e32 v1, v3, v1
	v_and_b32_e32 v2, v2, v5
	v_mbcnt_lo_u32_b32 v3, v1, 0
	v_mbcnt_hi_u32_b32 v5, v2, v3
	v_cmp_ne_u64_e32 vcc, 0, v[1:2]
	v_mov_b32_e32 v10, v8
	v_mov_b32_e32 v23, v25
	;; [unrolled: 1-line block ×3, first 2 shown]
	v_cmp_eq_u32_e64 s[28:29], 0, v5
	v_mov_b32_e32 v9, v7
	v_mov_b32_e32 v24, v26
	;; [unrolled: 1-line block ×3, first 2 shown]
	s_and_b64 s[38:39], vcc, s[28:29]
	v_add_u32_e32 v6, v39, v4
	ds_write2_b32 v30, v11, v11 offset0:5 offset1:6
	ds_write2_b32 v30, v11, v11 offset0:7 offset1:8
	s_waitcnt lgkmcnt(0)
	s_barrier
	; wave barrier
	s_and_saveexec_b64 s[28:29], s[38:39]
; %bb.5:                                ;   in Loop: Header=BB323_4 Depth=2
	v_bcnt_u32_b32 v1, v1, 0
	v_bcnt_u32_b32 v1, v2, v1
	ds_write_b32 v6, v1 offset:20
; %bb.6:                                ;   in Loop: Header=BB323_4 Depth=2
	s_or_b64 exec, exec, s[28:29]
	v_lshrrev_b64 v[1:2], v13, v[17:18]
	v_and_b32_e32 v2, 0xff, v1
	v_mul_u32_u24_e32 v3, 20, v2
	v_mad_u32_u24 v2, v2, 20, v39
	; wave barrier
	ds_read_b32 v7, v2 offset:20
	v_and_b32_e32 v2, 1, v1
	v_add_co_u32_e32 v4, vcc, -1, v2
	v_addc_co_u32_e64 v8, s[28:29], 0, -1, vcc
	v_cmp_ne_u32_e32 vcc, 0, v2
	v_lshlrev_b32_e32 v12, 30, v1
	v_xor_b32_e32 v2, vcc_hi, v8
	v_xor_b32_e32 v4, vcc_lo, v4
	v_cmp_gt_i64_e32 vcc, 0, v[11:12]
	v_not_b32_e32 v8, v12
	v_ashrrev_i32_e32 v8, 31, v8
	v_and_b32_e32 v2, exec_hi, v2
	v_xor_b32_e32 v12, vcc_hi, v8
	v_and_b32_e32 v4, exec_lo, v4
	v_xor_b32_e32 v8, vcc_lo, v8
	v_and_b32_e32 v2, v2, v12
	v_lshlrev_b32_e32 v12, 29, v1
	v_and_b32_e32 v4, v4, v8
	v_cmp_gt_i64_e32 vcc, 0, v[11:12]
	v_not_b32_e32 v8, v12
	v_ashrrev_i32_e32 v8, 31, v8
	v_xor_b32_e32 v12, vcc_hi, v8
	v_xor_b32_e32 v8, vcc_lo, v8
	v_and_b32_e32 v2, v2, v12
	v_lshlrev_b32_e32 v12, 28, v1
	v_and_b32_e32 v4, v4, v8
	v_cmp_gt_i64_e32 vcc, 0, v[11:12]
	v_not_b32_e32 v8, v12
	v_ashrrev_i32_e32 v8, 31, v8
	v_xor_b32_e32 v12, vcc_hi, v8
	;; [unrolled: 8-line block ×5, first 2 shown]
	v_and_b32_e32 v2, v2, v12
	v_lshlrev_b32_e32 v12, 24, v1
	v_xor_b32_e32 v8, vcc_lo, v8
	v_cmp_gt_i64_e32 vcc, 0, v[11:12]
	v_not_b32_e32 v1, v12
	v_ashrrev_i32_e32 v1, 31, v1
	v_and_b32_e32 v4, v4, v8
	v_xor_b32_e32 v8, vcc_hi, v1
	v_xor_b32_e32 v1, vcc_lo, v1
	v_and_b32_e32 v1, v4, v1
	v_and_b32_e32 v2, v2, v8
	v_mbcnt_lo_u32_b32 v4, v1, 0
	v_mbcnt_hi_u32_b32 v8, v2, v4
	v_cmp_ne_u64_e32 vcc, 0, v[1:2]
	v_cmp_eq_u32_e64 s[28:29], 0, v8
	s_and_b64 s[38:39], vcc, s[28:29]
	v_add_u32_e32 v25, v39, v3
	; wave barrier
	s_and_saveexec_b64 s[28:29], s[38:39]
	s_cbranch_execz .LBB323_8
; %bb.7:                                ;   in Loop: Header=BB323_4 Depth=2
	v_bcnt_u32_b32 v1, v1, 0
	v_bcnt_u32_b32 v1, v2, v1
	s_waitcnt lgkmcnt(0)
	v_add_u32_e32 v1, v7, v1
	ds_write_b32 v25, v1 offset:20
.LBB323_8:                              ;   in Loop: Header=BB323_4 Depth=2
	s_or_b64 exec, exec, s[28:29]
	v_lshrrev_b64 v[1:2], v13, v[23:24]
	v_and_b32_e32 v2, 0xff, v1
	v_mul_u32_u24_e32 v3, 20, v2
	v_mad_u32_u24 v2, v2, 20, v39
	; wave barrier
	ds_read_b32 v26, v2 offset:20
	v_and_b32_e32 v2, 1, v1
	v_add_co_u32_e32 v4, vcc, -1, v2
	v_addc_co_u32_e64 v12, s[28:29], 0, -1, vcc
	v_cmp_ne_u32_e32 vcc, 0, v2
	v_xor_b32_e32 v2, vcc_hi, v12
	v_lshlrev_b32_e32 v12, 30, v1
	v_xor_b32_e32 v4, vcc_lo, v4
	v_cmp_gt_i64_e32 vcc, 0, v[11:12]
	v_not_b32_e32 v12, v12
	v_ashrrev_i32_e32 v12, 31, v12
	v_and_b32_e32 v4, exec_lo, v4
	v_xor_b32_e32 v27, vcc_hi, v12
	v_xor_b32_e32 v12, vcc_lo, v12
	v_and_b32_e32 v4, v4, v12
	v_lshlrev_b32_e32 v12, 29, v1
	v_cmp_gt_i64_e32 vcc, 0, v[11:12]
	v_not_b32_e32 v12, v12
	v_and_b32_e32 v2, exec_hi, v2
	v_ashrrev_i32_e32 v12, 31, v12
	v_and_b32_e32 v2, v2, v27
	v_xor_b32_e32 v27, vcc_hi, v12
	v_xor_b32_e32 v12, vcc_lo, v12
	v_and_b32_e32 v4, v4, v12
	v_lshlrev_b32_e32 v12, 28, v1
	v_cmp_gt_i64_e32 vcc, 0, v[11:12]
	v_not_b32_e32 v12, v12
	v_ashrrev_i32_e32 v12, 31, v12
	v_and_b32_e32 v2, v2, v27
	v_xor_b32_e32 v27, vcc_hi, v12
	v_xor_b32_e32 v12, vcc_lo, v12
	v_and_b32_e32 v4, v4, v12
	v_lshlrev_b32_e32 v12, 27, v1
	v_cmp_gt_i64_e32 vcc, 0, v[11:12]
	v_not_b32_e32 v12, v12
	;; [unrolled: 8-line block ×5, first 2 shown]
	v_ashrrev_i32_e32 v1, 31, v1
	v_xor_b32_e32 v12, vcc_hi, v1
	v_xor_b32_e32 v1, vcc_lo, v1
	v_and_b32_e32 v2, v2, v27
	v_and_b32_e32 v1, v4, v1
	;; [unrolled: 1-line block ×3, first 2 shown]
	v_mbcnt_lo_u32_b32 v4, v1, 0
	v_mbcnt_hi_u32_b32 v12, v2, v4
	v_cmp_ne_u64_e32 vcc, 0, v[1:2]
	v_cmp_eq_u32_e64 s[28:29], 0, v12
	s_and_b64 s[38:39], vcc, s[28:29]
	v_add_u32_e32 v27, v39, v3
	; wave barrier
	s_and_saveexec_b64 s[28:29], s[38:39]
	s_cbranch_execz .LBB323_10
; %bb.9:                                ;   in Loop: Header=BB323_4 Depth=2
	v_bcnt_u32_b32 v1, v1, 0
	v_bcnt_u32_b32 v1, v2, v1
	s_waitcnt lgkmcnt(0)
	v_add_u32_e32 v1, v26, v1
	ds_write_b32 v27, v1 offset:20
.LBB323_10:                             ;   in Loop: Header=BB323_4 Depth=2
	s_or_b64 exec, exec, s[28:29]
	; wave barrier
	s_waitcnt lgkmcnt(0)
	s_barrier
	ds_read2_b32 v[3:4], v30 offset0:5 offset1:6
	ds_read2_b32 v[1:2], v30 offset0:7 offset1:8
	s_waitcnt lgkmcnt(1)
	v_add_u32_e32 v28, v4, v3
	s_waitcnt lgkmcnt(0)
	v_add3_u32 v2, v28, v1, v2
	s_nop 1
	v_mov_b32_dpp v28, v2 row_shr:1 row_mask:0xf bank_mask:0xf
	v_cndmask_b32_e64 v28, v28, 0, s[10:11]
	v_add_u32_e32 v2, v28, v2
	s_nop 1
	v_mov_b32_dpp v28, v2 row_shr:2 row_mask:0xf bank_mask:0xf
	v_cndmask_b32_e64 v28, 0, v28, s[12:13]
	v_add_u32_e32 v2, v2, v28
	;; [unrolled: 4-line block ×4, first 2 shown]
	s_nop 1
	v_mov_b32_dpp v28, v2 row_bcast:15 row_mask:0xf bank_mask:0xf
	v_cndmask_b32_e64 v28, v28, 0, s[18:19]
	v_add_u32_e32 v2, v2, v28
	s_nop 1
	v_mov_b32_dpp v28, v2 row_bcast:31 row_mask:0xf bank_mask:0xf
	v_cndmask_b32_e64 v28, 0, v28, s[6:7]
	v_add_u32_e32 v2, v2, v28
	s_and_saveexec_b64 s[28:29], s[26:27]
; %bb.11:                               ;   in Loop: Header=BB323_4 Depth=2
	ds_write_b32 v31, v2
; %bb.12:                               ;   in Loop: Header=BB323_4 Depth=2
	s_or_b64 exec, exec, s[28:29]
	s_waitcnt lgkmcnt(0)
	s_barrier
	s_and_saveexec_b64 s[28:29], s[0:1]
	s_cbranch_execz .LBB323_14
; %bb.13:                               ;   in Loop: Header=BB323_4 Depth=2
	ds_read_b32 v28, v32
	s_waitcnt lgkmcnt(0)
	s_nop 0
	v_mov_b32_dpp v40, v28 row_shr:1 row_mask:0xf bank_mask:0xf
	v_cndmask_b32_e64 v40, v40, 0, s[20:21]
	v_add_u32_e32 v28, v40, v28
	s_nop 1
	v_mov_b32_dpp v40, v28 row_shr:2 row_mask:0xf bank_mask:0xf
	v_cndmask_b32_e64 v40, 0, v40, s[22:23]
	v_add_u32_e32 v28, v28, v40
	s_nop 1
	v_mov_b32_dpp v40, v28 row_shr:4 row_mask:0xf bank_mask:0xf
	v_cndmask_b32_e64 v40, 0, v40, s[24:25]
	v_add_u32_e32 v28, v28, v40
	ds_write_b32 v32, v28
.LBB323_14:                             ;   in Loop: Header=BB323_4 Depth=2
	s_or_b64 exec, exec, s[28:29]
	v_mov_b32_e32 v28, 0
	s_waitcnt lgkmcnt(0)
	s_barrier
	s_and_saveexec_b64 s[28:29], s[2:3]
; %bb.15:                               ;   in Loop: Header=BB323_4 Depth=2
	ds_read_b32 v28, v35
; %bb.16:                               ;   in Loop: Header=BB323_4 Depth=2
	s_or_b64 exec, exec, s[28:29]
	s_waitcnt lgkmcnt(0)
	v_add_u32_e32 v2, v28, v2
	ds_bpermute_b32 v2, v38, v2
	v_cmp_lt_u32_e32 vcc, 55, v13
	s_and_b64 vcc, exec, vcc
	s_mov_b64 s[28:29], -1
	s_waitcnt lgkmcnt(0)
	v_cndmask_b32_e64 v2, v2, v28, s[8:9]
	v_cndmask_b32_e64 v2, v2, 0, s[4:5]
	v_add_u32_e32 v3, v2, v3
	v_add_u32_e32 v4, v3, v4
	;; [unrolled: 1-line block ×3, first 2 shown]
	ds_write2_b32 v30, v2, v3 offset0:5 offset1:6
	ds_write2_b32 v30, v4, v1 offset0:7 offset1:8
	s_waitcnt lgkmcnt(0)
	s_barrier
	ds_read_b32 v1, v6 offset:20
	ds_read_b32 v2, v25 offset:20
	;; [unrolled: 1-line block ×3, first 2 shown]
                                        ; implicit-def: $vgpr27_vgpr28
	s_waitcnt lgkmcnt(2)
	v_add_u32_e32 v41, v1, v5
	s_waitcnt lgkmcnt(1)
	v_add3_u32 v40, v8, v7, v2
	s_waitcnt lgkmcnt(0)
	v_add3_u32 v12, v12, v26, v3
                                        ; implicit-def: $vgpr25_vgpr26
                                        ; implicit-def: $vgpr3_vgpr4
                                        ; implicit-def: $vgpr7_vgpr8
	s_cbranch_vccnz .LBB323_3
; %bb.17:                               ;   in Loop: Header=BB323_4 Depth=2
	v_lshlrev_b32_e32 v5, 3, v41
	v_lshlrev_b32_e32 v6, 3, v40
	;; [unrolled: 1-line block ×3, first 2 shown]
	s_barrier
	ds_write_b64 v5, v[19:20]
	ds_write_b64 v6, v[17:18]
	;; [unrolled: 1-line block ×3, first 2 shown]
	s_waitcnt lgkmcnt(0)
	s_barrier
	ds_read2st64_b64 v[1:4], v33 offset1:1
	ds_read_b64 v[25:26], v33 offset:1024
	s_waitcnt lgkmcnt(0)
	s_barrier
	ds_write_b64 v5, v[15:16]
	ds_write_b64 v6, v[9:10]
	;; [unrolled: 1-line block ×3, first 2 shown]
	s_waitcnt lgkmcnt(0)
	s_barrier
	ds_read2st64_b64 v[5:8], v33 offset1:1
	ds_read_b64 v[27:28], v33 offset:1024
	v_add_co_u32_e32 v13, vcc, 8, v13
	v_addc_co_u32_e32 v14, vcc, 0, v14, vcc
	s_mov_b64 s[28:29], 0
	s_waitcnt lgkmcnt(0)
	s_barrier
	s_branch .LBB323_3
.LBB323_18:
	s_waitcnt lgkmcnt(1)
	v_add_co_u32_e32 v1, vcc, v3, v7
	v_addc_co_u32_e32 v2, vcc, v4, v8, vcc
	v_add_co_u32_e32 v3, vcc, v5, v9
	v_addc_co_u32_e32 v4, vcc, v6, v10, vcc
	s_waitcnt lgkmcnt(0)
	v_add_co_u32_e32 v5, vcc, v12, v14
	s_add_u32 s0, s30, s34
	v_addc_co_u32_e32 v6, vcc, v13, v15, vcc
	s_addc_u32 s1, s31, s35
	v_lshlrev_b32_e32 v0, 3, v0
	v_mov_b32_e32 v7, s1
	v_add_co_u32_e32 v8, vcc, s0, v0
	v_addc_co_u32_e32 v7, vcc, 0, v7, vcc
	global_store_dwordx2 v0, v[1:2], s[0:1]
	global_store_dwordx2 v0, v[3:4], s[0:1] offset:2560
	v_add_co_u32_e32 v0, vcc, 0x1000, v8
	v_addc_co_u32_e32 v1, vcc, 0, v7, vcc
	global_store_dwordx2 v[0:1], v[5:6], off offset:1024
	s_endpgm
	.section	.rodata,"a",@progbits
	.p2align	6, 0x0
	.amdhsa_kernel _Z17sort_pairs_kernelI22helper_blocked_stripedxLj320ELj3ELj10EEvPKT0_PS1_
		.amdhsa_group_segment_fixed_size 7680
		.amdhsa_private_segment_fixed_size 0
		.amdhsa_kernarg_size 272
		.amdhsa_user_sgpr_count 6
		.amdhsa_user_sgpr_private_segment_buffer 1
		.amdhsa_user_sgpr_dispatch_ptr 0
		.amdhsa_user_sgpr_queue_ptr 0
		.amdhsa_user_sgpr_kernarg_segment_ptr 1
		.amdhsa_user_sgpr_dispatch_id 0
		.amdhsa_user_sgpr_flat_scratch_init 0
		.amdhsa_user_sgpr_private_segment_size 0
		.amdhsa_uses_dynamic_stack 0
		.amdhsa_system_sgpr_private_segment_wavefront_offset 0
		.amdhsa_system_sgpr_workgroup_id_x 1
		.amdhsa_system_sgpr_workgroup_id_y 0
		.amdhsa_system_sgpr_workgroup_id_z 0
		.amdhsa_system_sgpr_workgroup_info 0
		.amdhsa_system_vgpr_workitem_id 2
		.amdhsa_next_free_vgpr 42
		.amdhsa_next_free_sgpr 40
		.amdhsa_reserve_vcc 1
		.amdhsa_reserve_flat_scratch 0
		.amdhsa_float_round_mode_32 0
		.amdhsa_float_round_mode_16_64 0
		.amdhsa_float_denorm_mode_32 3
		.amdhsa_float_denorm_mode_16_64 3
		.amdhsa_dx10_clamp 1
		.amdhsa_ieee_mode 1
		.amdhsa_fp16_overflow 0
		.amdhsa_exception_fp_ieee_invalid_op 0
		.amdhsa_exception_fp_denorm_src 0
		.amdhsa_exception_fp_ieee_div_zero 0
		.amdhsa_exception_fp_ieee_overflow 0
		.amdhsa_exception_fp_ieee_underflow 0
		.amdhsa_exception_fp_ieee_inexact 0
		.amdhsa_exception_int_div_zero 0
	.end_amdhsa_kernel
	.section	.text._Z17sort_pairs_kernelI22helper_blocked_stripedxLj320ELj3ELj10EEvPKT0_PS1_,"axG",@progbits,_Z17sort_pairs_kernelI22helper_blocked_stripedxLj320ELj3ELj10EEvPKT0_PS1_,comdat
.Lfunc_end323:
	.size	_Z17sort_pairs_kernelI22helper_blocked_stripedxLj320ELj3ELj10EEvPKT0_PS1_, .Lfunc_end323-_Z17sort_pairs_kernelI22helper_blocked_stripedxLj320ELj3ELj10EEvPKT0_PS1_
                                        ; -- End function
	.set _Z17sort_pairs_kernelI22helper_blocked_stripedxLj320ELj3ELj10EEvPKT0_PS1_.num_vgpr, 42
	.set _Z17sort_pairs_kernelI22helper_blocked_stripedxLj320ELj3ELj10EEvPKT0_PS1_.num_agpr, 0
	.set _Z17sort_pairs_kernelI22helper_blocked_stripedxLj320ELj3ELj10EEvPKT0_PS1_.numbered_sgpr, 40
	.set _Z17sort_pairs_kernelI22helper_blocked_stripedxLj320ELj3ELj10EEvPKT0_PS1_.num_named_barrier, 0
	.set _Z17sort_pairs_kernelI22helper_blocked_stripedxLj320ELj3ELj10EEvPKT0_PS1_.private_seg_size, 0
	.set _Z17sort_pairs_kernelI22helper_blocked_stripedxLj320ELj3ELj10EEvPKT0_PS1_.uses_vcc, 1
	.set _Z17sort_pairs_kernelI22helper_blocked_stripedxLj320ELj3ELj10EEvPKT0_PS1_.uses_flat_scratch, 0
	.set _Z17sort_pairs_kernelI22helper_blocked_stripedxLj320ELj3ELj10EEvPKT0_PS1_.has_dyn_sized_stack, 0
	.set _Z17sort_pairs_kernelI22helper_blocked_stripedxLj320ELj3ELj10EEvPKT0_PS1_.has_recursion, 0
	.set _Z17sort_pairs_kernelI22helper_blocked_stripedxLj320ELj3ELj10EEvPKT0_PS1_.has_indirect_call, 0
	.section	.AMDGPU.csdata,"",@progbits
; Kernel info:
; codeLenInByte = 2576
; TotalNumSgprs: 44
; NumVgprs: 42
; ScratchSize: 0
; MemoryBound: 0
; FloatMode: 240
; IeeeMode: 1
; LDSByteSize: 7680 bytes/workgroup (compile time only)
; SGPRBlocks: 5
; VGPRBlocks: 10
; NumSGPRsForWavesPerEU: 44
; NumVGPRsForWavesPerEU: 42
; Occupancy: 5
; WaveLimiterHint : 1
; COMPUTE_PGM_RSRC2:SCRATCH_EN: 0
; COMPUTE_PGM_RSRC2:USER_SGPR: 6
; COMPUTE_PGM_RSRC2:TRAP_HANDLER: 0
; COMPUTE_PGM_RSRC2:TGID_X_EN: 1
; COMPUTE_PGM_RSRC2:TGID_Y_EN: 0
; COMPUTE_PGM_RSRC2:TGID_Z_EN: 0
; COMPUTE_PGM_RSRC2:TIDIG_COMP_CNT: 2
	.section	.text._Z16sort_keys_kernelI22helper_blocked_stripedxLj320ELj4ELj10EEvPKT0_PS1_,"axG",@progbits,_Z16sort_keys_kernelI22helper_blocked_stripedxLj320ELj4ELj10EEvPKT0_PS1_,comdat
	.protected	_Z16sort_keys_kernelI22helper_blocked_stripedxLj320ELj4ELj10EEvPKT0_PS1_ ; -- Begin function _Z16sort_keys_kernelI22helper_blocked_stripedxLj320ELj4ELj10EEvPKT0_PS1_
	.globl	_Z16sort_keys_kernelI22helper_blocked_stripedxLj320ELj4ELj10EEvPKT0_PS1_
	.p2align	8
	.type	_Z16sort_keys_kernelI22helper_blocked_stripedxLj320ELj4ELj10EEvPKT0_PS1_,@function
_Z16sort_keys_kernelI22helper_blocked_stripedxLj320ELj4ELj10EEvPKT0_PS1_: ; @_Z16sort_keys_kernelI22helper_blocked_stripedxLj320ELj4ELj10EEvPKT0_PS1_
; %bb.0:
	s_load_dwordx4 s[40:43], s[4:5], 0x0
	s_load_dword s8, s[4:5], 0x1c
	s_mul_i32 s44, s6, 0x500
	s_mov_b32 s45, 0
	s_lshl_b64 s[46:47], s[44:45], 3
	s_waitcnt lgkmcnt(0)
	s_add_u32 s0, s40, s46
	s_addc_u32 s1, s41, s47
	v_lshlrev_b32_e32 v11, 5, v0
	global_load_dwordx4 v[3:6], v11, s[0:1] offset:16
	global_load_dwordx4 v[7:10], v11, s[0:1]
	s_lshr_b32 s9, s8, 16
	v_mbcnt_lo_u32_b32 v11, -1, 0
	s_and_b32 s8, s8, 0xffff
	v_mad_u32_u24 v1, v2, s9, v1
	v_mbcnt_hi_u32_b32 v11, -1, v11
	v_mad_u64_u32 v[1:2], s[8:9], v1, s8, v[0:1]
	v_and_b32_e32 v2, 15, v11
	v_cmp_eq_u32_e64 s[8:9], 0, v2
	v_cmp_lt_u32_e64 s[10:11], 1, v2
	v_cmp_lt_u32_e64 s[12:13], 3, v2
	;; [unrolled: 1-line block ×3, first 2 shown]
	v_and_b32_e32 v2, 16, v11
	v_cmp_eq_u32_e64 s[16:17], 0, v2
	v_and_b32_e32 v2, 0x1c0, v0
	v_min_u32_e32 v2, 0x100, v2
	v_and_b32_e32 v13, 3, v11
	v_or_b32_e32 v2, 63, v2
	v_cmp_eq_u32_e64 s[0:1], 3, v13
	v_cmp_eq_u32_e64 s[2:3], 2, v13
	;; [unrolled: 1-line block ×4, first 2 shown]
	v_and_b32_e32 v13, 64, v11
	v_cmp_eq_u32_e64 s[20:21], v0, v2
	v_subrev_co_u32_e64 v2, s[26:27], 1, v11
	v_cmp_lt_i32_e32 vcc, v2, v13
	v_cndmask_b32_e32 v2, v2, v11, vcc
	v_lshlrev_b32_e32 v27, 2, v2
	v_lshrrev_b32_e32 v2, 4, v0
	v_lshlrev_b32_e32 v21, 2, v0
	v_lshrrev_b32_e32 v12, 2, v11
	v_and_b32_e32 v28, 28, v2
	v_and_b32_e32 v2, 7, v11
	s_movk_i32 s33, 0x700
	v_or_b32_e32 v14, v12, v13
	v_add_u32_e32 v12, 48, v12
	v_cmp_eq_u32_e64 s[30:31], 0, v2
	v_cmp_lt_u32_e64 s[34:35], 1, v2
	v_cmp_lt_u32_e64 s[36:37], 3, v2
	v_and_or_b32 v2, v21, s33, v11
	v_and_or_b32 v12, v12, 63, v13
	v_cmp_lt_u32_e64 s[18:19], 31, v11
	v_lshrrev_b32_e32 v11, 2, v2
	v_lshlrev_b32_e32 v25, 2, v12
	v_and_b32_e32 v11, 0x1d8, v11
	v_lshlrev_b32_e32 v12, 3, v2
	v_add_u32_e32 v31, v11, v12
	v_add_u32_e32 v11, 64, v2
	v_lshrrev_b32_e32 v11, 2, v11
	v_and_b32_e32 v11, 0x1f8, v11
	v_add_u32_e32 v32, v11, v12
	v_or_b32_e32 v11, 0x80, v2
	v_add_u32_e32 v2, 0xc0, v2
	v_lshrrev_b32_e32 v11, 2, v11
	v_lshrrev_b32_e32 v2, 2, v2
	v_lshlrev_b32_e32 v22, 2, v14
	v_lshlrev_b32_e32 v26, 4, v0
	v_and_b32_e32 v11, 0x1f8, v11
	v_and_b32_e32 v2, 0x3f8, v2
	v_lshrrev_b32_e32 v1, 4, v1
	v_add_u32_e32 v23, 64, v22
	v_or_b32_e32 v24, 0x80, v22
	v_cmp_gt_u32_e64 s[22:23], 5, v0
	v_cmp_lt_u32_e64 s[24:25], 63, v0
	v_cmp_eq_u32_e64 s[28:29], 0, v0
	v_mad_i32_i24 v29, v0, -12, v26
	v_add_u32_e32 v30, -4, v28
	v_add_u32_e32 v33, v11, v12
	v_add_u32_e32 v34, v2, v12
	v_and_b32_e32 v35, 0xffffffc, v1
	v_mov_b32_e32 v1, 0
	v_mov_b32_e32 v36, 20
	s_branch .LBB324_2
.LBB324_1:                              ;   in Loop: Header=BB324_2 Depth=1
	v_lshlrev_b32_e32 v7, 3, v42
	s_barrier
	ds_write_b64 v7, v[11:12]
	v_lshlrev_b32_e32 v7, 3, v40
	ds_write_b64 v7, v[9:10]
	v_lshlrev_b32_e32 v7, 3, v37
	v_lshlrev_b32_e32 v2, 3, v2
	ds_write_b64 v7, v[5:6]
	ds_write_b64 v2, v[3:4]
	v_add_u32_e32 v2, v29, v21
	s_waitcnt lgkmcnt(0)
	s_barrier
	ds_read2st64_b64 v[7:10], v2 offset1:5
	ds_read2st64_b64 v[3:6], v2 offset0:10 offset1:15
	s_add_i32 s45, s45, 1
	s_cmp_eq_u32 s45, 10
	s_waitcnt lgkmcnt(1)
	v_xor_b32_e32 v8, 0x80000000, v8
	v_xor_b32_e32 v10, 0x80000000, v10
	s_waitcnt lgkmcnt(0)
	v_xor_b32_e32 v4, 0x80000000, v4
	v_xor_b32_e32 v6, 0x80000000, v6
	s_cbranch_scc1 .LBB324_20
.LBB324_2:                              ; =>This Loop Header: Depth=1
                                        ;     Child Loop BB324_4 Depth 2
	s_waitcnt vmcnt(0)
	v_xor_b32_e32 v2, 0x80000000, v8
	ds_bpermute_b32 v8, v22, v7
	ds_bpermute_b32 v11, v22, v2
	v_xor_b32_e32 v10, 0x80000000, v10
	ds_bpermute_b32 v12, v22, v9
	ds_bpermute_b32 v13, v22, v10
	v_xor_b32_e32 v4, 0x80000000, v4
	ds_bpermute_b32 v14, v22, v4
	s_waitcnt lgkmcnt(4)
	v_cndmask_b32_e64 v8, 0, v8, s[6:7]
	s_waitcnt lgkmcnt(3)
	v_cndmask_b32_e64 v11, 0, v11, s[6:7]
	ds_bpermute_b32 v15, v22, v3
	s_waitcnt lgkmcnt(3)
	v_cndmask_b32_e64 v8, v8, v12, s[4:5]
	s_waitcnt lgkmcnt(2)
	v_cndmask_b32_e64 v11, v11, v13, s[4:5]
	ds_bpermute_b32 v12, v22, v5
	v_xor_b32_e32 v6, 0x80000000, v6
	s_waitcnt lgkmcnt(2)
	v_cndmask_b32_e64 v11, v11, v14, s[2:3]
	ds_bpermute_b32 v14, v22, v6
	s_waitcnt lgkmcnt(2)
	v_cndmask_b32_e64 v8, v8, v15, s[2:3]
	s_waitcnt lgkmcnt(1)
	v_cndmask_b32_e64 v13, v8, v12, s[0:1]
	ds_bpermute_b32 v8, v23, v2
	ds_bpermute_b32 v12, v23, v7
	;; [unrolled: 1-line block ×3, first 2 shown]
	s_waitcnt lgkmcnt(3)
	v_cndmask_b32_e64 v14, v11, v14, s[0:1]
	ds_bpermute_b32 v11, v23, v10
	s_waitcnt lgkmcnt(3)
	v_cndmask_b32_e64 v8, 0, v8, s[6:7]
	s_waitcnt lgkmcnt(2)
	v_cndmask_b32_e64 v12, 0, v12, s[6:7]
	;; [unrolled: 2-line block ×3, first 2 shown]
	ds_bpermute_b32 v15, v23, v4
	s_waitcnt lgkmcnt(1)
	v_cndmask_b32_e64 v8, v8, v11, s[4:5]
	ds_bpermute_b32 v11, v23, v3
	ds_bpermute_b32 v16, v23, v5
	;; [unrolled: 1-line block ×3, first 2 shown]
	s_waitcnt lgkmcnt(3)
	v_cndmask_b32_e64 v8, v8, v15, s[2:3]
	ds_bpermute_b32 v18, v24, v2
	s_waitcnt lgkmcnt(3)
	v_cndmask_b32_e64 v11, v12, v11, s[2:3]
	s_waitcnt lgkmcnt(2)
	v_cndmask_b32_e64 v15, v11, v16, s[0:1]
	;; [unrolled: 2-line block ×3, first 2 shown]
	ds_bpermute_b32 v8, v24, v7
	ds_bpermute_b32 v12, v24, v9
	;; [unrolled: 1-line block ×4, first 2 shown]
	s_waitcnt lgkmcnt(4)
	v_cndmask_b32_e64 v11, 0, v18, s[6:7]
	s_waitcnt lgkmcnt(3)
	v_cndmask_b32_e64 v8, 0, v8, s[6:7]
	;; [unrolled: 2-line block ×3, first 2 shown]
	ds_bpermute_b32 v12, v24, v5
	ds_bpermute_b32 v18, v24, v4
	s_waitcnt lgkmcnt(3)
	v_cndmask_b32_e64 v8, v8, v19, s[2:3]
	ds_bpermute_b32 v2, v25, v2
	ds_bpermute_b32 v7, v25, v7
	s_waitcnt lgkmcnt(4)
	v_cndmask_b32_e64 v11, v11, v17, s[4:5]
	s_waitcnt lgkmcnt(3)
	v_cndmask_b32_e64 v17, v8, v12, s[0:1]
	ds_bpermute_b32 v8, v25, v9
	ds_bpermute_b32 v9, v25, v10
	;; [unrolled: 1-line block ×4, first 2 shown]
	s_waitcnt lgkmcnt(6)
	v_cndmask_b32_e64 v11, v11, v18, s[2:3]
	ds_bpermute_b32 v18, v24, v6
	ds_bpermute_b32 v5, v25, v5
	;; [unrolled: 1-line block ×3, first 2 shown]
	s_waitcnt lgkmcnt(8)
	v_cndmask_b32_e64 v2, 0, v2, s[6:7]
	s_waitcnt lgkmcnt(7)
	v_cndmask_b32_e64 v7, 0, v7, s[6:7]
	;; [unrolled: 2-line block ×6, first 2 shown]
	v_mov_b32_e32 v7, 0
	s_waitcnt lgkmcnt(2)
	v_cndmask_b32_e64 v18, v11, v18, s[0:1]
	s_waitcnt lgkmcnt(1)
	v_cndmask_b32_e64 v19, v3, v5, s[0:1]
	;; [unrolled: 2-line block ×3, first 2 shown]
	v_mov_b32_e32 v8, 0
	s_barrier
	s_branch .LBB324_4
.LBB324_3:                              ;   in Loop: Header=BB324_4 Depth=2
	s_andn2_b64 vcc, exec, s[38:39]
	s_cbranch_vccz .LBB324_1
.LBB324_4:                              ;   Parent Loop BB324_2 Depth=1
                                        ; =>  This Inner Loop Header: Depth=2
	v_mov_b32_e32 v11, v13
	v_mov_b32_e32 v12, v14
	v_lshrrev_b64 v[13:14], v7, v[11:12]
	v_mov_b32_e32 v9, v15
	v_and_b32_e32 v2, 1, v13
	v_add_co_u32_e32 v14, vcc, -1, v2
	v_mov_b32_e32 v10, v16
	v_addc_co_u32_e64 v16, s[38:39], 0, -1, vcc
	v_cmp_ne_u32_e32 vcc, 0, v2
	v_xor_b32_e32 v2, vcc_hi, v16
	v_and_b32_e32 v16, exec_hi, v2
	v_lshlrev_b32_e32 v2, 30, v13
	v_xor_b32_e32 v14, vcc_lo, v14
	v_cmp_gt_i64_e32 vcc, 0, v[1:2]
	v_not_b32_e32 v2, v2
	v_mov_b32_e32 v5, v17
	v_ashrrev_i32_e32 v2, 31, v2
	v_mov_b32_e32 v6, v18
	v_and_b32_e32 v14, exec_lo, v14
	v_xor_b32_e32 v17, vcc_hi, v2
	v_xor_b32_e32 v2, vcc_lo, v2
	v_and_b32_e32 v14, v14, v2
	v_lshlrev_b32_e32 v2, 29, v13
	v_cmp_gt_i64_e32 vcc, 0, v[1:2]
	v_not_b32_e32 v2, v2
	v_ashrrev_i32_e32 v2, 31, v2
	v_and_b32_e32 v16, v16, v17
	v_xor_b32_e32 v17, vcc_hi, v2
	v_xor_b32_e32 v2, vcc_lo, v2
	v_and_b32_e32 v14, v14, v2
	v_lshlrev_b32_e32 v2, 28, v13
	v_cmp_gt_i64_e32 vcc, 0, v[1:2]
	v_not_b32_e32 v2, v2
	v_ashrrev_i32_e32 v2, 31, v2
	v_and_b32_e32 v16, v16, v17
	v_xor_b32_e32 v17, vcc_hi, v2
	v_xor_b32_e32 v2, vcc_lo, v2
	v_and_b32_e32 v14, v14, v2
	v_lshlrev_b32_e32 v2, 27, v13
	v_cmp_gt_i64_e32 vcc, 0, v[1:2]
	v_not_b32_e32 v2, v2
	v_ashrrev_i32_e32 v2, 31, v2
	v_and_b32_e32 v16, v16, v17
	v_xor_b32_e32 v17, vcc_hi, v2
	v_xor_b32_e32 v2, vcc_lo, v2
	v_and_b32_e32 v14, v14, v2
	v_lshlrev_b32_e32 v2, 26, v13
	v_cmp_gt_i64_e32 vcc, 0, v[1:2]
	v_not_b32_e32 v2, v2
	v_ashrrev_i32_e32 v2, 31, v2
	v_and_b32_e32 v16, v16, v17
	v_xor_b32_e32 v17, vcc_hi, v2
	v_xor_b32_e32 v2, vcc_lo, v2
	v_and_b32_e32 v14, v14, v2
	v_lshlrev_b32_e32 v2, 25, v13
	v_cmp_gt_i64_e32 vcc, 0, v[1:2]
	v_not_b32_e32 v2, v2
	v_ashrrev_i32_e32 v2, 31, v2
	v_and_b32_e32 v16, v16, v17
	v_xor_b32_e32 v17, vcc_hi, v2
	v_xor_b32_e32 v2, vcc_lo, v2
	v_and_b32_e32 v16, v16, v17
	v_and_b32_e32 v17, v14, v2
	v_lshlrev_b32_e32 v2, 24, v13
	v_cmp_gt_i64_e32 vcc, 0, v[1:2]
	v_not_b32_e32 v2, v2
	v_ashrrev_i32_e32 v2, 31, v2
	v_mul_u32_u24_sdwa v15, v13, v36 dst_sel:DWORD dst_unused:UNUSED_PAD src0_sel:BYTE_0 src1_sel:DWORD
	v_xor_b32_e32 v13, vcc_hi, v2
	v_xor_b32_e32 v2, vcc_lo, v2
	v_and_b32_e32 v14, v16, v13
	v_and_b32_e32 v13, v17, v2
	v_mbcnt_lo_u32_b32 v2, v13, 0
	v_mbcnt_hi_u32_b32 v17, v14, v2
	v_cmp_ne_u64_e32 vcc, 0, v[13:14]
	v_mov_b32_e32 v3, v19
	v_cmp_eq_u32_e64 s[38:39], 0, v17
	v_mov_b32_e32 v4, v20
	s_and_b64 s[40:41], vcc, s[38:39]
	v_add_u32_e32 v18, v35, v15
	ds_write2_b32 v26, v1, v1 offset0:5 offset1:6
	ds_write2_b32 v26, v1, v1 offset0:7 offset1:8
	s_waitcnt lgkmcnt(0)
	s_barrier
	; wave barrier
	s_and_saveexec_b64 s[38:39], s[40:41]
; %bb.5:                                ;   in Loop: Header=BB324_4 Depth=2
	v_bcnt_u32_b32 v2, v13, 0
	v_bcnt_u32_b32 v2, v14, v2
	ds_write_b32 v18, v2 offset:20
; %bb.6:                                ;   in Loop: Header=BB324_4 Depth=2
	s_or_b64 exec, exec, s[38:39]
	v_lshrrev_b64 v[13:14], v7, v[9:10]
	v_and_b32_e32 v2, 0xff, v13
	v_mul_u32_u24_e32 v15, 20, v2
	v_mad_u32_u24 v2, v2, 20, v35
	; wave barrier
	ds_read_b32 v19, v2 offset:20
	v_and_b32_e32 v2, 1, v13
	v_add_co_u32_e32 v14, vcc, -1, v2
	v_addc_co_u32_e64 v16, s[38:39], 0, -1, vcc
	v_cmp_ne_u32_e32 vcc, 0, v2
	v_xor_b32_e32 v2, vcc_hi, v16
	v_and_b32_e32 v16, exec_hi, v2
	v_lshlrev_b32_e32 v2, 30, v13
	v_xor_b32_e32 v14, vcc_lo, v14
	v_cmp_gt_i64_e32 vcc, 0, v[1:2]
	v_not_b32_e32 v2, v2
	v_ashrrev_i32_e32 v2, 31, v2
	v_and_b32_e32 v14, exec_lo, v14
	v_xor_b32_e32 v20, vcc_hi, v2
	v_xor_b32_e32 v2, vcc_lo, v2
	v_and_b32_e32 v14, v14, v2
	v_lshlrev_b32_e32 v2, 29, v13
	v_cmp_gt_i64_e32 vcc, 0, v[1:2]
	v_not_b32_e32 v2, v2
	v_ashrrev_i32_e32 v2, 31, v2
	v_and_b32_e32 v16, v16, v20
	v_xor_b32_e32 v20, vcc_hi, v2
	v_xor_b32_e32 v2, vcc_lo, v2
	v_and_b32_e32 v14, v14, v2
	v_lshlrev_b32_e32 v2, 28, v13
	v_cmp_gt_i64_e32 vcc, 0, v[1:2]
	v_not_b32_e32 v2, v2
	v_ashrrev_i32_e32 v2, 31, v2
	v_and_b32_e32 v16, v16, v20
	;; [unrolled: 8-line block ×5, first 2 shown]
	v_xor_b32_e32 v20, vcc_hi, v2
	v_xor_b32_e32 v2, vcc_lo, v2
	v_and_b32_e32 v16, v16, v20
	v_and_b32_e32 v20, v14, v2
	v_lshlrev_b32_e32 v2, 24, v13
	v_cmp_gt_i64_e32 vcc, 0, v[1:2]
	v_not_b32_e32 v2, v2
	v_ashrrev_i32_e32 v2, 31, v2
	v_xor_b32_e32 v13, vcc_hi, v2
	v_xor_b32_e32 v2, vcc_lo, v2
	v_and_b32_e32 v14, v16, v13
	v_and_b32_e32 v13, v20, v2
	v_mbcnt_lo_u32_b32 v2, v13, 0
	v_mbcnt_hi_u32_b32 v20, v14, v2
	v_cmp_ne_u64_e32 vcc, 0, v[13:14]
	v_cmp_eq_u32_e64 s[38:39], 0, v20
	s_and_b64 s[40:41], vcc, s[38:39]
	v_add_u32_e32 v37, v35, v15
	; wave barrier
	s_and_saveexec_b64 s[38:39], s[40:41]
	s_cbranch_execz .LBB324_8
; %bb.7:                                ;   in Loop: Header=BB324_4 Depth=2
	v_bcnt_u32_b32 v2, v13, 0
	v_bcnt_u32_b32 v2, v14, v2
	s_waitcnt lgkmcnt(0)
	v_add_u32_e32 v2, v19, v2
	ds_write_b32 v37, v2 offset:20
.LBB324_8:                              ;   in Loop: Header=BB324_4 Depth=2
	s_or_b64 exec, exec, s[38:39]
	v_lshrrev_b64 v[13:14], v7, v[5:6]
	v_and_b32_e32 v2, 0xff, v13
	v_mul_u32_u24_e32 v15, 20, v2
	v_mad_u32_u24 v2, v2, 20, v35
	; wave barrier
	ds_read_b32 v38, v2 offset:20
	v_and_b32_e32 v2, 1, v13
	v_add_co_u32_e32 v14, vcc, -1, v2
	v_addc_co_u32_e64 v16, s[38:39], 0, -1, vcc
	v_cmp_ne_u32_e32 vcc, 0, v2
	v_xor_b32_e32 v2, vcc_hi, v16
	v_and_b32_e32 v16, exec_hi, v2
	v_lshlrev_b32_e32 v2, 30, v13
	v_xor_b32_e32 v14, vcc_lo, v14
	v_cmp_gt_i64_e32 vcc, 0, v[1:2]
	v_not_b32_e32 v2, v2
	v_ashrrev_i32_e32 v2, 31, v2
	v_and_b32_e32 v14, exec_lo, v14
	v_xor_b32_e32 v39, vcc_hi, v2
	v_xor_b32_e32 v2, vcc_lo, v2
	v_and_b32_e32 v14, v14, v2
	v_lshlrev_b32_e32 v2, 29, v13
	v_cmp_gt_i64_e32 vcc, 0, v[1:2]
	v_not_b32_e32 v2, v2
	v_ashrrev_i32_e32 v2, 31, v2
	v_and_b32_e32 v16, v16, v39
	v_xor_b32_e32 v39, vcc_hi, v2
	v_xor_b32_e32 v2, vcc_lo, v2
	v_and_b32_e32 v14, v14, v2
	v_lshlrev_b32_e32 v2, 28, v13
	v_cmp_gt_i64_e32 vcc, 0, v[1:2]
	v_not_b32_e32 v2, v2
	v_ashrrev_i32_e32 v2, 31, v2
	v_and_b32_e32 v16, v16, v39
	;; [unrolled: 8-line block ×5, first 2 shown]
	v_xor_b32_e32 v39, vcc_hi, v2
	v_xor_b32_e32 v2, vcc_lo, v2
	v_and_b32_e32 v16, v16, v39
	v_and_b32_e32 v39, v14, v2
	v_lshlrev_b32_e32 v2, 24, v13
	v_cmp_gt_i64_e32 vcc, 0, v[1:2]
	v_not_b32_e32 v2, v2
	v_ashrrev_i32_e32 v2, 31, v2
	v_xor_b32_e32 v13, vcc_hi, v2
	v_xor_b32_e32 v2, vcc_lo, v2
	v_and_b32_e32 v14, v16, v13
	v_and_b32_e32 v13, v39, v2
	v_mbcnt_lo_u32_b32 v2, v13, 0
	v_mbcnt_hi_u32_b32 v39, v14, v2
	v_cmp_ne_u64_e32 vcc, 0, v[13:14]
	v_cmp_eq_u32_e64 s[38:39], 0, v39
	s_and_b64 s[40:41], vcc, s[38:39]
	v_add_u32_e32 v40, v35, v15
	; wave barrier
	s_and_saveexec_b64 s[38:39], s[40:41]
	s_cbranch_execz .LBB324_10
; %bb.9:                                ;   in Loop: Header=BB324_4 Depth=2
	v_bcnt_u32_b32 v2, v13, 0
	v_bcnt_u32_b32 v2, v14, v2
	s_waitcnt lgkmcnt(0)
	v_add_u32_e32 v2, v38, v2
	ds_write_b32 v40, v2 offset:20
.LBB324_10:                             ;   in Loop: Header=BB324_4 Depth=2
	s_or_b64 exec, exec, s[38:39]
	v_lshrrev_b64 v[13:14], v7, v[3:4]
	v_and_b32_e32 v2, 0xff, v13
	v_mul_u32_u24_e32 v15, 20, v2
	v_mad_u32_u24 v2, v2, 20, v35
	; wave barrier
	ds_read_b32 v41, v2 offset:20
	v_and_b32_e32 v2, 1, v13
	v_add_co_u32_e32 v14, vcc, -1, v2
	v_addc_co_u32_e64 v16, s[38:39], 0, -1, vcc
	v_cmp_ne_u32_e32 vcc, 0, v2
	v_xor_b32_e32 v2, vcc_hi, v16
	v_and_b32_e32 v16, exec_hi, v2
	v_lshlrev_b32_e32 v2, 30, v13
	v_xor_b32_e32 v14, vcc_lo, v14
	v_cmp_gt_i64_e32 vcc, 0, v[1:2]
	v_not_b32_e32 v2, v2
	v_ashrrev_i32_e32 v2, 31, v2
	v_and_b32_e32 v14, exec_lo, v14
	v_xor_b32_e32 v42, vcc_hi, v2
	v_xor_b32_e32 v2, vcc_lo, v2
	v_and_b32_e32 v14, v14, v2
	v_lshlrev_b32_e32 v2, 29, v13
	v_cmp_gt_i64_e32 vcc, 0, v[1:2]
	v_not_b32_e32 v2, v2
	v_ashrrev_i32_e32 v2, 31, v2
	v_and_b32_e32 v16, v16, v42
	v_xor_b32_e32 v42, vcc_hi, v2
	v_xor_b32_e32 v2, vcc_lo, v2
	v_and_b32_e32 v14, v14, v2
	v_lshlrev_b32_e32 v2, 28, v13
	v_cmp_gt_i64_e32 vcc, 0, v[1:2]
	v_not_b32_e32 v2, v2
	v_ashrrev_i32_e32 v2, 31, v2
	v_and_b32_e32 v16, v16, v42
	;; [unrolled: 8-line block ×5, first 2 shown]
	v_xor_b32_e32 v42, vcc_hi, v2
	v_xor_b32_e32 v2, vcc_lo, v2
	v_and_b32_e32 v16, v16, v42
	v_and_b32_e32 v42, v14, v2
	v_lshlrev_b32_e32 v2, 24, v13
	v_cmp_gt_i64_e32 vcc, 0, v[1:2]
	v_not_b32_e32 v2, v2
	v_ashrrev_i32_e32 v2, 31, v2
	v_xor_b32_e32 v13, vcc_hi, v2
	v_xor_b32_e32 v2, vcc_lo, v2
	v_and_b32_e32 v14, v16, v13
	v_and_b32_e32 v13, v42, v2
	v_mbcnt_lo_u32_b32 v2, v13, 0
	v_mbcnt_hi_u32_b32 v2, v14, v2
	v_cmp_ne_u64_e32 vcc, 0, v[13:14]
	v_cmp_eq_u32_e64 s[38:39], 0, v2
	s_and_b64 s[40:41], vcc, s[38:39]
	v_add_u32_e32 v42, v35, v15
	; wave barrier
	s_and_saveexec_b64 s[38:39], s[40:41]
	s_cbranch_execz .LBB324_12
; %bb.11:                               ;   in Loop: Header=BB324_4 Depth=2
	v_bcnt_u32_b32 v13, v13, 0
	v_bcnt_u32_b32 v13, v14, v13
	s_waitcnt lgkmcnt(0)
	v_add_u32_e32 v13, v41, v13
	ds_write_b32 v42, v13 offset:20
.LBB324_12:                             ;   in Loop: Header=BB324_4 Depth=2
	s_or_b64 exec, exec, s[38:39]
	; wave barrier
	s_waitcnt lgkmcnt(0)
	s_barrier
	ds_read2_b32 v[15:16], v26 offset0:5 offset1:6
	ds_read2_b32 v[13:14], v26 offset0:7 offset1:8
	s_waitcnt lgkmcnt(1)
	v_add_u32_e32 v43, v16, v15
	s_waitcnt lgkmcnt(0)
	v_add3_u32 v14, v43, v13, v14
	s_nop 1
	v_mov_b32_dpp v43, v14 row_shr:1 row_mask:0xf bank_mask:0xf
	v_cndmask_b32_e64 v43, v43, 0, s[8:9]
	v_add_u32_e32 v14, v43, v14
	s_nop 1
	v_mov_b32_dpp v43, v14 row_shr:2 row_mask:0xf bank_mask:0xf
	v_cndmask_b32_e64 v43, 0, v43, s[10:11]
	v_add_u32_e32 v14, v14, v43
	;; [unrolled: 4-line block ×4, first 2 shown]
	s_nop 1
	v_mov_b32_dpp v43, v14 row_bcast:15 row_mask:0xf bank_mask:0xf
	v_cndmask_b32_e64 v43, v43, 0, s[16:17]
	v_add_u32_e32 v14, v14, v43
	s_nop 1
	v_mov_b32_dpp v43, v14 row_bcast:31 row_mask:0xf bank_mask:0xf
	v_cndmask_b32_e64 v43, 0, v43, s[18:19]
	v_add_u32_e32 v14, v14, v43
	s_and_saveexec_b64 s[38:39], s[20:21]
; %bb.13:                               ;   in Loop: Header=BB324_4 Depth=2
	ds_write_b32 v28, v14
; %bb.14:                               ;   in Loop: Header=BB324_4 Depth=2
	s_or_b64 exec, exec, s[38:39]
	s_waitcnt lgkmcnt(0)
	s_barrier
	s_and_saveexec_b64 s[38:39], s[22:23]
	s_cbranch_execz .LBB324_16
; %bb.15:                               ;   in Loop: Header=BB324_4 Depth=2
	ds_read_b32 v43, v29
	s_waitcnt lgkmcnt(0)
	s_nop 0
	v_mov_b32_dpp v44, v43 row_shr:1 row_mask:0xf bank_mask:0xf
	v_cndmask_b32_e64 v44, v44, 0, s[30:31]
	v_add_u32_e32 v43, v44, v43
	s_nop 1
	v_mov_b32_dpp v44, v43 row_shr:2 row_mask:0xf bank_mask:0xf
	v_cndmask_b32_e64 v44, 0, v44, s[34:35]
	v_add_u32_e32 v43, v43, v44
	;; [unrolled: 4-line block ×3, first 2 shown]
	ds_write_b32 v29, v43
.LBB324_16:                             ;   in Loop: Header=BB324_4 Depth=2
	s_or_b64 exec, exec, s[38:39]
	v_mov_b32_e32 v43, 0
	s_waitcnt lgkmcnt(0)
	s_barrier
	s_and_saveexec_b64 s[38:39], s[24:25]
; %bb.17:                               ;   in Loop: Header=BB324_4 Depth=2
	ds_read_b32 v43, v30
; %bb.18:                               ;   in Loop: Header=BB324_4 Depth=2
	s_or_b64 exec, exec, s[38:39]
	s_waitcnt lgkmcnt(0)
	v_add_u32_e32 v14, v43, v14
	ds_bpermute_b32 v14, v27, v14
	v_cmp_lt_u32_e32 vcc, 55, v7
	s_and_b64 vcc, exec, vcc
	s_mov_b64 s[38:39], -1
	s_waitcnt lgkmcnt(0)
	v_cndmask_b32_e64 v14, v14, v43, s[26:27]
	v_cndmask_b32_e64 v14, v14, 0, s[28:29]
	v_add_u32_e32 v15, v14, v15
	v_add_u32_e32 v16, v15, v16
	;; [unrolled: 1-line block ×3, first 2 shown]
	ds_write2_b32 v26, v14, v15 offset0:5 offset1:6
	ds_write2_b32 v26, v16, v13 offset0:7 offset1:8
	s_waitcnt lgkmcnt(0)
	s_barrier
	ds_read_b32 v13, v18 offset:20
	ds_read_b32 v14, v37 offset:20
	;; [unrolled: 1-line block ×4, first 2 shown]
	s_waitcnt lgkmcnt(3)
	v_add_u32_e32 v42, v13, v17
	s_waitcnt lgkmcnt(2)
	v_add3_u32 v40, v20, v19, v14
	s_waitcnt lgkmcnt(1)
	v_add3_u32 v37, v39, v38, v15
	;; [unrolled: 2-line block ×3, first 2 shown]
                                        ; implicit-def: $vgpr19_vgpr20
                                        ; implicit-def: $vgpr17_vgpr18
                                        ; implicit-def: $vgpr15_vgpr16
                                        ; implicit-def: $vgpr13_vgpr14
	s_cbranch_vccnz .LBB324_3
; %bb.19:                               ;   in Loop: Header=BB324_4 Depth=2
	v_lshrrev_b32_e32 v13, 2, v42
	v_and_b32_e32 v13, 0x3ffffff8, v13
	v_lshl_add_u32 v13, v42, 3, v13
	s_barrier
	ds_write_b64 v13, v[11:12]
	v_lshrrev_b32_e32 v13, 2, v40
	v_and_b32_e32 v13, 0x3ffffff8, v13
	v_lshl_add_u32 v13, v40, 3, v13
	ds_write_b64 v13, v[9:10]
	v_lshrrev_b32_e32 v13, 2, v37
	v_and_b32_e32 v13, 0x3ffffff8, v13
	v_lshl_add_u32 v13, v37, 3, v13
	;; [unrolled: 4-line block ×3, first 2 shown]
	ds_write_b64 v13, v[3:4]
	s_waitcnt lgkmcnt(0)
	s_barrier
	ds_read_b64 v[13:14], v31
	ds_read_b64 v[15:16], v32 offset:512
	ds_read_b64 v[17:18], v33 offset:1024
	;; [unrolled: 1-line block ×3, first 2 shown]
	v_add_co_u32_e32 v7, vcc, 8, v7
	v_addc_co_u32_e32 v8, vcc, 0, v8, vcc
	s_mov_b64 s[38:39], 0
	s_waitcnt lgkmcnt(0)
	s_barrier
	s_branch .LBB324_3
.LBB324_20:
	s_add_u32 s0, s42, s46
	s_addc_u32 s1, s43, s47
	v_lshlrev_b32_e32 v0, 3, v0
	v_mov_b32_e32 v1, s1
	v_add_co_u32_e32 v2, vcc, s0, v0
	v_addc_co_u32_e32 v1, vcc, 0, v1, vcc
	global_store_dwordx2 v0, v[7:8], s[0:1]
	global_store_dwordx2 v0, v[9:10], s[0:1] offset:2560
	v_add_co_u32_e32 v0, vcc, 0x1000, v2
	v_addc_co_u32_e32 v1, vcc, 0, v1, vcc
	global_store_dwordx2 v[0:1], v[3:4], off offset:1024
	global_store_dwordx2 v[0:1], v[5:6], off offset:3584
	s_endpgm
	.section	.rodata,"a",@progbits
	.p2align	6, 0x0
	.amdhsa_kernel _Z16sort_keys_kernelI22helper_blocked_stripedxLj320ELj4ELj10EEvPKT0_PS1_
		.amdhsa_group_segment_fixed_size 10560
		.amdhsa_private_segment_fixed_size 0
		.amdhsa_kernarg_size 272
		.amdhsa_user_sgpr_count 6
		.amdhsa_user_sgpr_private_segment_buffer 1
		.amdhsa_user_sgpr_dispatch_ptr 0
		.amdhsa_user_sgpr_queue_ptr 0
		.amdhsa_user_sgpr_kernarg_segment_ptr 1
		.amdhsa_user_sgpr_dispatch_id 0
		.amdhsa_user_sgpr_flat_scratch_init 0
		.amdhsa_user_sgpr_private_segment_size 0
		.amdhsa_uses_dynamic_stack 0
		.amdhsa_system_sgpr_private_segment_wavefront_offset 0
		.amdhsa_system_sgpr_workgroup_id_x 1
		.amdhsa_system_sgpr_workgroup_id_y 0
		.amdhsa_system_sgpr_workgroup_id_z 0
		.amdhsa_system_sgpr_workgroup_info 0
		.amdhsa_system_vgpr_workitem_id 2
		.amdhsa_next_free_vgpr 45
		.amdhsa_next_free_sgpr 61
		.amdhsa_reserve_vcc 1
		.amdhsa_reserve_flat_scratch 0
		.amdhsa_float_round_mode_32 0
		.amdhsa_float_round_mode_16_64 0
		.amdhsa_float_denorm_mode_32 3
		.amdhsa_float_denorm_mode_16_64 3
		.amdhsa_dx10_clamp 1
		.amdhsa_ieee_mode 1
		.amdhsa_fp16_overflow 0
		.amdhsa_exception_fp_ieee_invalid_op 0
		.amdhsa_exception_fp_denorm_src 0
		.amdhsa_exception_fp_ieee_div_zero 0
		.amdhsa_exception_fp_ieee_overflow 0
		.amdhsa_exception_fp_ieee_underflow 0
		.amdhsa_exception_fp_ieee_inexact 0
		.amdhsa_exception_int_div_zero 0
	.end_amdhsa_kernel
	.section	.text._Z16sort_keys_kernelI22helper_blocked_stripedxLj320ELj4ELj10EEvPKT0_PS1_,"axG",@progbits,_Z16sort_keys_kernelI22helper_blocked_stripedxLj320ELj4ELj10EEvPKT0_PS1_,comdat
.Lfunc_end324:
	.size	_Z16sort_keys_kernelI22helper_blocked_stripedxLj320ELj4ELj10EEvPKT0_PS1_, .Lfunc_end324-_Z16sort_keys_kernelI22helper_blocked_stripedxLj320ELj4ELj10EEvPKT0_PS1_
                                        ; -- End function
	.set _Z16sort_keys_kernelI22helper_blocked_stripedxLj320ELj4ELj10EEvPKT0_PS1_.num_vgpr, 45
	.set _Z16sort_keys_kernelI22helper_blocked_stripedxLj320ELj4ELj10EEvPKT0_PS1_.num_agpr, 0
	.set _Z16sort_keys_kernelI22helper_blocked_stripedxLj320ELj4ELj10EEvPKT0_PS1_.numbered_sgpr, 48
	.set _Z16sort_keys_kernelI22helper_blocked_stripedxLj320ELj4ELj10EEvPKT0_PS1_.num_named_barrier, 0
	.set _Z16sort_keys_kernelI22helper_blocked_stripedxLj320ELj4ELj10EEvPKT0_PS1_.private_seg_size, 0
	.set _Z16sort_keys_kernelI22helper_blocked_stripedxLj320ELj4ELj10EEvPKT0_PS1_.uses_vcc, 1
	.set _Z16sort_keys_kernelI22helper_blocked_stripedxLj320ELj4ELj10EEvPKT0_PS1_.uses_flat_scratch, 0
	.set _Z16sort_keys_kernelI22helper_blocked_stripedxLj320ELj4ELj10EEvPKT0_PS1_.has_dyn_sized_stack, 0
	.set _Z16sort_keys_kernelI22helper_blocked_stripedxLj320ELj4ELj10EEvPKT0_PS1_.has_recursion, 0
	.set _Z16sort_keys_kernelI22helper_blocked_stripedxLj320ELj4ELj10EEvPKT0_PS1_.has_indirect_call, 0
	.section	.AMDGPU.csdata,"",@progbits
; Kernel info:
; codeLenInByte = 3616
; TotalNumSgprs: 52
; NumVgprs: 45
; ScratchSize: 0
; MemoryBound: 0
; FloatMode: 240
; IeeeMode: 1
; LDSByteSize: 10560 bytes/workgroup (compile time only)
; SGPRBlocks: 8
; VGPRBlocks: 11
; NumSGPRsForWavesPerEU: 65
; NumVGPRsForWavesPerEU: 45
; Occupancy: 5
; WaveLimiterHint : 1
; COMPUTE_PGM_RSRC2:SCRATCH_EN: 0
; COMPUTE_PGM_RSRC2:USER_SGPR: 6
; COMPUTE_PGM_RSRC2:TRAP_HANDLER: 0
; COMPUTE_PGM_RSRC2:TGID_X_EN: 1
; COMPUTE_PGM_RSRC2:TGID_Y_EN: 0
; COMPUTE_PGM_RSRC2:TGID_Z_EN: 0
; COMPUTE_PGM_RSRC2:TIDIG_COMP_CNT: 2
	.section	.text._Z17sort_pairs_kernelI22helper_blocked_stripedxLj320ELj4ELj10EEvPKT0_PS1_,"axG",@progbits,_Z17sort_pairs_kernelI22helper_blocked_stripedxLj320ELj4ELj10EEvPKT0_PS1_,comdat
	.protected	_Z17sort_pairs_kernelI22helper_blocked_stripedxLj320ELj4ELj10EEvPKT0_PS1_ ; -- Begin function _Z17sort_pairs_kernelI22helper_blocked_stripedxLj320ELj4ELj10EEvPKT0_PS1_
	.globl	_Z17sort_pairs_kernelI22helper_blocked_stripedxLj320ELj4ELj10EEvPKT0_PS1_
	.p2align	8
	.type	_Z17sort_pairs_kernelI22helper_blocked_stripedxLj320ELj4ELj10EEvPKT0_PS1_,@function
_Z17sort_pairs_kernelI22helper_blocked_stripedxLj320ELj4ELj10EEvPKT0_PS1_: ; @_Z17sort_pairs_kernelI22helper_blocked_stripedxLj320ELj4ELj10EEvPKT0_PS1_
; %bb.0:
	s_load_dwordx4 s[40:43], s[4:5], 0x0
	s_load_dword s30, s[4:5], 0x1c
	s_mul_i32 s46, s6, 0x500
	s_mov_b32 s47, 0
	s_lshl_b64 s[44:45], s[46:47], 3
	s_waitcnt lgkmcnt(0)
	s_add_u32 s0, s40, s44
	s_addc_u32 s1, s41, s45
	v_lshlrev_b32_e32 v11, 5, v0
	global_load_dwordx4 v[7:10], v11, s[0:1]
	global_load_dwordx4 v[3:6], v11, s[0:1] offset:16
	v_mbcnt_lo_u32_b32 v11, -1, 0
	v_mbcnt_hi_u32_b32 v11, -1, v11
	s_movk_i32 s4, 0x700
	v_lshlrev_b32_e32 v37, 2, v0
	v_and_b32_e32 v12, 0x1c0, v0
	v_and_b32_e32 v15, 64, v11
	v_subrev_co_u32_e64 v18, s[2:3], 1, v11
	v_lshrrev_b32_e32 v13, 2, v11
	v_and_b32_e32 v14, 3, v11
	v_and_b32_e32 v17, 16, v11
	v_min_u32_e32 v12, 0x100, v12
	v_and_b32_e32 v19, 7, v11
	v_and_or_b32 v20, v37, s4, v11
	v_cmp_lt_i32_e32 vcc, v18, v15
	v_and_b32_e32 v16, 15, v11
	v_cmp_lt_u32_e64 s[0:1], 31, v11
	v_cmp_eq_u32_e64 s[4:5], 3, v14
	v_cmp_eq_u32_e64 s[6:7], 2, v14
	;; [unrolled: 1-line block ×4, first 2 shown]
	v_or_b32_e32 v14, v13, v15
	v_add_u32_e32 v13, 48, v13
	v_cmp_eq_u32_e64 s[20:21], 0, v17
	v_or_b32_e32 v12, 63, v12
	v_cndmask_b32_e32 v21, v18, v11, vcc
	v_cmp_eq_u32_e64 s[22:23], 0, v19
	v_cmp_lt_u32_e64 s[24:25], 1, v19
	v_cmp_lt_u32_e64 s[26:27], 3, v19
	v_lshrrev_b32_e32 v11, 2, v20
	v_add_u32_e32 v17, 64, v20
	v_or_b32_e32 v18, 0x80, v20
	v_add_u32_e32 v19, 0xc0, v20
	v_cmp_eq_u32_e64 s[12:13], 0, v16
	v_cmp_lt_u32_e64 s[14:15], 1, v16
	v_cmp_lt_u32_e64 s[16:17], 3, v16
	;; [unrolled: 1-line block ×3, first 2 shown]
	v_lshlrev_b32_e32 v16, 3, v20
	v_lshlrev_b32_e32 v38, 2, v14
	v_and_or_b32 v13, v13, 63, v15
	v_cmp_eq_u32_e64 s[28:29], v0, v12
	v_and_b32_e32 v11, 0x1d8, v11
	v_lshrrev_b32_e32 v12, 2, v17
	v_lshrrev_b32_e32 v14, 2, v18
	;; [unrolled: 1-line block ×3, first 2 shown]
	v_lshlrev_b32_e32 v39, 2, v13
	v_add_u32_e32 v40, v11, v16
	v_and_b32_e32 v11, 0x1f8, v12
	v_and_b32_e32 v12, 0x1f8, v14
	;; [unrolled: 1-line block ×3, first 2 shown]
	s_lshr_b32 s31, s30, 16
	v_add_u32_e32 v41, v11, v16
	v_add_u32_e32 v42, v12, v16
	;; [unrolled: 1-line block ×3, first 2 shown]
	s_and_b32 s30, s30, 0xffff
	v_mad_u32_u24 v1, v2, s31, v1
	v_mad_u64_u32 v[1:2], s[30:31], v1, s30, v[0:1]
	v_lshrrev_b32_e32 v2, 4, v0
	v_and_b32_e32 v45, 28, v2
	v_lshrrev_b32_e32 v1, 4, v1
	v_lshlrev_b32_e32 v49, 4, v0
	v_cmp_gt_u32_e64 s[30:31], 5, v0
	v_cmp_lt_u32_e64 s[34:35], 63, v0
	v_lshlrev_b32_e32 v44, 2, v21
	v_cmp_eq_u32_e64 s[36:37], 0, v0
	v_and_b32_e32 v46, 0xffffffc, v1
	v_add_u32_e32 v47, 64, v38
	v_or_b32_e32 v48, 0x80, v38
	v_mad_i32_i24 v50, v0, -12, v49
	v_add_u32_e32 v51, -4, v45
	v_mov_b32_e32 v52, 20
	v_mov_b32_e32 v1, 0
	s_waitcnt vmcnt(1)
	v_add_co_u32_e32 v15, vcc, 1, v7
	v_addc_co_u32_e32 v16, vcc, 0, v8, vcc
	v_add_co_u32_e32 v17, vcc, 1, v9
	v_addc_co_u32_e32 v18, vcc, 0, v10, vcc
	s_waitcnt vmcnt(0)
	v_add_co_u32_e32 v11, vcc, 1, v3
	v_addc_co_u32_e32 v12, vcc, 0, v4, vcc
	v_add_co_u32_e32 v13, vcc, 1, v5
	v_addc_co_u32_e32 v14, vcc, 0, v6, vcc
	s_branch .LBB325_2
.LBB325_1:                              ;   in Loop: Header=BB325_2 Depth=1
	v_lshlrev_b32_e32 v21, 3, v55
	s_barrier
	ds_write_b64 v21, v[19:20]
	v_lshlrev_b32_e32 v19, 3, v54
	v_lshlrev_b32_e32 v20, 3, v53
	;; [unrolled: 1-line block ×3, first 2 shown]
	v_add_u32_e32 v22, v50, v37
	ds_write_b64 v19, v[9:10]
	ds_write_b64 v20, v[7:8]
	;; [unrolled: 1-line block ×3, first 2 shown]
	s_waitcnt lgkmcnt(0)
	s_barrier
	ds_read2st64_b64 v[7:10], v22 offset1:5
	ds_read2st64_b64 v[3:6], v22 offset0:10 offset1:15
	s_waitcnt lgkmcnt(0)
	s_barrier
	ds_write_b64 v21, v[17:18]
	ds_write_b64 v19, v[15:16]
	;; [unrolled: 1-line block ×4, first 2 shown]
	s_waitcnt lgkmcnt(0)
	s_barrier
	ds_read2st64_b64 v[15:18], v22 offset1:5
	ds_read2st64_b64 v[11:14], v22 offset0:10 offset1:15
	s_add_i32 s47, s47, 1
	v_xor_b32_e32 v8, 0x80000000, v8
	v_xor_b32_e32 v10, 0x80000000, v10
	;; [unrolled: 1-line block ×3, first 2 shown]
	s_cmp_lg_u32 s47, 10
	v_xor_b32_e32 v6, 0x80000000, v6
	s_cbranch_scc0 .LBB325_20
.LBB325_2:                              ; =>This Loop Header: Depth=1
                                        ;     Child Loop BB325_4 Depth 2
	v_xor_b32_e32 v2, 0x80000000, v8
	ds_bpermute_b32 v8, v38, v7
	ds_bpermute_b32 v20, v38, v9
	ds_bpermute_b32 v19, v38, v2
	v_xor_b32_e32 v10, 0x80000000, v10
	ds_bpermute_b32 v21, v38, v10
	s_waitcnt lgkmcnt(3)
	v_cndmask_b32_e64 v8, 0, v8, s[10:11]
	v_xor_b32_e32 v4, 0x80000000, v4
	ds_bpermute_b32 v23, v38, v3
	ds_bpermute_b32 v22, v38, v4
	s_waitcnt lgkmcnt(4)
	v_cndmask_b32_e64 v8, v8, v20, s[8:9]
	ds_bpermute_b32 v20, v38, v5
	s_waitcnt lgkmcnt(4)
	v_cndmask_b32_e64 v19, 0, v19, s[10:11]
	s_waitcnt lgkmcnt(3)
	v_cndmask_b32_e64 v19, v19, v21, s[8:9]
	;; [unrolled: 2-line block ×3, first 2 shown]
	v_xor_b32_e32 v6, 0x80000000, v6
	s_waitcnt lgkmcnt(1)
	v_cndmask_b32_e64 v19, v19, v22, s[6:7]
	ds_bpermute_b32 v22, v38, v6
	s_waitcnt lgkmcnt(1)
	v_cndmask_b32_e64 v21, v8, v20, s[4:5]
	ds_bpermute_b32 v20, v47, v7
	ds_bpermute_b32 v23, v47, v9
	;; [unrolled: 1-line block ×4, first 2 shown]
	s_waitcnt lgkmcnt(4)
	v_cndmask_b32_e64 v22, v19, v22, s[4:5]
	s_waitcnt lgkmcnt(3)
	v_cndmask_b32_e64 v19, 0, v20, s[10:11]
	;; [unrolled: 2-line block ×3, first 2 shown]
	ds_bpermute_b32 v20, v47, v4
	ds_bpermute_b32 v23, v47, v3
	s_waitcnt lgkmcnt(3)
	v_cndmask_b32_e64 v8, 0, v8, s[10:11]
	ds_bpermute_b32 v25, v47, v5
	s_waitcnt lgkmcnt(3)
	v_cndmask_b32_e64 v8, v8, v24, s[8:9]
	;; [unrolled: 3-line block ×3, first 2 shown]
	s_waitcnt lgkmcnt(2)
	v_cndmask_b32_e64 v19, v19, v23, s[6:7]
	ds_bpermute_b32 v20, v48, v7
	s_waitcnt lgkmcnt(2)
	v_cndmask_b32_e64 v23, v19, v25, s[4:5]
	ds_bpermute_b32 v19, v48, v2
	ds_bpermute_b32 v25, v48, v9
	s_waitcnt lgkmcnt(3)
	v_cndmask_b32_e64 v24, v8, v24, s[4:5]
	ds_bpermute_b32 v8, v48, v10
	s_waitcnt lgkmcnt(3)
	v_cndmask_b32_e64 v20, 0, v20, s[10:11]
	s_waitcnt lgkmcnt(2)
	v_cndmask_b32_e64 v19, 0, v19, s[10:11]
	;; [unrolled: 2-line block ×3, first 2 shown]
	ds_bpermute_b32 v25, v48, v4
	ds_bpermute_b32 v26, v48, v3
	s_waitcnt lgkmcnt(2)
	v_cndmask_b32_e64 v8, v19, v8, s[8:9]
	ds_bpermute_b32 v19, v48, v6
	ds_bpermute_b32 v2, v39, v2
	s_waitcnt lgkmcnt(3)
	v_cndmask_b32_e64 v8, v8, v25, s[6:7]
	s_waitcnt lgkmcnt(2)
	v_cndmask_b32_e64 v20, v20, v26, s[6:7]
	ds_bpermute_b32 v4, v39, v4
	s_waitcnt lgkmcnt(2)
	v_cndmask_b32_e64 v26, v8, v19, s[4:5]
	ds_bpermute_b32 v8, v39, v9
	ds_bpermute_b32 v9, v39, v10
	;; [unrolled: 1-line block ×3, first 2 shown]
	s_waitcnt lgkmcnt(4)
	v_cndmask_b32_e64 v2, 0, v2, s[10:11]
	ds_bpermute_b32 v3, v39, v3
	ds_bpermute_b32 v27, v48, v5
	s_waitcnt lgkmcnt(3)
	v_cndmask_b32_e64 v2, v2, v9, s[8:9]
	v_cndmask_b32_e64 v2, v2, v4, s[6:7]
	ds_bpermute_b32 v4, v39, v5
	ds_bpermute_b32 v5, v39, v6
	s_waitcnt lgkmcnt(4)
	v_cndmask_b32_e64 v7, 0, v7, s[10:11]
	v_cndmask_b32_e64 v7, v7, v8, s[8:9]
	s_waitcnt lgkmcnt(3)
	v_cndmask_b32_e64 v3, v7, v3, s[6:7]
	ds_bpermute_b32 v7, v38, v16
	s_waitcnt lgkmcnt(3)
	v_cndmask_b32_e64 v25, v20, v27, s[4:5]
	ds_bpermute_b32 v6, v38, v15
	;; [unrolled: 3-line block ×8, first 2 shown]
	s_waitcnt lgkmcnt(3)
	v_cndmask_b32_e64 v3, v3, v7, s[6:7]
	s_waitcnt lgkmcnt(2)
	v_cndmask_b32_e64 v2, v2, v6, s[6:7]
	;; [unrolled: 2-line block ×3, first 2 shown]
	ds_bpermute_b32 v3, v47, v15
	s_waitcnt lgkmcnt(1)
	v_cndmask_b32_e64 v29, v2, v5, s[4:5]
	ds_bpermute_b32 v2, v47, v17
	ds_bpermute_b32 v4, v47, v16
	;; [unrolled: 1-line block ×4, first 2 shown]
	s_waitcnt lgkmcnt(4)
	v_cndmask_b32_e64 v3, 0, v3, s[10:11]
	ds_bpermute_b32 v7, v47, v13
	s_waitcnt lgkmcnt(4)
	v_cndmask_b32_e64 v2, v3, v2, s[8:9]
	ds_bpermute_b32 v3, v47, v12
	s_waitcnt lgkmcnt(4)
	v_cndmask_b32_e64 v4, 0, v4, s[10:11]
	s_waitcnt lgkmcnt(3)
	v_cndmask_b32_e64 v2, v2, v5, s[6:7]
	;; [unrolled: 2-line block ×3, first 2 shown]
	ds_bpermute_b32 v6, v47, v14
	ds_bpermute_b32 v5, v48, v15
	s_waitcnt lgkmcnt(3)
	v_cndmask_b32_e64 v31, v2, v7, s[4:5]
	ds_bpermute_b32 v2, v48, v16
	s_waitcnt lgkmcnt(3)
	v_cndmask_b32_e64 v3, v4, v3, s[6:7]
	;; [unrolled: 3-line block ×3, first 2 shown]
	s_waitcnt lgkmcnt(2)
	v_cndmask_b32_e64 v3, 0, v5, s[10:11]
	ds_bpermute_b32 v5, v48, v17
	s_waitcnt lgkmcnt(2)
	v_cndmask_b32_e64 v2, 0, v2, s[10:11]
	ds_bpermute_b32 v7, v48, v12
	;; [unrolled: 3-line block ×3, first 2 shown]
	ds_bpermute_b32 v6, v48, v11
	s_waitcnt lgkmcnt(3)
	v_cndmask_b32_e64 v3, v3, v5, s[8:9]
	s_waitcnt lgkmcnt(2)
	v_cndmask_b32_e64 v2, v2, v7, s[6:7]
	ds_bpermute_b32 v5, v48, v13
	ds_bpermute_b32 v7, v39, v16
	s_waitcnt lgkmcnt(3)
	v_cndmask_b32_e64 v34, v2, v4, s[4:5]
	ds_bpermute_b32 v2, v39, v18
	s_waitcnt lgkmcnt(3)
	v_cndmask_b32_e64 v3, v3, v6, s[6:7]
	;; [unrolled: 3-line block ×3, first 2 shown]
	s_waitcnt lgkmcnt(2)
	v_cndmask_b32_e64 v4, 0, v7, s[10:11]
	ds_bpermute_b32 v5, v39, v17
	s_waitcnt lgkmcnt(2)
	v_cndmask_b32_e64 v2, v4, v2, s[8:9]
	ds_bpermute_b32 v4, v39, v11
	;; [unrolled: 3-line block ×3, first 2 shown]
	ds_bpermute_b32 v8, v39, v13
	ds_bpermute_b32 v7, v39, v14
	s_waitcnt lgkmcnt(4)
	v_cndmask_b32_e64 v3, v3, v5, s[8:9]
	s_waitcnt lgkmcnt(3)
	v_cndmask_b32_e64 v3, v3, v4, s[6:7]
	;; [unrolled: 2-line block ×4, first 2 shown]
	v_mov_b32_e32 v3, 0
	s_waitcnt lgkmcnt(0)
	v_cndmask_b32_e64 v36, v2, v7, s[4:5]
	v_mov_b32_e32 v4, 0
	s_barrier
	s_branch .LBB325_4
.LBB325_3:                              ;   in Loop: Header=BB325_4 Depth=2
	s_andn2_b64 vcc, exec, s[38:39]
	s_cbranch_vccz .LBB325_1
.LBB325_4:                              ;   Parent Loop BB325_2 Depth=1
                                        ; =>  This Inner Loop Header: Depth=2
	v_mov_b32_e32 v19, v21
	v_mov_b32_e32 v20, v22
	v_lshrrev_b64 v[21:22], v3, v[19:20]
	v_mov_b32_e32 v9, v23
	v_and_b32_e32 v2, 1, v21
	v_add_co_u32_e32 v22, vcc, -1, v2
	v_mov_b32_e32 v10, v24
	v_addc_co_u32_e64 v24, s[38:39], 0, -1, vcc
	v_cmp_ne_u32_e32 vcc, 0, v2
	v_xor_b32_e32 v2, vcc_hi, v24
	v_and_b32_e32 v24, exec_hi, v2
	v_lshlrev_b32_e32 v2, 30, v21
	v_xor_b32_e32 v22, vcc_lo, v22
	v_cmp_gt_i64_e32 vcc, 0, v[1:2]
	v_not_b32_e32 v2, v2
	v_mov_b32_e32 v7, v25
	v_ashrrev_i32_e32 v2, 31, v2
	v_mov_b32_e32 v8, v26
	v_and_b32_e32 v22, exec_lo, v22
	v_xor_b32_e32 v25, vcc_hi, v2
	v_xor_b32_e32 v2, vcc_lo, v2
	v_and_b32_e32 v22, v22, v2
	v_lshlrev_b32_e32 v2, 29, v21
	v_cmp_gt_i64_e32 vcc, 0, v[1:2]
	v_not_b32_e32 v2, v2
	v_ashrrev_i32_e32 v2, 31, v2
	v_and_b32_e32 v24, v24, v25
	v_xor_b32_e32 v25, vcc_hi, v2
	v_xor_b32_e32 v2, vcc_lo, v2
	v_and_b32_e32 v22, v22, v2
	v_lshlrev_b32_e32 v2, 28, v21
	v_cmp_gt_i64_e32 vcc, 0, v[1:2]
	v_not_b32_e32 v2, v2
	v_ashrrev_i32_e32 v2, 31, v2
	v_and_b32_e32 v24, v24, v25
	;; [unrolled: 8-line block ×5, first 2 shown]
	v_xor_b32_e32 v25, vcc_hi, v2
	v_xor_b32_e32 v2, vcc_lo, v2
	v_and_b32_e32 v24, v24, v25
	v_and_b32_e32 v25, v22, v2
	v_lshlrev_b32_e32 v2, 24, v21
	v_cmp_gt_i64_e32 vcc, 0, v[1:2]
	v_not_b32_e32 v2, v2
	v_ashrrev_i32_e32 v2, 31, v2
	v_mul_u32_u24_sdwa v23, v21, v52 dst_sel:DWORD dst_unused:UNUSED_PAD src0_sel:BYTE_0 src1_sel:DWORD
	v_xor_b32_e32 v21, vcc_hi, v2
	v_xor_b32_e32 v2, vcc_lo, v2
	v_and_b32_e32 v22, v24, v21
	v_and_b32_e32 v21, v25, v2
	v_mbcnt_lo_u32_b32 v2, v21, 0
	v_mbcnt_hi_u32_b32 v25, v22, v2
	v_cmp_ne_u64_e32 vcc, 0, v[21:22]
	v_mov_b32_e32 v5, v27
	v_mov_b32_e32 v17, v29
	;; [unrolled: 1-line block ×5, first 2 shown]
	v_cmp_eq_u32_e64 s[38:39], 0, v25
	v_mov_b32_e32 v6, v28
	v_mov_b32_e32 v18, v30
	v_mov_b32_e32 v16, v32
	v_mov_b32_e32 v14, v34
	v_mov_b32_e32 v12, v36
	s_and_b64 s[40:41], vcc, s[38:39]
	v_add_u32_e32 v26, v46, v23
	ds_write2_b32 v49, v1, v1 offset0:5 offset1:6
	ds_write2_b32 v49, v1, v1 offset0:7 offset1:8
	s_waitcnt lgkmcnt(0)
	s_barrier
	; wave barrier
	s_and_saveexec_b64 s[38:39], s[40:41]
; %bb.5:                                ;   in Loop: Header=BB325_4 Depth=2
	v_bcnt_u32_b32 v2, v21, 0
	v_bcnt_u32_b32 v2, v22, v2
	ds_write_b32 v26, v2 offset:20
; %bb.6:                                ;   in Loop: Header=BB325_4 Depth=2
	s_or_b64 exec, exec, s[38:39]
	v_lshrrev_b64 v[21:22], v3, v[9:10]
	v_and_b32_e32 v2, 0xff, v21
	v_mul_u32_u24_e32 v23, 20, v2
	v_mad_u32_u24 v2, v2, 20, v46
	; wave barrier
	ds_read_b32 v27, v2 offset:20
	v_and_b32_e32 v2, 1, v21
	v_add_co_u32_e32 v22, vcc, -1, v2
	v_addc_co_u32_e64 v24, s[38:39], 0, -1, vcc
	v_cmp_ne_u32_e32 vcc, 0, v2
	v_xor_b32_e32 v2, vcc_hi, v24
	v_and_b32_e32 v24, exec_hi, v2
	v_lshlrev_b32_e32 v2, 30, v21
	v_xor_b32_e32 v22, vcc_lo, v22
	v_cmp_gt_i64_e32 vcc, 0, v[1:2]
	v_not_b32_e32 v2, v2
	v_ashrrev_i32_e32 v2, 31, v2
	v_and_b32_e32 v22, exec_lo, v22
	v_xor_b32_e32 v28, vcc_hi, v2
	v_xor_b32_e32 v2, vcc_lo, v2
	v_and_b32_e32 v22, v22, v2
	v_lshlrev_b32_e32 v2, 29, v21
	v_cmp_gt_i64_e32 vcc, 0, v[1:2]
	v_not_b32_e32 v2, v2
	v_ashrrev_i32_e32 v2, 31, v2
	v_and_b32_e32 v24, v24, v28
	v_xor_b32_e32 v28, vcc_hi, v2
	v_xor_b32_e32 v2, vcc_lo, v2
	v_and_b32_e32 v22, v22, v2
	v_lshlrev_b32_e32 v2, 28, v21
	v_cmp_gt_i64_e32 vcc, 0, v[1:2]
	v_not_b32_e32 v2, v2
	v_ashrrev_i32_e32 v2, 31, v2
	v_and_b32_e32 v24, v24, v28
	;; [unrolled: 8-line block ×5, first 2 shown]
	v_xor_b32_e32 v28, vcc_hi, v2
	v_xor_b32_e32 v2, vcc_lo, v2
	v_and_b32_e32 v24, v24, v28
	v_and_b32_e32 v28, v22, v2
	v_lshlrev_b32_e32 v2, 24, v21
	v_cmp_gt_i64_e32 vcc, 0, v[1:2]
	v_not_b32_e32 v2, v2
	v_ashrrev_i32_e32 v2, 31, v2
	v_xor_b32_e32 v21, vcc_hi, v2
	v_xor_b32_e32 v2, vcc_lo, v2
	v_and_b32_e32 v22, v24, v21
	v_and_b32_e32 v21, v28, v2
	v_mbcnt_lo_u32_b32 v2, v21, 0
	v_mbcnt_hi_u32_b32 v28, v22, v2
	v_cmp_ne_u64_e32 vcc, 0, v[21:22]
	v_cmp_eq_u32_e64 s[38:39], 0, v28
	s_and_b64 s[40:41], vcc, s[38:39]
	v_add_u32_e32 v29, v46, v23
	; wave barrier
	s_and_saveexec_b64 s[38:39], s[40:41]
	s_cbranch_execz .LBB325_8
; %bb.7:                                ;   in Loop: Header=BB325_4 Depth=2
	v_bcnt_u32_b32 v2, v21, 0
	v_bcnt_u32_b32 v2, v22, v2
	s_waitcnt lgkmcnt(0)
	v_add_u32_e32 v2, v27, v2
	ds_write_b32 v29, v2 offset:20
.LBB325_8:                              ;   in Loop: Header=BB325_4 Depth=2
	s_or_b64 exec, exec, s[38:39]
	v_lshrrev_b64 v[21:22], v3, v[7:8]
	v_and_b32_e32 v2, 0xff, v21
	v_mul_u32_u24_e32 v23, 20, v2
	v_mad_u32_u24 v2, v2, 20, v46
	; wave barrier
	ds_read_b32 v30, v2 offset:20
	v_and_b32_e32 v2, 1, v21
	v_add_co_u32_e32 v22, vcc, -1, v2
	v_addc_co_u32_e64 v24, s[38:39], 0, -1, vcc
	v_cmp_ne_u32_e32 vcc, 0, v2
	v_xor_b32_e32 v2, vcc_hi, v24
	v_and_b32_e32 v24, exec_hi, v2
	v_lshlrev_b32_e32 v2, 30, v21
	v_xor_b32_e32 v22, vcc_lo, v22
	v_cmp_gt_i64_e32 vcc, 0, v[1:2]
	v_not_b32_e32 v2, v2
	v_ashrrev_i32_e32 v2, 31, v2
	v_and_b32_e32 v22, exec_lo, v22
	v_xor_b32_e32 v31, vcc_hi, v2
	v_xor_b32_e32 v2, vcc_lo, v2
	v_and_b32_e32 v22, v22, v2
	v_lshlrev_b32_e32 v2, 29, v21
	v_cmp_gt_i64_e32 vcc, 0, v[1:2]
	v_not_b32_e32 v2, v2
	v_ashrrev_i32_e32 v2, 31, v2
	v_and_b32_e32 v24, v24, v31
	v_xor_b32_e32 v31, vcc_hi, v2
	v_xor_b32_e32 v2, vcc_lo, v2
	v_and_b32_e32 v22, v22, v2
	v_lshlrev_b32_e32 v2, 28, v21
	v_cmp_gt_i64_e32 vcc, 0, v[1:2]
	v_not_b32_e32 v2, v2
	v_ashrrev_i32_e32 v2, 31, v2
	v_and_b32_e32 v24, v24, v31
	;; [unrolled: 8-line block ×5, first 2 shown]
	v_xor_b32_e32 v31, vcc_hi, v2
	v_xor_b32_e32 v2, vcc_lo, v2
	v_and_b32_e32 v24, v24, v31
	v_and_b32_e32 v31, v22, v2
	v_lshlrev_b32_e32 v2, 24, v21
	v_cmp_gt_i64_e32 vcc, 0, v[1:2]
	v_not_b32_e32 v2, v2
	v_ashrrev_i32_e32 v2, 31, v2
	v_xor_b32_e32 v21, vcc_hi, v2
	v_xor_b32_e32 v2, vcc_lo, v2
	v_and_b32_e32 v22, v24, v21
	v_and_b32_e32 v21, v31, v2
	v_mbcnt_lo_u32_b32 v2, v21, 0
	v_mbcnt_hi_u32_b32 v31, v22, v2
	v_cmp_ne_u64_e32 vcc, 0, v[21:22]
	v_cmp_eq_u32_e64 s[38:39], 0, v31
	s_and_b64 s[40:41], vcc, s[38:39]
	v_add_u32_e32 v32, v46, v23
	; wave barrier
	s_and_saveexec_b64 s[38:39], s[40:41]
	s_cbranch_execz .LBB325_10
; %bb.9:                                ;   in Loop: Header=BB325_4 Depth=2
	v_bcnt_u32_b32 v2, v21, 0
	v_bcnt_u32_b32 v2, v22, v2
	s_waitcnt lgkmcnt(0)
	v_add_u32_e32 v2, v30, v2
	ds_write_b32 v32, v2 offset:20
.LBB325_10:                             ;   in Loop: Header=BB325_4 Depth=2
	s_or_b64 exec, exec, s[38:39]
	v_lshrrev_b64 v[21:22], v3, v[5:6]
	v_and_b32_e32 v2, 0xff, v21
	v_mul_u32_u24_e32 v23, 20, v2
	v_mad_u32_u24 v2, v2, 20, v46
	; wave barrier
	ds_read_b32 v33, v2 offset:20
	v_and_b32_e32 v2, 1, v21
	v_add_co_u32_e32 v22, vcc, -1, v2
	v_addc_co_u32_e64 v24, s[38:39], 0, -1, vcc
	v_cmp_ne_u32_e32 vcc, 0, v2
	v_xor_b32_e32 v2, vcc_hi, v24
	v_and_b32_e32 v24, exec_hi, v2
	v_lshlrev_b32_e32 v2, 30, v21
	v_xor_b32_e32 v22, vcc_lo, v22
	v_cmp_gt_i64_e32 vcc, 0, v[1:2]
	v_not_b32_e32 v2, v2
	v_ashrrev_i32_e32 v2, 31, v2
	v_and_b32_e32 v22, exec_lo, v22
	v_xor_b32_e32 v34, vcc_hi, v2
	v_xor_b32_e32 v2, vcc_lo, v2
	v_and_b32_e32 v22, v22, v2
	v_lshlrev_b32_e32 v2, 29, v21
	v_cmp_gt_i64_e32 vcc, 0, v[1:2]
	v_not_b32_e32 v2, v2
	v_ashrrev_i32_e32 v2, 31, v2
	v_and_b32_e32 v24, v24, v34
	v_xor_b32_e32 v34, vcc_hi, v2
	v_xor_b32_e32 v2, vcc_lo, v2
	v_and_b32_e32 v22, v22, v2
	v_lshlrev_b32_e32 v2, 28, v21
	v_cmp_gt_i64_e32 vcc, 0, v[1:2]
	v_not_b32_e32 v2, v2
	v_ashrrev_i32_e32 v2, 31, v2
	v_and_b32_e32 v24, v24, v34
	;; [unrolled: 8-line block ×5, first 2 shown]
	v_xor_b32_e32 v34, vcc_hi, v2
	v_xor_b32_e32 v2, vcc_lo, v2
	v_and_b32_e32 v24, v24, v34
	v_and_b32_e32 v34, v22, v2
	v_lshlrev_b32_e32 v2, 24, v21
	v_cmp_gt_i64_e32 vcc, 0, v[1:2]
	v_not_b32_e32 v2, v2
	v_ashrrev_i32_e32 v2, 31, v2
	v_xor_b32_e32 v21, vcc_hi, v2
	v_xor_b32_e32 v2, vcc_lo, v2
	v_and_b32_e32 v22, v24, v21
	v_and_b32_e32 v21, v34, v2
	v_mbcnt_lo_u32_b32 v2, v21, 0
	v_mbcnt_hi_u32_b32 v2, v22, v2
	v_cmp_ne_u64_e32 vcc, 0, v[21:22]
	v_cmp_eq_u32_e64 s[38:39], 0, v2
	s_and_b64 s[40:41], vcc, s[38:39]
	v_add_u32_e32 v34, v46, v23
	; wave barrier
	s_and_saveexec_b64 s[38:39], s[40:41]
	s_cbranch_execz .LBB325_12
; %bb.11:                               ;   in Loop: Header=BB325_4 Depth=2
	v_bcnt_u32_b32 v21, v21, 0
	v_bcnt_u32_b32 v21, v22, v21
	s_waitcnt lgkmcnt(0)
	v_add_u32_e32 v21, v33, v21
	ds_write_b32 v34, v21 offset:20
.LBB325_12:                             ;   in Loop: Header=BB325_4 Depth=2
	s_or_b64 exec, exec, s[38:39]
	; wave barrier
	s_waitcnt lgkmcnt(0)
	s_barrier
	ds_read2_b32 v[23:24], v49 offset0:5 offset1:6
	ds_read2_b32 v[21:22], v49 offset0:7 offset1:8
	s_waitcnt lgkmcnt(1)
	v_add_u32_e32 v35, v24, v23
	s_waitcnt lgkmcnt(0)
	v_add3_u32 v22, v35, v21, v22
	s_nop 1
	v_mov_b32_dpp v35, v22 row_shr:1 row_mask:0xf bank_mask:0xf
	v_cndmask_b32_e64 v35, v35, 0, s[12:13]
	v_add_u32_e32 v22, v35, v22
	s_nop 1
	v_mov_b32_dpp v35, v22 row_shr:2 row_mask:0xf bank_mask:0xf
	v_cndmask_b32_e64 v35, 0, v35, s[14:15]
	v_add_u32_e32 v22, v22, v35
	;; [unrolled: 4-line block ×4, first 2 shown]
	s_nop 1
	v_mov_b32_dpp v35, v22 row_bcast:15 row_mask:0xf bank_mask:0xf
	v_cndmask_b32_e64 v35, v35, 0, s[20:21]
	v_add_u32_e32 v22, v22, v35
	s_nop 1
	v_mov_b32_dpp v35, v22 row_bcast:31 row_mask:0xf bank_mask:0xf
	v_cndmask_b32_e64 v35, 0, v35, s[0:1]
	v_add_u32_e32 v22, v22, v35
	s_and_saveexec_b64 s[38:39], s[28:29]
; %bb.13:                               ;   in Loop: Header=BB325_4 Depth=2
	ds_write_b32 v45, v22
; %bb.14:                               ;   in Loop: Header=BB325_4 Depth=2
	s_or_b64 exec, exec, s[38:39]
	s_waitcnt lgkmcnt(0)
	s_barrier
	s_and_saveexec_b64 s[38:39], s[30:31]
	s_cbranch_execz .LBB325_16
; %bb.15:                               ;   in Loop: Header=BB325_4 Depth=2
	ds_read_b32 v35, v50
	s_waitcnt lgkmcnt(0)
	s_nop 0
	v_mov_b32_dpp v36, v35 row_shr:1 row_mask:0xf bank_mask:0xf
	v_cndmask_b32_e64 v36, v36, 0, s[22:23]
	v_add_u32_e32 v35, v36, v35
	s_nop 1
	v_mov_b32_dpp v36, v35 row_shr:2 row_mask:0xf bank_mask:0xf
	v_cndmask_b32_e64 v36, 0, v36, s[24:25]
	v_add_u32_e32 v35, v35, v36
	;; [unrolled: 4-line block ×3, first 2 shown]
	ds_write_b32 v50, v35
.LBB325_16:                             ;   in Loop: Header=BB325_4 Depth=2
	s_or_b64 exec, exec, s[38:39]
	v_mov_b32_e32 v35, 0
	s_waitcnt lgkmcnt(0)
	s_barrier
	s_and_saveexec_b64 s[38:39], s[34:35]
; %bb.17:                               ;   in Loop: Header=BB325_4 Depth=2
	ds_read_b32 v35, v51
; %bb.18:                               ;   in Loop: Header=BB325_4 Depth=2
	s_or_b64 exec, exec, s[38:39]
	s_waitcnt lgkmcnt(0)
	v_add_u32_e32 v22, v35, v22
	ds_bpermute_b32 v22, v44, v22
	v_cmp_lt_u32_e32 vcc, 55, v3
	s_and_b64 vcc, exec, vcc
	s_mov_b64 s[38:39], -1
	s_waitcnt lgkmcnt(0)
	v_cndmask_b32_e64 v22, v22, v35, s[2:3]
	v_cndmask_b32_e64 v22, v22, 0, s[36:37]
	v_add_u32_e32 v23, v22, v23
	v_add_u32_e32 v24, v23, v24
	;; [unrolled: 1-line block ×3, first 2 shown]
	ds_write2_b32 v49, v22, v23 offset0:5 offset1:6
	ds_write2_b32 v49, v24, v21 offset0:7 offset1:8
	s_waitcnt lgkmcnt(0)
	s_barrier
	ds_read_b32 v21, v26 offset:20
	ds_read_b32 v22, v29 offset:20
	;; [unrolled: 1-line block ×4, first 2 shown]
                                        ; implicit-def: $vgpr35_vgpr36
	s_waitcnt lgkmcnt(3)
	v_add_u32_e32 v55, v21, v25
	s_waitcnt lgkmcnt(2)
	v_add3_u32 v54, v28, v27, v22
	s_waitcnt lgkmcnt(1)
	v_add3_u32 v53, v31, v30, v23
	;; [unrolled: 2-line block ×3, first 2 shown]
                                        ; implicit-def: $vgpr27_vgpr28
                                        ; implicit-def: $vgpr25_vgpr26
                                        ; implicit-def: $vgpr23_vgpr24
                                        ; implicit-def: $vgpr21_vgpr22
                                        ; implicit-def: $vgpr29_vgpr30
                                        ; implicit-def: $vgpr31_vgpr32
                                        ; implicit-def: $vgpr33_vgpr34
	s_cbranch_vccnz .LBB325_3
; %bb.19:                               ;   in Loop: Header=BB325_4 Depth=2
	v_lshrrev_b32_e32 v21, 2, v55
	v_and_b32_e32 v21, 0x3ffffff8, v21
	v_lshl_add_u32 v29, v55, 3, v21
	v_lshrrev_b32_e32 v21, 2, v54
	v_and_b32_e32 v21, 0x3ffffff8, v21
	v_lshl_add_u32 v30, v54, 3, v21
	;; [unrolled: 3-line block ×4, first 2 shown]
	s_barrier
	ds_write_b64 v29, v[19:20]
	ds_write_b64 v30, v[9:10]
	;; [unrolled: 1-line block ×4, first 2 shown]
	s_waitcnt lgkmcnt(0)
	s_barrier
	ds_read_b64 v[21:22], v40
	ds_read_b64 v[23:24], v41 offset:512
	ds_read_b64 v[25:26], v42 offset:1024
	;; [unrolled: 1-line block ×3, first 2 shown]
	s_waitcnt lgkmcnt(0)
	s_barrier
	ds_write_b64 v29, v[17:18]
	ds_write_b64 v30, v[15:16]
	;; [unrolled: 1-line block ×4, first 2 shown]
	s_waitcnt lgkmcnt(0)
	s_barrier
	ds_read_b64 v[29:30], v40
	ds_read_b64 v[31:32], v41 offset:512
	ds_read_b64 v[33:34], v42 offset:1024
	;; [unrolled: 1-line block ×3, first 2 shown]
	v_add_co_u32_e32 v3, vcc, 8, v3
	v_addc_co_u32_e32 v4, vcc, 0, v4, vcc
	s_mov_b64 s[38:39], 0
	s_waitcnt lgkmcnt(0)
	s_barrier
	s_branch .LBB325_3
.LBB325_20:
	s_waitcnt lgkmcnt(1)
	v_add_co_u32_e32 v1, vcc, v15, v7
	v_addc_co_u32_e32 v2, vcc, v16, v8, vcc
	v_add_co_u32_e32 v7, vcc, v17, v9
	v_addc_co_u32_e32 v8, vcc, v18, v10, vcc
	s_waitcnt lgkmcnt(0)
	v_add_co_u32_e32 v3, vcc, v11, v3
	v_addc_co_u32_e32 v4, vcc, v12, v4, vcc
	v_add_co_u32_e32 v5, vcc, v13, v5
	s_add_u32 s0, s42, s44
	v_addc_co_u32_e32 v6, vcc, v14, v6, vcc
	s_addc_u32 s1, s43, s45
	v_lshlrev_b32_e32 v0, 3, v0
	v_mov_b32_e32 v9, s1
	v_add_co_u32_e32 v10, vcc, s0, v0
	v_addc_co_u32_e32 v9, vcc, 0, v9, vcc
	global_store_dwordx2 v0, v[1:2], s[0:1]
	global_store_dwordx2 v0, v[7:8], s[0:1] offset:2560
	v_add_co_u32_e32 v0, vcc, 0x1000, v10
	v_addc_co_u32_e32 v1, vcc, 0, v9, vcc
	global_store_dwordx2 v[0:1], v[3:4], off offset:1024
	global_store_dwordx2 v[0:1], v[5:6], off offset:3584
	s_endpgm
	.section	.rodata,"a",@progbits
	.p2align	6, 0x0
	.amdhsa_kernel _Z17sort_pairs_kernelI22helper_blocked_stripedxLj320ELj4ELj10EEvPKT0_PS1_
		.amdhsa_group_segment_fixed_size 10560
		.amdhsa_private_segment_fixed_size 0
		.amdhsa_kernarg_size 272
		.amdhsa_user_sgpr_count 6
		.amdhsa_user_sgpr_private_segment_buffer 1
		.amdhsa_user_sgpr_dispatch_ptr 0
		.amdhsa_user_sgpr_queue_ptr 0
		.amdhsa_user_sgpr_kernarg_segment_ptr 1
		.amdhsa_user_sgpr_dispatch_id 0
		.amdhsa_user_sgpr_flat_scratch_init 0
		.amdhsa_user_sgpr_private_segment_size 0
		.amdhsa_uses_dynamic_stack 0
		.amdhsa_system_sgpr_private_segment_wavefront_offset 0
		.amdhsa_system_sgpr_workgroup_id_x 1
		.amdhsa_system_sgpr_workgroup_id_y 0
		.amdhsa_system_sgpr_workgroup_id_z 0
		.amdhsa_system_sgpr_workgroup_info 0
		.amdhsa_system_vgpr_workitem_id 2
		.amdhsa_next_free_vgpr 56
		.amdhsa_next_free_sgpr 61
		.amdhsa_reserve_vcc 1
		.amdhsa_reserve_flat_scratch 0
		.amdhsa_float_round_mode_32 0
		.amdhsa_float_round_mode_16_64 0
		.amdhsa_float_denorm_mode_32 3
		.amdhsa_float_denorm_mode_16_64 3
		.amdhsa_dx10_clamp 1
		.amdhsa_ieee_mode 1
		.amdhsa_fp16_overflow 0
		.amdhsa_exception_fp_ieee_invalid_op 0
		.amdhsa_exception_fp_denorm_src 0
		.amdhsa_exception_fp_ieee_div_zero 0
		.amdhsa_exception_fp_ieee_overflow 0
		.amdhsa_exception_fp_ieee_underflow 0
		.amdhsa_exception_fp_ieee_inexact 0
		.amdhsa_exception_int_div_zero 0
	.end_amdhsa_kernel
	.section	.text._Z17sort_pairs_kernelI22helper_blocked_stripedxLj320ELj4ELj10EEvPKT0_PS1_,"axG",@progbits,_Z17sort_pairs_kernelI22helper_blocked_stripedxLj320ELj4ELj10EEvPKT0_PS1_,comdat
.Lfunc_end325:
	.size	_Z17sort_pairs_kernelI22helper_blocked_stripedxLj320ELj4ELj10EEvPKT0_PS1_, .Lfunc_end325-_Z17sort_pairs_kernelI22helper_blocked_stripedxLj320ELj4ELj10EEvPKT0_PS1_
                                        ; -- End function
	.set _Z17sort_pairs_kernelI22helper_blocked_stripedxLj320ELj4ELj10EEvPKT0_PS1_.num_vgpr, 56
	.set _Z17sort_pairs_kernelI22helper_blocked_stripedxLj320ELj4ELj10EEvPKT0_PS1_.num_agpr, 0
	.set _Z17sort_pairs_kernelI22helper_blocked_stripedxLj320ELj4ELj10EEvPKT0_PS1_.numbered_sgpr, 48
	.set _Z17sort_pairs_kernelI22helper_blocked_stripedxLj320ELj4ELj10EEvPKT0_PS1_.num_named_barrier, 0
	.set _Z17sort_pairs_kernelI22helper_blocked_stripedxLj320ELj4ELj10EEvPKT0_PS1_.private_seg_size, 0
	.set _Z17sort_pairs_kernelI22helper_blocked_stripedxLj320ELj4ELj10EEvPKT0_PS1_.uses_vcc, 1
	.set _Z17sort_pairs_kernelI22helper_blocked_stripedxLj320ELj4ELj10EEvPKT0_PS1_.uses_flat_scratch, 0
	.set _Z17sort_pairs_kernelI22helper_blocked_stripedxLj320ELj4ELj10EEvPKT0_PS1_.has_dyn_sized_stack, 0
	.set _Z17sort_pairs_kernelI22helper_blocked_stripedxLj320ELj4ELj10EEvPKT0_PS1_.has_recursion, 0
	.set _Z17sort_pairs_kernelI22helper_blocked_stripedxLj320ELj4ELj10EEvPKT0_PS1_.has_indirect_call, 0
	.section	.AMDGPU.csdata,"",@progbits
; Kernel info:
; codeLenInByte = 4492
; TotalNumSgprs: 52
; NumVgprs: 56
; ScratchSize: 0
; MemoryBound: 0
; FloatMode: 240
; IeeeMode: 1
; LDSByteSize: 10560 bytes/workgroup (compile time only)
; SGPRBlocks: 8
; VGPRBlocks: 13
; NumSGPRsForWavesPerEU: 65
; NumVGPRsForWavesPerEU: 56
; Occupancy: 4
; WaveLimiterHint : 1
; COMPUTE_PGM_RSRC2:SCRATCH_EN: 0
; COMPUTE_PGM_RSRC2:USER_SGPR: 6
; COMPUTE_PGM_RSRC2:TRAP_HANDLER: 0
; COMPUTE_PGM_RSRC2:TGID_X_EN: 1
; COMPUTE_PGM_RSRC2:TGID_Y_EN: 0
; COMPUTE_PGM_RSRC2:TGID_Z_EN: 0
; COMPUTE_PGM_RSRC2:TIDIG_COMP_CNT: 2
	.section	.text._Z16sort_keys_kernelI22helper_blocked_stripedxLj320ELj8ELj10EEvPKT0_PS1_,"axG",@progbits,_Z16sort_keys_kernelI22helper_blocked_stripedxLj320ELj8ELj10EEvPKT0_PS1_,comdat
	.protected	_Z16sort_keys_kernelI22helper_blocked_stripedxLj320ELj8ELj10EEvPKT0_PS1_ ; -- Begin function _Z16sort_keys_kernelI22helper_blocked_stripedxLj320ELj8ELj10EEvPKT0_PS1_
	.globl	_Z16sort_keys_kernelI22helper_blocked_stripedxLj320ELj8ELj10EEvPKT0_PS1_
	.p2align	8
	.type	_Z16sort_keys_kernelI22helper_blocked_stripedxLj320ELj8ELj10EEvPKT0_PS1_,@function
_Z16sort_keys_kernelI22helper_blocked_stripedxLj320ELj8ELj10EEvPKT0_PS1_: ; @_Z16sort_keys_kernelI22helper_blocked_stripedxLj320ELj8ELj10EEvPKT0_PS1_
; %bb.0:
	s_load_dwordx4 s[28:31], s[4:5], 0x0
	s_load_dword s2, s[4:5], 0x1c
	s_mul_i32 s34, s6, 0xa00
	s_mov_b32 s35, 0
	s_lshl_b64 s[36:37], s[34:35], 3
	s_waitcnt lgkmcnt(0)
	s_add_u32 s0, s28, s36
	s_addc_u32 s1, s29, s37
	v_lshlrev_b32_e32 v19, 6, v0
	global_load_dwordx4 v[3:6], v19, s[0:1] offset:48
	global_load_dwordx4 v[7:10], v19, s[0:1] offset:32
	;; [unrolled: 1-line block ×3, first 2 shown]
	global_load_dwordx4 v[15:18], v19, s[0:1]
	v_mbcnt_lo_u32_b32 v19, -1, 0
	v_mbcnt_hi_u32_b32 v19, -1, v19
	v_and_b32_e32 v20, 0x1c0, v0
	v_add_u32_e32 v21, v19, v20
	v_lshlrev_b32_e32 v22, 1, v21
	v_lshlrev_b32_e32 v36, 3, v0
	v_and_b32_e32 v22, 0x7f8, v22
	s_movk_i32 s0, 0xe00
	v_lshl_add_u32 v37, v21, 6, v22
	v_and_or_b32 v21, v36, s0, v19
	v_lshrrev_b32_e32 v22, 2, v21
	v_and_b32_e32 v22, 0x398, v22
	v_lshlrev_b32_e32 v23, 3, v21
	v_add_u32_e32 v38, v22, v23
	v_add_u32_e32 v22, 64, v21
	v_lshrrev_b32_e32 v22, 2, v22
	v_and_b32_e32 v22, 0x3b8, v22
	v_add_u32_e32 v39, v22, v23
	v_or_b32_e32 v22, 0x80, v21
	v_lshrrev_b32_e32 v22, 2, v22
	v_and_b32_e32 v22, 0x3b8, v22
	v_add_u32_e32 v40, v22, v23
	v_add_u32_e32 v22, 0xc0, v21
	s_lshr_b32 s0, s2, 16
	v_lshrrev_b32_e32 v22, 2, v22
	s_and_b32 s1, s2, 0xffff
	v_mad_u32_u24 v1, v2, s0, v1
	v_and_b32_e32 v22, 0x3f8, v22
	v_mad_u64_u32 v[1:2], s[0:1], v1, s1, v[0:1]
	v_add_u32_e32 v41, v22, v23
	v_or_b32_e32 v22, 0x100, v21
	v_and_b32_e32 v2, 15, v19
	v_lshrrev_b32_e32 v22, 2, v22
	v_cmp_eq_u32_e64 s[0:1], 0, v2
	v_cmp_lt_u32_e64 s[2:3], 1, v2
	v_cmp_lt_u32_e64 s[4:5], 3, v2
	;; [unrolled: 1-line block ×3, first 2 shown]
	v_and_b32_e32 v2, 16, v19
	v_and_b32_e32 v22, 0x3d8, v22
	v_cmp_eq_u32_e64 s[8:9], 0, v2
	v_min_u32_e32 v2, 0x100, v20
	v_add_u32_e32 v42, v22, v23
	v_add_u32_e32 v22, 0x140, v21
	v_or_b32_e32 v2, 63, v2
	v_lshrrev_b32_e32 v22, 2, v22
	v_cmp_eq_u32_e64 s[12:13], v0, v2
	v_subrev_co_u32_e64 v2, s[18:19], 1, v19
	v_and_b32_e32 v20, 64, v19
	v_and_b32_e32 v22, 0x3f8, v22
	v_cmp_lt_i32_e32 vcc, v2, v20
	v_add_u32_e32 v43, v22, v23
	v_or_b32_e32 v22, 0x180, v21
	v_add_u32_e32 v21, 0x1c0, v21
	v_cndmask_b32_e32 v2, v2, v19, vcc
	v_lshrrev_b32_e32 v22, 2, v22
	v_lshrrev_b32_e32 v21, 2, v21
	v_lshlrev_b32_e32 v46, 4, v0
	v_lshlrev_b32_e32 v47, 2, v2
	v_lshrrev_b32_e32 v2, 4, v0
	v_lshrrev_b32_e32 v1, 4, v1
	v_and_b32_e32 v22, 0x3f8, v22
	v_and_b32_e32 v21, 0x7f8, v21
	;; [unrolled: 1-line block ×3, first 2 shown]
	v_mad_i32_i24 v49, v0, -12, v46
	v_and_b32_e32 v2, 7, v19
	v_and_b32_e32 v51, 0xffffffc, v1
	v_lshlrev_b32_e32 v1, 2, v0
	v_add_u32_e32 v44, v22, v23
	v_add_u32_e32 v45, v21, v23
	v_cmp_lt_u32_e64 s[10:11], 31, v19
	v_cmp_gt_u32_e64 s[14:15], 5, v0
	v_cmp_lt_u32_e64 s[16:17], 63, v0
	v_cmp_eq_u32_e64 s[20:21], 0, v0
	v_cmp_eq_u32_e64 s[22:23], 0, v2
	v_cmp_lt_u32_e64 s[24:25], 1, v2
	v_cmp_lt_u32_e64 s[26:27], 3, v2
	v_add_u32_e32 v50, -4, v48
	v_mov_b32_e32 v0, 0
	v_add_u32_e32 v52, v49, v1
	v_mov_b32_e32 v53, 20
	s_branch .LBB326_2
.LBB326_1:                              ;   in Loop: Header=BB326_2 Depth=1
	v_lshlrev_b32_e32 v8, 3, v64
	v_lshlrev_b32_e32 v1, 3, v1
	s_barrier
	ds_write_b64 v8, v[18:19]
	ds_write_b64 v1, v[16:17]
	v_lshlrev_b32_e32 v1, 3, v65
	ds_write_b64 v1, v[14:15]
	v_lshlrev_b32_e32 v1, 3, v61
	;; [unrolled: 2-line block ×6, first 2 shown]
	ds_write_b64 v1, v[2:3]
	s_waitcnt lgkmcnt(0)
	s_barrier
	ds_read2st64_b64 v[15:18], v52 offset1:5
	ds_read2st64_b64 v[11:14], v52 offset0:10 offset1:15
	ds_read2st64_b64 v[7:10], v52 offset0:20 offset1:25
	;; [unrolled: 1-line block ×3, first 2 shown]
	s_add_i32 s35, s35, 1
	s_waitcnt lgkmcnt(3)
	v_xor_b32_e32 v16, 0x80000000, v16
	v_xor_b32_e32 v18, 0x80000000, v18
	s_waitcnt lgkmcnt(2)
	v_xor_b32_e32 v12, 0x80000000, v12
	v_xor_b32_e32 v14, 0x80000000, v14
	;; [unrolled: 3-line block ×3, first 2 shown]
	s_waitcnt lgkmcnt(0)
	v_xor_b32_e32 v4, 0x80000000, v4
	s_cmp_eq_u32 s35, 10
	v_xor_b32_e32 v6, 0x80000000, v6
	s_cbranch_scc1 .LBB326_28
.LBB326_2:                              ; =>This Loop Header: Depth=1
                                        ;     Child Loop BB326_4 Depth 2
	s_waitcnt vmcnt(0)
	v_xor_b32_e32 v16, 0x80000000, v16
	v_xor_b32_e32 v18, 0x80000000, v18
	;; [unrolled: 1-line block ×8, first 2 shown]
	ds_write2_b64 v37, v[15:16], v[17:18] offset1:1
	ds_write2_b64 v37, v[11:12], v[13:14] offset0:2 offset1:3
	ds_write2_b64 v37, v[7:8], v[9:10] offset0:4 offset1:5
	;; [unrolled: 1-line block ×3, first 2 shown]
	; wave barrier
	ds_read_b64 v[20:21], v38
	ds_read_b64 v[22:23], v39 offset:512
	ds_read_b64 v[24:25], v40 offset:1024
	;; [unrolled: 1-line block ×7, first 2 shown]
	v_mov_b32_e32 v8, 0
	v_mov_b32_e32 v9, 0
	s_waitcnt lgkmcnt(0)
	s_barrier
	; wave barrier
	s_barrier
	s_branch .LBB326_4
.LBB326_3:                              ;   in Loop: Header=BB326_4 Depth=2
	s_andn2_b64 vcc, exec, s[28:29]
	s_cbranch_vccz .LBB326_1
.LBB326_4:                              ;   Parent Loop BB326_2 Depth=1
                                        ; =>  This Inner Loop Header: Depth=2
	v_mov_b32_e32 v18, v20
	v_mov_b32_e32 v19, v21
	v_lshrrev_b64 v[20:21], v8, v[18:19]
	v_mov_b32_e32 v16, v22
	v_and_b32_e32 v1, 1, v20
	v_add_co_u32_e32 v21, vcc, -1, v1
	v_mov_b32_e32 v17, v23
	v_addc_co_u32_e64 v23, s[28:29], 0, -1, vcc
	v_cmp_ne_u32_e32 vcc, 0, v1
	v_xor_b32_e32 v1, vcc_hi, v23
	v_and_b32_e32 v23, exec_hi, v1
	v_lshlrev_b32_e32 v1, 30, v20
	v_xor_b32_e32 v21, vcc_lo, v21
	v_cmp_gt_i64_e32 vcc, 0, v[0:1]
	v_not_b32_e32 v1, v1
	v_mov_b32_e32 v14, v24
	v_ashrrev_i32_e32 v1, 31, v1
	v_mov_b32_e32 v15, v25
	v_and_b32_e32 v21, exec_lo, v21
	v_xor_b32_e32 v24, vcc_hi, v1
	v_xor_b32_e32 v1, vcc_lo, v1
	v_and_b32_e32 v21, v21, v1
	v_lshlrev_b32_e32 v1, 29, v20
	v_cmp_gt_i64_e32 vcc, 0, v[0:1]
	v_not_b32_e32 v1, v1
	v_ashrrev_i32_e32 v1, 31, v1
	v_and_b32_e32 v23, v23, v24
	v_xor_b32_e32 v24, vcc_hi, v1
	v_xor_b32_e32 v1, vcc_lo, v1
	v_and_b32_e32 v21, v21, v1
	v_lshlrev_b32_e32 v1, 28, v20
	v_cmp_gt_i64_e32 vcc, 0, v[0:1]
	v_not_b32_e32 v1, v1
	v_ashrrev_i32_e32 v1, 31, v1
	v_and_b32_e32 v23, v23, v24
	;; [unrolled: 8-line block ×5, first 2 shown]
	v_xor_b32_e32 v24, vcc_hi, v1
	v_xor_b32_e32 v1, vcc_lo, v1
	v_and_b32_e32 v23, v23, v24
	v_and_b32_e32 v24, v21, v1
	v_lshlrev_b32_e32 v1, 24, v20
	v_cmp_gt_i64_e32 vcc, 0, v[0:1]
	v_not_b32_e32 v1, v1
	v_ashrrev_i32_e32 v1, 31, v1
	v_mul_u32_u24_sdwa v22, v20, v53 dst_sel:DWORD dst_unused:UNUSED_PAD src0_sel:BYTE_0 src1_sel:DWORD
	v_xor_b32_e32 v20, vcc_hi, v1
	v_xor_b32_e32 v1, vcc_lo, v1
	v_and_b32_e32 v21, v23, v20
	v_and_b32_e32 v20, v24, v1
	v_mbcnt_lo_u32_b32 v1, v20, 0
	v_mbcnt_hi_u32_b32 v24, v21, v1
	v_cmp_ne_u64_e32 vcc, 0, v[20:21]
	v_mov_b32_e32 v2, v34
	v_mov_b32_e32 v4, v32
	;; [unrolled: 1-line block ×5, first 2 shown]
	v_cmp_eq_u32_e64 s[28:29], 0, v24
	v_mov_b32_e32 v3, v35
	v_mov_b32_e32 v5, v33
	;; [unrolled: 1-line block ×5, first 2 shown]
	s_and_b64 s[38:39], vcc, s[28:29]
	v_add_u32_e32 v25, v51, v22
	ds_write2_b32 v46, v0, v0 offset0:5 offset1:6
	ds_write2_b32 v46, v0, v0 offset0:7 offset1:8
	s_waitcnt lgkmcnt(0)
	s_barrier
	; wave barrier
	s_and_saveexec_b64 s[28:29], s[38:39]
; %bb.5:                                ;   in Loop: Header=BB326_4 Depth=2
	v_bcnt_u32_b32 v1, v20, 0
	v_bcnt_u32_b32 v1, v21, v1
	ds_write_b32 v25, v1 offset:20
; %bb.6:                                ;   in Loop: Header=BB326_4 Depth=2
	s_or_b64 exec, exec, s[28:29]
	v_lshrrev_b64 v[20:21], v8, v[16:17]
	v_and_b32_e32 v1, 0xff, v20
	v_mul_u32_u24_e32 v22, 20, v1
	v_mad_u32_u24 v1, v1, 20, v51
	; wave barrier
	ds_read_b32 v26, v1 offset:20
	v_and_b32_e32 v1, 1, v20
	v_add_co_u32_e32 v21, vcc, -1, v1
	v_addc_co_u32_e64 v23, s[28:29], 0, -1, vcc
	v_cmp_ne_u32_e32 vcc, 0, v1
	v_xor_b32_e32 v1, vcc_hi, v23
	v_and_b32_e32 v23, exec_hi, v1
	v_lshlrev_b32_e32 v1, 30, v20
	v_xor_b32_e32 v21, vcc_lo, v21
	v_cmp_gt_i64_e32 vcc, 0, v[0:1]
	v_not_b32_e32 v1, v1
	v_ashrrev_i32_e32 v1, 31, v1
	v_and_b32_e32 v21, exec_lo, v21
	v_xor_b32_e32 v27, vcc_hi, v1
	v_xor_b32_e32 v1, vcc_lo, v1
	v_and_b32_e32 v21, v21, v1
	v_lshlrev_b32_e32 v1, 29, v20
	v_cmp_gt_i64_e32 vcc, 0, v[0:1]
	v_not_b32_e32 v1, v1
	v_ashrrev_i32_e32 v1, 31, v1
	v_and_b32_e32 v23, v23, v27
	v_xor_b32_e32 v27, vcc_hi, v1
	v_xor_b32_e32 v1, vcc_lo, v1
	v_and_b32_e32 v21, v21, v1
	v_lshlrev_b32_e32 v1, 28, v20
	v_cmp_gt_i64_e32 vcc, 0, v[0:1]
	v_not_b32_e32 v1, v1
	v_ashrrev_i32_e32 v1, 31, v1
	v_and_b32_e32 v23, v23, v27
	;; [unrolled: 8-line block ×5, first 2 shown]
	v_xor_b32_e32 v27, vcc_hi, v1
	v_xor_b32_e32 v1, vcc_lo, v1
	v_and_b32_e32 v23, v23, v27
	v_and_b32_e32 v27, v21, v1
	v_lshlrev_b32_e32 v1, 24, v20
	v_cmp_gt_i64_e32 vcc, 0, v[0:1]
	v_not_b32_e32 v1, v1
	v_ashrrev_i32_e32 v1, 31, v1
	v_xor_b32_e32 v20, vcc_hi, v1
	v_xor_b32_e32 v1, vcc_lo, v1
	v_and_b32_e32 v21, v23, v20
	v_and_b32_e32 v20, v27, v1
	v_mbcnt_lo_u32_b32 v1, v20, 0
	v_mbcnt_hi_u32_b32 v27, v21, v1
	v_cmp_ne_u64_e32 vcc, 0, v[20:21]
	v_cmp_eq_u32_e64 s[28:29], 0, v27
	s_and_b64 s[38:39], vcc, s[28:29]
	v_add_u32_e32 v28, v51, v22
	; wave barrier
	s_and_saveexec_b64 s[28:29], s[38:39]
	s_cbranch_execz .LBB326_8
; %bb.7:                                ;   in Loop: Header=BB326_4 Depth=2
	v_bcnt_u32_b32 v1, v20, 0
	v_bcnt_u32_b32 v1, v21, v1
	s_waitcnt lgkmcnt(0)
	v_add_u32_e32 v1, v26, v1
	ds_write_b32 v28, v1 offset:20
.LBB326_8:                              ;   in Loop: Header=BB326_4 Depth=2
	s_or_b64 exec, exec, s[28:29]
	v_lshrrev_b64 v[20:21], v8, v[14:15]
	v_and_b32_e32 v1, 0xff, v20
	v_mul_u32_u24_e32 v22, 20, v1
	v_mad_u32_u24 v1, v1, 20, v51
	; wave barrier
	ds_read_b32 v29, v1 offset:20
	v_and_b32_e32 v1, 1, v20
	v_add_co_u32_e32 v21, vcc, -1, v1
	v_addc_co_u32_e64 v23, s[28:29], 0, -1, vcc
	v_cmp_ne_u32_e32 vcc, 0, v1
	v_xor_b32_e32 v1, vcc_hi, v23
	v_and_b32_e32 v23, exec_hi, v1
	v_lshlrev_b32_e32 v1, 30, v20
	v_xor_b32_e32 v21, vcc_lo, v21
	v_cmp_gt_i64_e32 vcc, 0, v[0:1]
	v_not_b32_e32 v1, v1
	v_ashrrev_i32_e32 v1, 31, v1
	v_and_b32_e32 v21, exec_lo, v21
	v_xor_b32_e32 v30, vcc_hi, v1
	v_xor_b32_e32 v1, vcc_lo, v1
	v_and_b32_e32 v21, v21, v1
	v_lshlrev_b32_e32 v1, 29, v20
	v_cmp_gt_i64_e32 vcc, 0, v[0:1]
	v_not_b32_e32 v1, v1
	v_ashrrev_i32_e32 v1, 31, v1
	v_and_b32_e32 v23, v23, v30
	v_xor_b32_e32 v30, vcc_hi, v1
	v_xor_b32_e32 v1, vcc_lo, v1
	v_and_b32_e32 v21, v21, v1
	v_lshlrev_b32_e32 v1, 28, v20
	v_cmp_gt_i64_e32 vcc, 0, v[0:1]
	v_not_b32_e32 v1, v1
	v_ashrrev_i32_e32 v1, 31, v1
	v_and_b32_e32 v23, v23, v30
	;; [unrolled: 8-line block ×5, first 2 shown]
	v_xor_b32_e32 v30, vcc_hi, v1
	v_xor_b32_e32 v1, vcc_lo, v1
	v_and_b32_e32 v23, v23, v30
	v_and_b32_e32 v30, v21, v1
	v_lshlrev_b32_e32 v1, 24, v20
	v_cmp_gt_i64_e32 vcc, 0, v[0:1]
	v_not_b32_e32 v1, v1
	v_ashrrev_i32_e32 v1, 31, v1
	v_xor_b32_e32 v20, vcc_hi, v1
	v_xor_b32_e32 v1, vcc_lo, v1
	v_and_b32_e32 v21, v23, v20
	v_and_b32_e32 v20, v30, v1
	v_mbcnt_lo_u32_b32 v1, v20, 0
	v_mbcnt_hi_u32_b32 v30, v21, v1
	v_cmp_ne_u64_e32 vcc, 0, v[20:21]
	v_cmp_eq_u32_e64 s[28:29], 0, v30
	s_and_b64 s[38:39], vcc, s[28:29]
	v_add_u32_e32 v31, v51, v22
	; wave barrier
	s_and_saveexec_b64 s[28:29], s[38:39]
	s_cbranch_execz .LBB326_10
; %bb.9:                                ;   in Loop: Header=BB326_4 Depth=2
	v_bcnt_u32_b32 v1, v20, 0
	v_bcnt_u32_b32 v1, v21, v1
	s_waitcnt lgkmcnt(0)
	v_add_u32_e32 v1, v29, v1
	ds_write_b32 v31, v1 offset:20
.LBB326_10:                             ;   in Loop: Header=BB326_4 Depth=2
	s_or_b64 exec, exec, s[28:29]
	v_lshrrev_b64 v[20:21], v8, v[12:13]
	v_and_b32_e32 v1, 0xff, v20
	v_mul_u32_u24_e32 v22, 20, v1
	v_mad_u32_u24 v1, v1, 20, v51
	; wave barrier
	ds_read_b32 v32, v1 offset:20
	v_and_b32_e32 v1, 1, v20
	v_add_co_u32_e32 v21, vcc, -1, v1
	v_addc_co_u32_e64 v23, s[28:29], 0, -1, vcc
	v_cmp_ne_u32_e32 vcc, 0, v1
	v_xor_b32_e32 v1, vcc_hi, v23
	v_and_b32_e32 v23, exec_hi, v1
	v_lshlrev_b32_e32 v1, 30, v20
	v_xor_b32_e32 v21, vcc_lo, v21
	v_cmp_gt_i64_e32 vcc, 0, v[0:1]
	v_not_b32_e32 v1, v1
	v_ashrrev_i32_e32 v1, 31, v1
	v_and_b32_e32 v21, exec_lo, v21
	v_xor_b32_e32 v33, vcc_hi, v1
	v_xor_b32_e32 v1, vcc_lo, v1
	v_and_b32_e32 v21, v21, v1
	v_lshlrev_b32_e32 v1, 29, v20
	v_cmp_gt_i64_e32 vcc, 0, v[0:1]
	v_not_b32_e32 v1, v1
	v_ashrrev_i32_e32 v1, 31, v1
	v_and_b32_e32 v23, v23, v33
	v_xor_b32_e32 v33, vcc_hi, v1
	v_xor_b32_e32 v1, vcc_lo, v1
	v_and_b32_e32 v21, v21, v1
	v_lshlrev_b32_e32 v1, 28, v20
	v_cmp_gt_i64_e32 vcc, 0, v[0:1]
	v_not_b32_e32 v1, v1
	v_ashrrev_i32_e32 v1, 31, v1
	v_and_b32_e32 v23, v23, v33
	;; [unrolled: 8-line block ×5, first 2 shown]
	v_xor_b32_e32 v33, vcc_hi, v1
	v_xor_b32_e32 v1, vcc_lo, v1
	v_and_b32_e32 v23, v23, v33
	v_and_b32_e32 v33, v21, v1
	v_lshlrev_b32_e32 v1, 24, v20
	v_cmp_gt_i64_e32 vcc, 0, v[0:1]
	v_not_b32_e32 v1, v1
	v_ashrrev_i32_e32 v1, 31, v1
	v_xor_b32_e32 v20, vcc_hi, v1
	v_xor_b32_e32 v1, vcc_lo, v1
	v_and_b32_e32 v21, v23, v20
	v_and_b32_e32 v20, v33, v1
	v_mbcnt_lo_u32_b32 v1, v20, 0
	v_mbcnt_hi_u32_b32 v33, v21, v1
	v_cmp_ne_u64_e32 vcc, 0, v[20:21]
	v_cmp_eq_u32_e64 s[28:29], 0, v33
	s_and_b64 s[38:39], vcc, s[28:29]
	v_add_u32_e32 v34, v51, v22
	; wave barrier
	s_and_saveexec_b64 s[28:29], s[38:39]
	s_cbranch_execz .LBB326_12
; %bb.11:                               ;   in Loop: Header=BB326_4 Depth=2
	v_bcnt_u32_b32 v1, v20, 0
	v_bcnt_u32_b32 v1, v21, v1
	s_waitcnt lgkmcnt(0)
	v_add_u32_e32 v1, v32, v1
	ds_write_b32 v34, v1 offset:20
.LBB326_12:                             ;   in Loop: Header=BB326_4 Depth=2
	s_or_b64 exec, exec, s[28:29]
	v_lshrrev_b64 v[20:21], v8, v[10:11]
	v_and_b32_e32 v1, 0xff, v20
	v_mul_u32_u24_e32 v22, 20, v1
	v_mad_u32_u24 v1, v1, 20, v51
	; wave barrier
	ds_read_b32 v35, v1 offset:20
	v_and_b32_e32 v1, 1, v20
	v_add_co_u32_e32 v21, vcc, -1, v1
	v_addc_co_u32_e64 v23, s[28:29], 0, -1, vcc
	v_cmp_ne_u32_e32 vcc, 0, v1
	v_xor_b32_e32 v1, vcc_hi, v23
	v_and_b32_e32 v23, exec_hi, v1
	v_lshlrev_b32_e32 v1, 30, v20
	v_xor_b32_e32 v21, vcc_lo, v21
	v_cmp_gt_i64_e32 vcc, 0, v[0:1]
	v_not_b32_e32 v1, v1
	v_ashrrev_i32_e32 v1, 31, v1
	v_and_b32_e32 v21, exec_lo, v21
	v_xor_b32_e32 v54, vcc_hi, v1
	v_xor_b32_e32 v1, vcc_lo, v1
	v_and_b32_e32 v21, v21, v1
	v_lshlrev_b32_e32 v1, 29, v20
	v_cmp_gt_i64_e32 vcc, 0, v[0:1]
	v_not_b32_e32 v1, v1
	v_ashrrev_i32_e32 v1, 31, v1
	v_and_b32_e32 v23, v23, v54
	v_xor_b32_e32 v54, vcc_hi, v1
	v_xor_b32_e32 v1, vcc_lo, v1
	v_and_b32_e32 v21, v21, v1
	v_lshlrev_b32_e32 v1, 28, v20
	v_cmp_gt_i64_e32 vcc, 0, v[0:1]
	v_not_b32_e32 v1, v1
	v_ashrrev_i32_e32 v1, 31, v1
	v_and_b32_e32 v23, v23, v54
	;; [unrolled: 8-line block ×5, first 2 shown]
	v_xor_b32_e32 v54, vcc_hi, v1
	v_xor_b32_e32 v1, vcc_lo, v1
	v_and_b32_e32 v23, v23, v54
	v_and_b32_e32 v54, v21, v1
	v_lshlrev_b32_e32 v1, 24, v20
	v_cmp_gt_i64_e32 vcc, 0, v[0:1]
	v_not_b32_e32 v1, v1
	v_ashrrev_i32_e32 v1, 31, v1
	v_xor_b32_e32 v20, vcc_hi, v1
	v_xor_b32_e32 v1, vcc_lo, v1
	v_and_b32_e32 v21, v23, v20
	v_and_b32_e32 v20, v54, v1
	v_mbcnt_lo_u32_b32 v1, v20, 0
	v_mbcnt_hi_u32_b32 v54, v21, v1
	v_cmp_ne_u64_e32 vcc, 0, v[20:21]
	v_cmp_eq_u32_e64 s[28:29], 0, v54
	s_and_b64 s[38:39], vcc, s[28:29]
	v_add_u32_e32 v55, v51, v22
	; wave barrier
	s_and_saveexec_b64 s[28:29], s[38:39]
	s_cbranch_execz .LBB326_14
; %bb.13:                               ;   in Loop: Header=BB326_4 Depth=2
	v_bcnt_u32_b32 v1, v20, 0
	v_bcnt_u32_b32 v1, v21, v1
	s_waitcnt lgkmcnt(0)
	v_add_u32_e32 v1, v35, v1
	ds_write_b32 v55, v1 offset:20
.LBB326_14:                             ;   in Loop: Header=BB326_4 Depth=2
	s_or_b64 exec, exec, s[28:29]
	v_lshrrev_b64 v[20:21], v8, v[6:7]
	v_and_b32_e32 v1, 0xff, v20
	v_mul_u32_u24_e32 v22, 20, v1
	v_mad_u32_u24 v1, v1, 20, v51
	; wave barrier
	ds_read_b32 v56, v1 offset:20
	v_and_b32_e32 v1, 1, v20
	v_add_co_u32_e32 v21, vcc, -1, v1
	v_addc_co_u32_e64 v23, s[28:29], 0, -1, vcc
	v_cmp_ne_u32_e32 vcc, 0, v1
	v_xor_b32_e32 v1, vcc_hi, v23
	v_and_b32_e32 v23, exec_hi, v1
	v_lshlrev_b32_e32 v1, 30, v20
	v_xor_b32_e32 v21, vcc_lo, v21
	v_cmp_gt_i64_e32 vcc, 0, v[0:1]
	v_not_b32_e32 v1, v1
	v_ashrrev_i32_e32 v1, 31, v1
	v_and_b32_e32 v21, exec_lo, v21
	v_xor_b32_e32 v57, vcc_hi, v1
	v_xor_b32_e32 v1, vcc_lo, v1
	v_and_b32_e32 v21, v21, v1
	v_lshlrev_b32_e32 v1, 29, v20
	v_cmp_gt_i64_e32 vcc, 0, v[0:1]
	v_not_b32_e32 v1, v1
	v_ashrrev_i32_e32 v1, 31, v1
	v_and_b32_e32 v23, v23, v57
	v_xor_b32_e32 v57, vcc_hi, v1
	v_xor_b32_e32 v1, vcc_lo, v1
	v_and_b32_e32 v21, v21, v1
	v_lshlrev_b32_e32 v1, 28, v20
	v_cmp_gt_i64_e32 vcc, 0, v[0:1]
	v_not_b32_e32 v1, v1
	v_ashrrev_i32_e32 v1, 31, v1
	v_and_b32_e32 v23, v23, v57
	;; [unrolled: 8-line block ×5, first 2 shown]
	v_xor_b32_e32 v57, vcc_hi, v1
	v_xor_b32_e32 v1, vcc_lo, v1
	v_and_b32_e32 v23, v23, v57
	v_and_b32_e32 v57, v21, v1
	v_lshlrev_b32_e32 v1, 24, v20
	v_cmp_gt_i64_e32 vcc, 0, v[0:1]
	v_not_b32_e32 v1, v1
	v_ashrrev_i32_e32 v1, 31, v1
	v_xor_b32_e32 v20, vcc_hi, v1
	v_xor_b32_e32 v1, vcc_lo, v1
	v_and_b32_e32 v21, v23, v20
	v_and_b32_e32 v20, v57, v1
	v_mbcnt_lo_u32_b32 v1, v20, 0
	v_mbcnt_hi_u32_b32 v57, v21, v1
	v_cmp_ne_u64_e32 vcc, 0, v[20:21]
	v_cmp_eq_u32_e64 s[28:29], 0, v57
	s_and_b64 s[38:39], vcc, s[28:29]
	v_add_u32_e32 v58, v51, v22
	; wave barrier
	s_and_saveexec_b64 s[28:29], s[38:39]
	s_cbranch_execz .LBB326_16
; %bb.15:                               ;   in Loop: Header=BB326_4 Depth=2
	v_bcnt_u32_b32 v1, v20, 0
	v_bcnt_u32_b32 v1, v21, v1
	s_waitcnt lgkmcnt(0)
	v_add_u32_e32 v1, v56, v1
	ds_write_b32 v58, v1 offset:20
.LBB326_16:                             ;   in Loop: Header=BB326_4 Depth=2
	s_or_b64 exec, exec, s[28:29]
	v_lshrrev_b64 v[20:21], v8, v[4:5]
	v_and_b32_e32 v1, 0xff, v20
	v_mul_u32_u24_e32 v22, 20, v1
	v_mad_u32_u24 v1, v1, 20, v51
	; wave barrier
	ds_read_b32 v59, v1 offset:20
	v_and_b32_e32 v1, 1, v20
	v_add_co_u32_e32 v21, vcc, -1, v1
	v_addc_co_u32_e64 v23, s[28:29], 0, -1, vcc
	v_cmp_ne_u32_e32 vcc, 0, v1
	v_xor_b32_e32 v1, vcc_hi, v23
	v_and_b32_e32 v23, exec_hi, v1
	v_lshlrev_b32_e32 v1, 30, v20
	v_xor_b32_e32 v21, vcc_lo, v21
	v_cmp_gt_i64_e32 vcc, 0, v[0:1]
	v_not_b32_e32 v1, v1
	v_ashrrev_i32_e32 v1, 31, v1
	v_and_b32_e32 v21, exec_lo, v21
	v_xor_b32_e32 v60, vcc_hi, v1
	v_xor_b32_e32 v1, vcc_lo, v1
	v_and_b32_e32 v21, v21, v1
	v_lshlrev_b32_e32 v1, 29, v20
	v_cmp_gt_i64_e32 vcc, 0, v[0:1]
	v_not_b32_e32 v1, v1
	v_ashrrev_i32_e32 v1, 31, v1
	v_and_b32_e32 v23, v23, v60
	v_xor_b32_e32 v60, vcc_hi, v1
	v_xor_b32_e32 v1, vcc_lo, v1
	v_and_b32_e32 v21, v21, v1
	v_lshlrev_b32_e32 v1, 28, v20
	v_cmp_gt_i64_e32 vcc, 0, v[0:1]
	v_not_b32_e32 v1, v1
	v_ashrrev_i32_e32 v1, 31, v1
	v_and_b32_e32 v23, v23, v60
	;; [unrolled: 8-line block ×5, first 2 shown]
	v_xor_b32_e32 v60, vcc_hi, v1
	v_xor_b32_e32 v1, vcc_lo, v1
	v_and_b32_e32 v23, v23, v60
	v_and_b32_e32 v60, v21, v1
	v_lshlrev_b32_e32 v1, 24, v20
	v_cmp_gt_i64_e32 vcc, 0, v[0:1]
	v_not_b32_e32 v1, v1
	v_ashrrev_i32_e32 v1, 31, v1
	v_xor_b32_e32 v20, vcc_hi, v1
	v_xor_b32_e32 v1, vcc_lo, v1
	v_and_b32_e32 v21, v23, v20
	v_and_b32_e32 v20, v60, v1
	v_mbcnt_lo_u32_b32 v1, v20, 0
	v_mbcnt_hi_u32_b32 v60, v21, v1
	v_cmp_ne_u64_e32 vcc, 0, v[20:21]
	v_cmp_eq_u32_e64 s[28:29], 0, v60
	s_and_b64 s[38:39], vcc, s[28:29]
	v_add_u32_e32 v61, v51, v22
	; wave barrier
	s_and_saveexec_b64 s[28:29], s[38:39]
	s_cbranch_execz .LBB326_18
; %bb.17:                               ;   in Loop: Header=BB326_4 Depth=2
	v_bcnt_u32_b32 v1, v20, 0
	v_bcnt_u32_b32 v1, v21, v1
	s_waitcnt lgkmcnt(0)
	v_add_u32_e32 v1, v59, v1
	ds_write_b32 v61, v1 offset:20
.LBB326_18:                             ;   in Loop: Header=BB326_4 Depth=2
	s_or_b64 exec, exec, s[28:29]
	v_lshrrev_b64 v[20:21], v8, v[2:3]
	v_and_b32_e32 v1, 0xff, v20
	v_mul_u32_u24_e32 v22, 20, v1
	v_mad_u32_u24 v1, v1, 20, v51
	; wave barrier
	ds_read_b32 v62, v1 offset:20
	v_and_b32_e32 v1, 1, v20
	v_add_co_u32_e32 v21, vcc, -1, v1
	v_addc_co_u32_e64 v23, s[28:29], 0, -1, vcc
	v_cmp_ne_u32_e32 vcc, 0, v1
	v_xor_b32_e32 v1, vcc_hi, v23
	v_and_b32_e32 v23, exec_hi, v1
	v_lshlrev_b32_e32 v1, 30, v20
	v_xor_b32_e32 v21, vcc_lo, v21
	v_cmp_gt_i64_e32 vcc, 0, v[0:1]
	v_not_b32_e32 v1, v1
	v_ashrrev_i32_e32 v1, 31, v1
	v_and_b32_e32 v21, exec_lo, v21
	v_xor_b32_e32 v63, vcc_hi, v1
	v_xor_b32_e32 v1, vcc_lo, v1
	v_and_b32_e32 v21, v21, v1
	v_lshlrev_b32_e32 v1, 29, v20
	v_cmp_gt_i64_e32 vcc, 0, v[0:1]
	v_not_b32_e32 v1, v1
	v_ashrrev_i32_e32 v1, 31, v1
	v_and_b32_e32 v23, v23, v63
	v_xor_b32_e32 v63, vcc_hi, v1
	v_xor_b32_e32 v1, vcc_lo, v1
	v_and_b32_e32 v21, v21, v1
	v_lshlrev_b32_e32 v1, 28, v20
	v_cmp_gt_i64_e32 vcc, 0, v[0:1]
	v_not_b32_e32 v1, v1
	v_ashrrev_i32_e32 v1, 31, v1
	v_and_b32_e32 v23, v23, v63
	v_xor_b32_e32 v63, vcc_hi, v1
	v_xor_b32_e32 v1, vcc_lo, v1
	v_and_b32_e32 v21, v21, v1
	v_lshlrev_b32_e32 v1, 27, v20
	v_cmp_gt_i64_e32 vcc, 0, v[0:1]
	v_not_b32_e32 v1, v1
	v_ashrrev_i32_e32 v1, 31, v1
	v_and_b32_e32 v23, v23, v63
	v_xor_b32_e32 v63, vcc_hi, v1
	v_xor_b32_e32 v1, vcc_lo, v1
	v_and_b32_e32 v21, v21, v1
	v_lshlrev_b32_e32 v1, 26, v20
	v_cmp_gt_i64_e32 vcc, 0, v[0:1]
	v_not_b32_e32 v1, v1
	v_ashrrev_i32_e32 v1, 31, v1
	v_and_b32_e32 v23, v23, v63
	v_xor_b32_e32 v63, vcc_hi, v1
	v_xor_b32_e32 v1, vcc_lo, v1
	v_and_b32_e32 v21, v21, v1
	v_lshlrev_b32_e32 v1, 25, v20
	v_cmp_gt_i64_e32 vcc, 0, v[0:1]
	v_not_b32_e32 v1, v1
	v_ashrrev_i32_e32 v1, 31, v1
	v_and_b32_e32 v23, v23, v63
	v_xor_b32_e32 v63, vcc_hi, v1
	v_xor_b32_e32 v1, vcc_lo, v1
	v_and_b32_e32 v23, v23, v63
	v_and_b32_e32 v63, v21, v1
	v_lshlrev_b32_e32 v1, 24, v20
	v_cmp_gt_i64_e32 vcc, 0, v[0:1]
	v_not_b32_e32 v1, v1
	v_ashrrev_i32_e32 v1, 31, v1
	v_xor_b32_e32 v20, vcc_hi, v1
	v_xor_b32_e32 v1, vcc_lo, v1
	v_and_b32_e32 v21, v23, v20
	v_and_b32_e32 v20, v63, v1
	v_mbcnt_lo_u32_b32 v1, v20, 0
	v_mbcnt_hi_u32_b32 v63, v21, v1
	v_cmp_ne_u64_e32 vcc, 0, v[20:21]
	v_cmp_eq_u32_e64 s[28:29], 0, v63
	s_and_b64 s[38:39], vcc, s[28:29]
	v_add_u32_e32 v66, v51, v22
	; wave barrier
	s_and_saveexec_b64 s[28:29], s[38:39]
	s_cbranch_execz .LBB326_20
; %bb.19:                               ;   in Loop: Header=BB326_4 Depth=2
	v_bcnt_u32_b32 v1, v20, 0
	v_bcnt_u32_b32 v1, v21, v1
	s_waitcnt lgkmcnt(0)
	v_add_u32_e32 v1, v62, v1
	ds_write_b32 v66, v1 offset:20
.LBB326_20:                             ;   in Loop: Header=BB326_4 Depth=2
	s_or_b64 exec, exec, s[28:29]
	; wave barrier
	s_waitcnt lgkmcnt(0)
	s_barrier
	ds_read2_b32 v[22:23], v46 offset0:5 offset1:6
	ds_read2_b32 v[20:21], v46 offset0:7 offset1:8
	s_waitcnt lgkmcnt(1)
	v_add_u32_e32 v1, v23, v22
	s_waitcnt lgkmcnt(0)
	v_add3_u32 v1, v1, v20, v21
	s_nop 1
	v_mov_b32_dpp v21, v1 row_shr:1 row_mask:0xf bank_mask:0xf
	v_cndmask_b32_e64 v21, v21, 0, s[0:1]
	v_add_u32_e32 v1, v21, v1
	s_nop 1
	v_mov_b32_dpp v21, v1 row_shr:2 row_mask:0xf bank_mask:0xf
	v_cndmask_b32_e64 v21, 0, v21, s[2:3]
	v_add_u32_e32 v1, v1, v21
	;; [unrolled: 4-line block ×4, first 2 shown]
	s_nop 1
	v_mov_b32_dpp v21, v1 row_bcast:15 row_mask:0xf bank_mask:0xf
	v_cndmask_b32_e64 v21, v21, 0, s[8:9]
	v_add_u32_e32 v1, v1, v21
	s_nop 1
	v_mov_b32_dpp v21, v1 row_bcast:31 row_mask:0xf bank_mask:0xf
	v_cndmask_b32_e64 v21, 0, v21, s[10:11]
	v_add_u32_e32 v1, v1, v21
	s_and_saveexec_b64 s[28:29], s[12:13]
; %bb.21:                               ;   in Loop: Header=BB326_4 Depth=2
	ds_write_b32 v48, v1
; %bb.22:                               ;   in Loop: Header=BB326_4 Depth=2
	s_or_b64 exec, exec, s[28:29]
	s_waitcnt lgkmcnt(0)
	s_barrier
	s_and_saveexec_b64 s[28:29], s[14:15]
	s_cbranch_execz .LBB326_24
; %bb.23:                               ;   in Loop: Header=BB326_4 Depth=2
	ds_read_b32 v21, v49
	s_waitcnt lgkmcnt(0)
	s_nop 0
	v_mov_b32_dpp v64, v21 row_shr:1 row_mask:0xf bank_mask:0xf
	v_cndmask_b32_e64 v64, v64, 0, s[22:23]
	v_add_u32_e32 v21, v64, v21
	s_nop 1
	v_mov_b32_dpp v64, v21 row_shr:2 row_mask:0xf bank_mask:0xf
	v_cndmask_b32_e64 v64, 0, v64, s[24:25]
	v_add_u32_e32 v21, v21, v64
	;; [unrolled: 4-line block ×3, first 2 shown]
	ds_write_b32 v49, v21
.LBB326_24:                             ;   in Loop: Header=BB326_4 Depth=2
	s_or_b64 exec, exec, s[28:29]
	v_mov_b32_e32 v21, 0
	s_waitcnt lgkmcnt(0)
	s_barrier
	s_and_saveexec_b64 s[28:29], s[16:17]
; %bb.25:                               ;   in Loop: Header=BB326_4 Depth=2
	ds_read_b32 v21, v50
; %bb.26:                               ;   in Loop: Header=BB326_4 Depth=2
	s_or_b64 exec, exec, s[28:29]
	s_waitcnt lgkmcnt(0)
	v_add_u32_e32 v1, v21, v1
	ds_bpermute_b32 v1, v47, v1
	v_cmp_lt_u32_e32 vcc, 55, v8
	s_and_b64 vcc, exec, vcc
	s_mov_b64 s[28:29], -1
	s_waitcnt lgkmcnt(0)
	v_cndmask_b32_e64 v1, v1, v21, s[18:19]
	v_cndmask_b32_e64 v1, v1, 0, s[20:21]
	v_add_u32_e32 v21, v1, v22
	v_add_u32_e32 v22, v21, v23
	ds_write2_b32 v46, v1, v21 offset0:5 offset1:6
	v_add_u32_e32 v1, v22, v20
	ds_write2_b32 v46, v22, v1 offset0:7 offset1:8
	s_waitcnt lgkmcnt(0)
	s_barrier
	ds_read_b32 v1, v25 offset:20
	ds_read_b32 v20, v28 offset:20
	;; [unrolled: 1-line block ×3, first 2 shown]
	s_waitcnt lgkmcnt(2)
	v_add_u32_e32 v64, v1, v24
	s_waitcnt lgkmcnt(1)
	v_add3_u32 v1, v27, v26, v20
	ds_read_b32 v20, v34 offset:20
	s_waitcnt lgkmcnt(1)
	v_add3_u32 v65, v30, v29, v21
	ds_read_b32 v21, v55 offset:20
	ds_read_b32 v22, v58 offset:20
	;; [unrolled: 1-line block ×4, first 2 shown]
                                        ; implicit-def: $vgpr30_vgpr31
                                        ; implicit-def: $vgpr28_vgpr29
                                        ; implicit-def: $vgpr26_vgpr27
	s_waitcnt lgkmcnt(3)
	v_add3_u32 v58, v54, v35, v21
	v_add3_u32 v61, v33, v32, v20
	s_waitcnt lgkmcnt(2)
	v_add3_u32 v56, v57, v56, v22
	s_waitcnt lgkmcnt(1)
	;; [unrolled: 2-line block ×3, first 2 shown]
	v_add3_u32 v54, v63, v62, v24
                                        ; implicit-def: $vgpr34_vgpr35
                                        ; implicit-def: $vgpr32_vgpr33
                                        ; implicit-def: $vgpr24_vgpr25
                                        ; implicit-def: $vgpr22_vgpr23
                                        ; implicit-def: $vgpr20_vgpr21
	s_cbranch_vccnz .LBB326_3
; %bb.27:                               ;   in Loop: Header=BB326_4 Depth=2
	v_lshrrev_b32_e32 v20, 2, v64
	v_and_b32_e32 v20, 0x3ffffff8, v20
	v_lshl_add_u32 v20, v64, 3, v20
	s_barrier
	ds_write_b64 v20, v[18:19]
	v_lshrrev_b32_e32 v20, 2, v1
	v_and_b32_e32 v20, 0x3ffffff8, v20
	v_lshl_add_u32 v20, v1, 3, v20
	ds_write_b64 v20, v[16:17]
	v_lshrrev_b32_e32 v20, 2, v65
	v_and_b32_e32 v20, 0x3ffffff8, v20
	v_lshl_add_u32 v20, v65, 3, v20
	;; [unrolled: 4-line block ×7, first 2 shown]
	ds_write_b64 v20, v[2:3]
	s_waitcnt lgkmcnt(0)
	s_barrier
	ds_read_b64 v[20:21], v38
	ds_read_b64 v[22:23], v39 offset:512
	ds_read_b64 v[24:25], v40 offset:1024
	;; [unrolled: 1-line block ×7, first 2 shown]
	v_add_co_u32_e32 v8, vcc, 8, v8
	v_addc_co_u32_e32 v9, vcc, 0, v9, vcc
	s_mov_b64 s[28:29], 0
	s_waitcnt lgkmcnt(0)
	s_barrier
	s_branch .LBB326_3
.LBB326_28:
	s_add_u32 s0, s30, s36
	s_addc_u32 s1, s31, s37
	v_mov_b32_e32 v0, s1
	v_add_co_u32_e32 v2, vcc, s0, v36
	v_addc_co_u32_e32 v19, vcc, 0, v0, vcc
	v_add_co_u32_e32 v0, vcc, 0x1000, v2
	v_addc_co_u32_e32 v1, vcc, 0, v19, vcc
	global_store_dwordx2 v36, v[15:16], s[0:1]
	global_store_dwordx2 v36, v[17:18], s[0:1] offset:2560
	global_store_dwordx2 v[0:1], v[11:12], off offset:1024
	global_store_dwordx2 v[0:1], v[13:14], off offset:3584
	v_add_co_u32_e32 v0, vcc, 0x2000, v2
	v_addc_co_u32_e32 v1, vcc, 0, v19, vcc
	global_store_dwordx2 v[0:1], v[7:8], off offset:2048
	v_add_co_u32_e32 v0, vcc, 0x3000, v2
	v_addc_co_u32_e32 v1, vcc, 0, v19, vcc
	global_store_dwordx2 v[0:1], v[9:10], off offset:512
	global_store_dwordx2 v[0:1], v[3:4], off offset:3072
	v_add_co_u32_e32 v0, vcc, 0x4000, v2
	v_addc_co_u32_e32 v1, vcc, 0, v19, vcc
	global_store_dwordx2 v[0:1], v[5:6], off offset:1536
	s_endpgm
	.section	.rodata,"a",@progbits
	.p2align	6, 0x0
	.amdhsa_kernel _Z16sort_keys_kernelI22helper_blocked_stripedxLj320ELj8ELj10EEvPKT0_PS1_
		.amdhsa_group_segment_fixed_size 21120
		.amdhsa_private_segment_fixed_size 0
		.amdhsa_kernarg_size 272
		.amdhsa_user_sgpr_count 6
		.amdhsa_user_sgpr_private_segment_buffer 1
		.amdhsa_user_sgpr_dispatch_ptr 0
		.amdhsa_user_sgpr_queue_ptr 0
		.amdhsa_user_sgpr_kernarg_segment_ptr 1
		.amdhsa_user_sgpr_dispatch_id 0
		.amdhsa_user_sgpr_flat_scratch_init 0
		.amdhsa_user_sgpr_private_segment_size 0
		.amdhsa_uses_dynamic_stack 0
		.amdhsa_system_sgpr_private_segment_wavefront_offset 0
		.amdhsa_system_sgpr_workgroup_id_x 1
		.amdhsa_system_sgpr_workgroup_id_y 0
		.amdhsa_system_sgpr_workgroup_id_z 0
		.amdhsa_system_sgpr_workgroup_info 0
		.amdhsa_system_vgpr_workitem_id 2
		.amdhsa_next_free_vgpr 67
		.amdhsa_next_free_sgpr 98
		.amdhsa_reserve_vcc 1
		.amdhsa_reserve_flat_scratch 0
		.amdhsa_float_round_mode_32 0
		.amdhsa_float_round_mode_16_64 0
		.amdhsa_float_denorm_mode_32 3
		.amdhsa_float_denorm_mode_16_64 3
		.amdhsa_dx10_clamp 1
		.amdhsa_ieee_mode 1
		.amdhsa_fp16_overflow 0
		.amdhsa_exception_fp_ieee_invalid_op 0
		.amdhsa_exception_fp_denorm_src 0
		.amdhsa_exception_fp_ieee_div_zero 0
		.amdhsa_exception_fp_ieee_overflow 0
		.amdhsa_exception_fp_ieee_underflow 0
		.amdhsa_exception_fp_ieee_inexact 0
		.amdhsa_exception_int_div_zero 0
	.end_amdhsa_kernel
	.section	.text._Z16sort_keys_kernelI22helper_blocked_stripedxLj320ELj8ELj10EEvPKT0_PS1_,"axG",@progbits,_Z16sort_keys_kernelI22helper_blocked_stripedxLj320ELj8ELj10EEvPKT0_PS1_,comdat
.Lfunc_end326:
	.size	_Z16sort_keys_kernelI22helper_blocked_stripedxLj320ELj8ELj10EEvPKT0_PS1_, .Lfunc_end326-_Z16sort_keys_kernelI22helper_blocked_stripedxLj320ELj8ELj10EEvPKT0_PS1_
                                        ; -- End function
	.set _Z16sort_keys_kernelI22helper_blocked_stripedxLj320ELj8ELj10EEvPKT0_PS1_.num_vgpr, 67
	.set _Z16sort_keys_kernelI22helper_blocked_stripedxLj320ELj8ELj10EEvPKT0_PS1_.num_agpr, 0
	.set _Z16sort_keys_kernelI22helper_blocked_stripedxLj320ELj8ELj10EEvPKT0_PS1_.numbered_sgpr, 40
	.set _Z16sort_keys_kernelI22helper_blocked_stripedxLj320ELj8ELj10EEvPKT0_PS1_.num_named_barrier, 0
	.set _Z16sort_keys_kernelI22helper_blocked_stripedxLj320ELj8ELj10EEvPKT0_PS1_.private_seg_size, 0
	.set _Z16sort_keys_kernelI22helper_blocked_stripedxLj320ELj8ELj10EEvPKT0_PS1_.uses_vcc, 1
	.set _Z16sort_keys_kernelI22helper_blocked_stripedxLj320ELj8ELj10EEvPKT0_PS1_.uses_flat_scratch, 0
	.set _Z16sort_keys_kernelI22helper_blocked_stripedxLj320ELj8ELj10EEvPKT0_PS1_.has_dyn_sized_stack, 0
	.set _Z16sort_keys_kernelI22helper_blocked_stripedxLj320ELj8ELj10EEvPKT0_PS1_.has_recursion, 0
	.set _Z16sort_keys_kernelI22helper_blocked_stripedxLj320ELj8ELj10EEvPKT0_PS1_.has_indirect_call, 0
	.section	.AMDGPU.csdata,"",@progbits
; Kernel info:
; codeLenInByte = 5100
; TotalNumSgprs: 44
; NumVgprs: 67
; ScratchSize: 0
; MemoryBound: 0
; FloatMode: 240
; IeeeMode: 1
; LDSByteSize: 21120 bytes/workgroup (compile time only)
; SGPRBlocks: 12
; VGPRBlocks: 16
; NumSGPRsForWavesPerEU: 102
; NumVGPRsForWavesPerEU: 67
; Occupancy: 3
; WaveLimiterHint : 1
; COMPUTE_PGM_RSRC2:SCRATCH_EN: 0
; COMPUTE_PGM_RSRC2:USER_SGPR: 6
; COMPUTE_PGM_RSRC2:TRAP_HANDLER: 0
; COMPUTE_PGM_RSRC2:TGID_X_EN: 1
; COMPUTE_PGM_RSRC2:TGID_Y_EN: 0
; COMPUTE_PGM_RSRC2:TGID_Z_EN: 0
; COMPUTE_PGM_RSRC2:TIDIG_COMP_CNT: 2
	.section	.text._Z17sort_pairs_kernelI22helper_blocked_stripedxLj320ELj8ELj10EEvPKT0_PS1_,"axG",@progbits,_Z17sort_pairs_kernelI22helper_blocked_stripedxLj320ELj8ELj10EEvPKT0_PS1_,comdat
	.protected	_Z17sort_pairs_kernelI22helper_blocked_stripedxLj320ELj8ELj10EEvPKT0_PS1_ ; -- Begin function _Z17sort_pairs_kernelI22helper_blocked_stripedxLj320ELj8ELj10EEvPKT0_PS1_
	.globl	_Z17sort_pairs_kernelI22helper_blocked_stripedxLj320ELj8ELj10EEvPKT0_PS1_
	.p2align	8
	.type	_Z17sort_pairs_kernelI22helper_blocked_stripedxLj320ELj8ELj10EEvPKT0_PS1_,@function
_Z17sort_pairs_kernelI22helper_blocked_stripedxLj320ELj8ELj10EEvPKT0_PS1_: ; @_Z17sort_pairs_kernelI22helper_blocked_stripedxLj320ELj8ELj10EEvPKT0_PS1_
; %bb.0:
	s_load_dwordx4 s[28:31], s[4:5], 0x0
	s_load_dword s2, s[4:5], 0x1c
	s_mul_i32 s36, s6, 0xa00
	s_mov_b32 s37, 0
	s_lshl_b64 s[34:35], s[36:37], 3
	s_waitcnt lgkmcnt(0)
	s_add_u32 s0, s28, s34
	s_addc_u32 s1, s29, s35
	v_lshlrev_b32_e32 v19, 6, v0
	global_load_dwordx4 v[15:18], v19, s[0:1]
	global_load_dwordx4 v[11:14], v19, s[0:1] offset:16
	global_load_dwordx4 v[7:10], v19, s[0:1] offset:32
	;; [unrolled: 1-line block ×3, first 2 shown]
	v_mbcnt_lo_u32_b32 v19, -1, 0
	s_movk_i32 s0, 0xe00
	v_lshlrev_b32_e32 v69, 3, v0
	v_mbcnt_hi_u32_b32 v35, -1, v19
	v_and_b32_e32 v36, 0x1c0, v0
	v_add_u32_e32 v19, v35, v36
	v_and_or_b32 v20, v69, s0, v35
	v_lshlrev_b32_e32 v21, 1, v19
	v_add_u32_e32 v23, 64, v20
	v_add_u32_e32 v27, 0x140, v20
	v_or_b32_e32 v24, 0x80, v20
	v_or_b32_e32 v28, 0x180, v20
	v_and_b32_e32 v21, 0x7f8, v21
	v_lshrrev_b32_e32 v23, 2, v23
	v_lshrrev_b32_e32 v27, 2, v27
	;; [unrolled: 1-line block ×3, first 2 shown]
	v_lshlrev_b32_e32 v37, 3, v20
	v_add_u32_e32 v25, 0xc0, v20
	v_or_b32_e32 v26, 0x100, v20
	v_add_u32_e32 v20, 0x1c0, v20
	v_lshrrev_b32_e32 v24, 2, v24
	v_lshrrev_b32_e32 v28, 2, v28
	v_lshl_add_u32 v70, v19, 6, v21
	v_and_b32_e32 v19, 0x3b8, v23
	v_and_b32_e32 v23, 0x3f8, v27
	v_lshrrev_b32_e32 v38, 2, v20
	v_and_b32_e32 v20, 0x3b8, v24
	v_and_b32_e32 v24, 0x3f8, v28
	v_add_u32_e32 v76, v23, v37
	s_lshr_b32 s0, s2, 16
	v_lshrrev_b32_e32 v25, 2, v25
	v_add_u32_e32 v77, v24, v37
	s_and_b32 s1, s2, 0xffff
	v_mad_u32_u24 v1, v2, s0, v1
	v_and_b32_e32 v22, 0x398, v22
	v_lshrrev_b32_e32 v26, 2, v26
	v_and_b32_e32 v21, 0x3f8, v25
	v_mad_u64_u32 v[1:2], s[0:1], v1, s1, v[0:1]
	v_add_u32_e32 v71, v22, v37
	v_and_b32_e32 v22, 0x3d8, v26
	v_and_b32_e32 v2, 15, v35
	v_add_u32_e32 v72, v19, v37
	v_cmp_eq_u32_e64 s[0:1], 0, v2
	v_cmp_lt_u32_e64 s[2:3], 1, v2
	v_cmp_lt_u32_e64 s[4:5], 3, v2
	;; [unrolled: 1-line block ×3, first 2 shown]
	v_and_b32_e32 v2, 16, v35
	v_add_u32_e32 v73, v20, v37
	v_cmp_eq_u32_e64 s[8:9], 0, v2
	v_min_u32_e32 v2, 0x100, v36
	v_add_u32_e32 v74, v21, v37
	v_or_b32_e32 v2, 63, v2
	v_add_u32_e32 v75, v22, v37
	v_cmp_eq_u32_e64 s[12:13], v0, v2
	v_subrev_co_u32_e64 v2, s[18:19], 1, v35
	v_and_b32_e32 v36, 64, v35
	v_lshlrev_b32_e32 v79, 4, v0
	v_lshrrev_b32_e32 v1, 4, v1
	v_and_b32_e32 v38, 0x7f8, v38
	v_mad_i32_i24 v82, v0, -12, v79
	v_and_b32_e32 v84, 0xffffffc, v1
	v_lshlrev_b32_e32 v1, 2, v0
	v_add_u32_e32 v78, v38, v37
	v_cmp_lt_u32_e64 s[10:11], 31, v35
	v_cmp_gt_u32_e64 s[14:15], 5, v0
	v_cmp_lt_u32_e64 s[16:17], 63, v0
	v_cmp_eq_u32_e64 s[20:21], 0, v0
	v_add_u32_e32 v85, v82, v1
	v_mov_b32_e32 v86, 20
	s_waitcnt vmcnt(3)
	v_add_co_u32_e32 v31, vcc, 1, v15
	v_addc_co_u32_e32 v32, vcc, 0, v16, vcc
	v_add_co_u32_e32 v33, vcc, 1, v17
	v_addc_co_u32_e32 v34, vcc, 0, v18, vcc
	s_waitcnt vmcnt(2)
	v_add_co_u32_e32 v27, vcc, 1, v11
	v_addc_co_u32_e32 v28, vcc, 0, v12, vcc
	v_add_co_u32_e32 v29, vcc, 1, v13
	v_addc_co_u32_e32 v30, vcc, 0, v14, vcc
	;; [unrolled: 5-line block ×4, first 2 shown]
	v_cmp_lt_i32_e32 vcc, v2, v36
	v_cndmask_b32_e32 v2, v2, v35, vcc
	v_lshlrev_b32_e32 v80, 2, v2
	v_lshrrev_b32_e32 v2, 4, v0
	v_and_b32_e32 v81, 28, v2
	v_and_b32_e32 v2, 7, v35
	v_cmp_eq_u32_e64 s[22:23], 0, v2
	v_cmp_lt_u32_e64 s[24:25], 1, v2
	v_cmp_lt_u32_e64 s[26:27], 3, v2
	v_add_u32_e32 v83, -4, v81
	v_mov_b32_e32 v0, 0
	s_branch .LBB327_2
.LBB327_1:                              ;   in Loop: Header=BB327_2 Depth=1
	v_lshlrev_b32_e32 v2, 3, v18
	s_barrier
	ds_write_b64 v2, v[35:36]
	v_lshlrev_b32_e32 v1, 3, v1
	v_lshlrev_b32_e32 v35, 3, v87
	;; [unrolled: 1-line block ×7, first 2 shown]
	ds_write_b64 v1, v[16:17]
	ds_write_b64 v35, v[14:15]
	;; [unrolled: 1-line block ×7, first 2 shown]
	s_waitcnt lgkmcnt(0)
	s_barrier
	ds_read2st64_b64 v[15:18], v85 offset1:5
	ds_read2st64_b64 v[11:14], v85 offset0:10 offset1:15
	ds_read2st64_b64 v[7:10], v85 offset0:20 offset1:25
	;; [unrolled: 1-line block ×3, first 2 shown]
	s_waitcnt lgkmcnt(0)
	s_barrier
	ds_write_b64 v2, v[33:34]
	ds_write_b64 v1, v[31:32]
	;; [unrolled: 1-line block ×8, first 2 shown]
	s_waitcnt lgkmcnt(0)
	s_barrier
	ds_read2st64_b64 v[31:34], v85 offset1:5
	ds_read2st64_b64 v[27:30], v85 offset0:10 offset1:15
	ds_read2st64_b64 v[23:26], v85 offset0:20 offset1:25
	;; [unrolled: 1-line block ×3, first 2 shown]
	s_add_i32 s37, s37, 1
	v_xor_b32_e32 v16, 0x80000000, v16
	v_xor_b32_e32 v18, 0x80000000, v18
	;; [unrolled: 1-line block ×7, first 2 shown]
	s_cmp_eq_u32 s37, 10
	v_xor_b32_e32 v6, 0x80000000, v6
	s_cbranch_scc1 .LBB327_28
.LBB327_2:                              ; =>This Loop Header: Depth=1
                                        ;     Child Loop BB327_4 Depth 2
	v_xor_b32_e32 v16, 0x80000000, v16
	v_xor_b32_e32 v18, 0x80000000, v18
	;; [unrolled: 1-line block ×8, first 2 shown]
	ds_write2_b64 v70, v[15:16], v[17:18] offset1:1
	ds_write2_b64 v70, v[11:12], v[13:14] offset0:2 offset1:3
	ds_write2_b64 v70, v[7:8], v[9:10] offset0:4 offset1:5
	;; [unrolled: 1-line block ×3, first 2 shown]
	; wave barrier
	ds_read_b64 v[37:38], v71
	ds_read_b64 v[39:40], v72 offset:512
	ds_read_b64 v[41:42], v73 offset:1024
	;; [unrolled: 1-line block ×7, first 2 shown]
	; wave barrier
	s_waitcnt lgkmcnt(14)
	ds_write2_b64 v70, v[31:32], v[33:34] offset1:1
	ds_write2_b64 v70, v[27:28], v[29:30] offset0:2 offset1:3
	s_waitcnt lgkmcnt(14)
	ds_write2_b64 v70, v[23:24], v[25:26] offset0:4 offset1:5
	ds_write2_b64 v70, v[19:20], v[21:22] offset0:6 offset1:7
	; wave barrier
	ds_read_b64 v[53:54], v71
	ds_read_b64 v[55:56], v72 offset:512
	ds_read_b64 v[57:58], v73 offset:1024
	;; [unrolled: 1-line block ×7, first 2 shown]
	v_mov_b32_e32 v2, 0
	v_mov_b32_e32 v3, 0
	s_waitcnt lgkmcnt(0)
	s_barrier
	s_branch .LBB327_4
.LBB327_3:                              ;   in Loop: Header=BB327_4 Depth=2
	s_andn2_b64 vcc, exec, s[28:29]
	s_cbranch_vccz .LBB327_1
.LBB327_4:                              ;   Parent Loop BB327_2 Depth=1
                                        ; =>  This Inner Loop Header: Depth=2
	v_mov_b32_e32 v35, v37
	v_mov_b32_e32 v36, v38
	v_lshrrev_b64 v[37:38], v2, v[35:36]
	v_mov_b32_e32 v16, v39
	v_and_b32_e32 v1, 1, v37
	v_add_co_u32_e32 v18, vcc, -1, v1
	v_addc_co_u32_e64 v38, s[28:29], 0, -1, vcc
	v_cmp_ne_u32_e32 vcc, 0, v1
	v_xor_b32_e32 v1, vcc_hi, v38
	v_and_b32_e32 v38, exec_hi, v1
	v_lshlrev_b32_e32 v1, 30, v37
	v_xor_b32_e32 v18, vcc_lo, v18
	v_cmp_gt_i64_e32 vcc, 0, v[0:1]
	v_not_b32_e32 v1, v1
	v_ashrrev_i32_e32 v1, 31, v1
	v_mov_b32_e32 v17, v40
	v_and_b32_e32 v18, exec_lo, v18
	v_xor_b32_e32 v40, vcc_hi, v1
	v_xor_b32_e32 v1, vcc_lo, v1
	v_and_b32_e32 v18, v18, v1
	v_lshlrev_b32_e32 v1, 29, v37
	v_cmp_gt_i64_e32 vcc, 0, v[0:1]
	v_not_b32_e32 v1, v1
	v_ashrrev_i32_e32 v1, 31, v1
	v_and_b32_e32 v38, v38, v40
	v_xor_b32_e32 v40, vcc_hi, v1
	v_xor_b32_e32 v1, vcc_lo, v1
	v_and_b32_e32 v18, v18, v1
	v_lshlrev_b32_e32 v1, 28, v37
	v_cmp_gt_i64_e32 vcc, 0, v[0:1]
	v_not_b32_e32 v1, v1
	v_ashrrev_i32_e32 v1, 31, v1
	v_and_b32_e32 v38, v38, v40
	;; [unrolled: 8-line block ×5, first 2 shown]
	v_xor_b32_e32 v40, vcc_hi, v1
	v_xor_b32_e32 v1, vcc_lo, v1
	v_and_b32_e32 v18, v18, v1
	v_lshlrev_b32_e32 v1, 24, v37
	v_cmp_gt_i64_e32 vcc, 0, v[0:1]
	v_not_b32_e32 v1, v1
	v_ashrrev_i32_e32 v1, 31, v1
	v_mul_u32_u24_sdwa v39, v37, v86 dst_sel:DWORD dst_unused:UNUSED_PAD src0_sel:BYTE_0 src1_sel:DWORD
	v_and_b32_e32 v38, v38, v40
	v_xor_b32_e32 v37, vcc_hi, v1
	v_xor_b32_e32 v1, vcc_lo, v1
	v_and_b32_e32 v38, v38, v37
	v_and_b32_e32 v37, v18, v1
	v_mbcnt_lo_u32_b32 v1, v37, 0
	v_mbcnt_hi_u32_b32 v18, v38, v1
	v_cmp_ne_u64_e32 vcc, 0, v[37:38]
	v_mov_b32_e32 v4, v51
	v_mov_b32_e32 v6, v49
	;; [unrolled: 1-line block ×14, first 2 shown]
	v_cmp_eq_u32_e64 s[28:29], 0, v18
	v_mov_b32_e32 v5, v52
	v_mov_b32_e32 v7, v50
	;; [unrolled: 1-line block ×14, first 2 shown]
	s_and_b64 s[38:39], vcc, s[28:29]
	v_add_u32_e32 v41, v84, v39
	ds_write2_b32 v79, v0, v0 offset0:5 offset1:6
	ds_write2_b32 v79, v0, v0 offset0:7 offset1:8
	s_waitcnt lgkmcnt(0)
	s_barrier
	; wave barrier
	s_and_saveexec_b64 s[28:29], s[38:39]
; %bb.5:                                ;   in Loop: Header=BB327_4 Depth=2
	v_bcnt_u32_b32 v1, v37, 0
	v_bcnt_u32_b32 v1, v38, v1
	ds_write_b32 v41, v1 offset:20
; %bb.6:                                ;   in Loop: Header=BB327_4 Depth=2
	s_or_b64 exec, exec, s[28:29]
	v_lshrrev_b64 v[37:38], v2, v[16:17]
	v_and_b32_e32 v1, 0xff, v37
	v_mul_u32_u24_e32 v39, 20, v1
	v_mad_u32_u24 v1, v1, 20, v84
	; wave barrier
	ds_read_b32 v42, v1 offset:20
	v_and_b32_e32 v1, 1, v37
	v_add_co_u32_e32 v38, vcc, -1, v1
	v_addc_co_u32_e64 v40, s[28:29], 0, -1, vcc
	v_cmp_ne_u32_e32 vcc, 0, v1
	v_xor_b32_e32 v1, vcc_hi, v40
	v_and_b32_e32 v40, exec_hi, v1
	v_lshlrev_b32_e32 v1, 30, v37
	v_xor_b32_e32 v38, vcc_lo, v38
	v_cmp_gt_i64_e32 vcc, 0, v[0:1]
	v_not_b32_e32 v1, v1
	v_ashrrev_i32_e32 v1, 31, v1
	v_and_b32_e32 v38, exec_lo, v38
	v_xor_b32_e32 v43, vcc_hi, v1
	v_xor_b32_e32 v1, vcc_lo, v1
	v_and_b32_e32 v38, v38, v1
	v_lshlrev_b32_e32 v1, 29, v37
	v_cmp_gt_i64_e32 vcc, 0, v[0:1]
	v_not_b32_e32 v1, v1
	v_ashrrev_i32_e32 v1, 31, v1
	v_and_b32_e32 v40, v40, v43
	v_xor_b32_e32 v43, vcc_hi, v1
	v_xor_b32_e32 v1, vcc_lo, v1
	v_and_b32_e32 v38, v38, v1
	v_lshlrev_b32_e32 v1, 28, v37
	v_cmp_gt_i64_e32 vcc, 0, v[0:1]
	v_not_b32_e32 v1, v1
	v_ashrrev_i32_e32 v1, 31, v1
	v_and_b32_e32 v40, v40, v43
	;; [unrolled: 8-line block ×5, first 2 shown]
	v_xor_b32_e32 v43, vcc_hi, v1
	v_xor_b32_e32 v1, vcc_lo, v1
	v_and_b32_e32 v40, v40, v43
	v_and_b32_e32 v43, v38, v1
	v_lshlrev_b32_e32 v1, 24, v37
	v_cmp_gt_i64_e32 vcc, 0, v[0:1]
	v_not_b32_e32 v1, v1
	v_ashrrev_i32_e32 v1, 31, v1
	v_xor_b32_e32 v37, vcc_hi, v1
	v_xor_b32_e32 v1, vcc_lo, v1
	v_and_b32_e32 v38, v40, v37
	v_and_b32_e32 v37, v43, v1
	v_mbcnt_lo_u32_b32 v1, v37, 0
	v_mbcnt_hi_u32_b32 v43, v38, v1
	v_cmp_ne_u64_e32 vcc, 0, v[37:38]
	v_cmp_eq_u32_e64 s[28:29], 0, v43
	s_and_b64 s[38:39], vcc, s[28:29]
	v_add_u32_e32 v44, v84, v39
	; wave barrier
	s_and_saveexec_b64 s[28:29], s[38:39]
	s_cbranch_execz .LBB327_8
; %bb.7:                                ;   in Loop: Header=BB327_4 Depth=2
	v_bcnt_u32_b32 v1, v37, 0
	v_bcnt_u32_b32 v1, v38, v1
	s_waitcnt lgkmcnt(0)
	v_add_u32_e32 v1, v42, v1
	ds_write_b32 v44, v1 offset:20
.LBB327_8:                              ;   in Loop: Header=BB327_4 Depth=2
	s_or_b64 exec, exec, s[28:29]
	v_lshrrev_b64 v[37:38], v2, v[14:15]
	v_and_b32_e32 v1, 0xff, v37
	v_mul_u32_u24_e32 v39, 20, v1
	v_mad_u32_u24 v1, v1, 20, v84
	; wave barrier
	ds_read_b32 v45, v1 offset:20
	v_and_b32_e32 v1, 1, v37
	v_add_co_u32_e32 v38, vcc, -1, v1
	v_addc_co_u32_e64 v40, s[28:29], 0, -1, vcc
	v_cmp_ne_u32_e32 vcc, 0, v1
	v_xor_b32_e32 v1, vcc_hi, v40
	v_and_b32_e32 v40, exec_hi, v1
	v_lshlrev_b32_e32 v1, 30, v37
	v_xor_b32_e32 v38, vcc_lo, v38
	v_cmp_gt_i64_e32 vcc, 0, v[0:1]
	v_not_b32_e32 v1, v1
	v_ashrrev_i32_e32 v1, 31, v1
	v_and_b32_e32 v38, exec_lo, v38
	v_xor_b32_e32 v46, vcc_hi, v1
	v_xor_b32_e32 v1, vcc_lo, v1
	v_and_b32_e32 v38, v38, v1
	v_lshlrev_b32_e32 v1, 29, v37
	v_cmp_gt_i64_e32 vcc, 0, v[0:1]
	v_not_b32_e32 v1, v1
	v_ashrrev_i32_e32 v1, 31, v1
	v_and_b32_e32 v40, v40, v46
	v_xor_b32_e32 v46, vcc_hi, v1
	v_xor_b32_e32 v1, vcc_lo, v1
	v_and_b32_e32 v38, v38, v1
	v_lshlrev_b32_e32 v1, 28, v37
	v_cmp_gt_i64_e32 vcc, 0, v[0:1]
	v_not_b32_e32 v1, v1
	v_ashrrev_i32_e32 v1, 31, v1
	v_and_b32_e32 v40, v40, v46
	;; [unrolled: 8-line block ×5, first 2 shown]
	v_xor_b32_e32 v46, vcc_hi, v1
	v_xor_b32_e32 v1, vcc_lo, v1
	v_and_b32_e32 v40, v40, v46
	v_and_b32_e32 v46, v38, v1
	v_lshlrev_b32_e32 v1, 24, v37
	v_cmp_gt_i64_e32 vcc, 0, v[0:1]
	v_not_b32_e32 v1, v1
	v_ashrrev_i32_e32 v1, 31, v1
	v_xor_b32_e32 v37, vcc_hi, v1
	v_xor_b32_e32 v1, vcc_lo, v1
	v_and_b32_e32 v38, v40, v37
	v_and_b32_e32 v37, v46, v1
	v_mbcnt_lo_u32_b32 v1, v37, 0
	v_mbcnt_hi_u32_b32 v46, v38, v1
	v_cmp_ne_u64_e32 vcc, 0, v[37:38]
	v_cmp_eq_u32_e64 s[28:29], 0, v46
	s_and_b64 s[38:39], vcc, s[28:29]
	v_add_u32_e32 v47, v84, v39
	; wave barrier
	s_and_saveexec_b64 s[28:29], s[38:39]
	s_cbranch_execz .LBB327_10
; %bb.9:                                ;   in Loop: Header=BB327_4 Depth=2
	v_bcnt_u32_b32 v1, v37, 0
	v_bcnt_u32_b32 v1, v38, v1
	s_waitcnt lgkmcnt(0)
	v_add_u32_e32 v1, v45, v1
	ds_write_b32 v47, v1 offset:20
.LBB327_10:                             ;   in Loop: Header=BB327_4 Depth=2
	s_or_b64 exec, exec, s[28:29]
	v_lshrrev_b64 v[37:38], v2, v[12:13]
	v_and_b32_e32 v1, 0xff, v37
	v_mul_u32_u24_e32 v39, 20, v1
	v_mad_u32_u24 v1, v1, 20, v84
	; wave barrier
	ds_read_b32 v48, v1 offset:20
	v_and_b32_e32 v1, 1, v37
	v_add_co_u32_e32 v38, vcc, -1, v1
	v_addc_co_u32_e64 v40, s[28:29], 0, -1, vcc
	v_cmp_ne_u32_e32 vcc, 0, v1
	v_xor_b32_e32 v1, vcc_hi, v40
	v_and_b32_e32 v40, exec_hi, v1
	v_lshlrev_b32_e32 v1, 30, v37
	v_xor_b32_e32 v38, vcc_lo, v38
	v_cmp_gt_i64_e32 vcc, 0, v[0:1]
	v_not_b32_e32 v1, v1
	v_ashrrev_i32_e32 v1, 31, v1
	v_and_b32_e32 v38, exec_lo, v38
	v_xor_b32_e32 v49, vcc_hi, v1
	v_xor_b32_e32 v1, vcc_lo, v1
	v_and_b32_e32 v38, v38, v1
	v_lshlrev_b32_e32 v1, 29, v37
	v_cmp_gt_i64_e32 vcc, 0, v[0:1]
	v_not_b32_e32 v1, v1
	v_ashrrev_i32_e32 v1, 31, v1
	v_and_b32_e32 v40, v40, v49
	v_xor_b32_e32 v49, vcc_hi, v1
	v_xor_b32_e32 v1, vcc_lo, v1
	v_and_b32_e32 v38, v38, v1
	v_lshlrev_b32_e32 v1, 28, v37
	v_cmp_gt_i64_e32 vcc, 0, v[0:1]
	v_not_b32_e32 v1, v1
	v_ashrrev_i32_e32 v1, 31, v1
	v_and_b32_e32 v40, v40, v49
	;; [unrolled: 8-line block ×5, first 2 shown]
	v_xor_b32_e32 v49, vcc_hi, v1
	v_xor_b32_e32 v1, vcc_lo, v1
	v_and_b32_e32 v40, v40, v49
	v_and_b32_e32 v49, v38, v1
	v_lshlrev_b32_e32 v1, 24, v37
	v_cmp_gt_i64_e32 vcc, 0, v[0:1]
	v_not_b32_e32 v1, v1
	v_ashrrev_i32_e32 v1, 31, v1
	v_xor_b32_e32 v37, vcc_hi, v1
	v_xor_b32_e32 v1, vcc_lo, v1
	v_and_b32_e32 v38, v40, v37
	v_and_b32_e32 v37, v49, v1
	v_mbcnt_lo_u32_b32 v1, v37, 0
	v_mbcnt_hi_u32_b32 v49, v38, v1
	v_cmp_ne_u64_e32 vcc, 0, v[37:38]
	v_cmp_eq_u32_e64 s[28:29], 0, v49
	s_and_b64 s[38:39], vcc, s[28:29]
	v_add_u32_e32 v50, v84, v39
	; wave barrier
	s_and_saveexec_b64 s[28:29], s[38:39]
	s_cbranch_execz .LBB327_12
; %bb.11:                               ;   in Loop: Header=BB327_4 Depth=2
	v_bcnt_u32_b32 v1, v37, 0
	v_bcnt_u32_b32 v1, v38, v1
	s_waitcnt lgkmcnt(0)
	v_add_u32_e32 v1, v48, v1
	ds_write_b32 v50, v1 offset:20
.LBB327_12:                             ;   in Loop: Header=BB327_4 Depth=2
	s_or_b64 exec, exec, s[28:29]
	v_lshrrev_b64 v[37:38], v2, v[10:11]
	v_and_b32_e32 v1, 0xff, v37
	v_mul_u32_u24_e32 v39, 20, v1
	v_mad_u32_u24 v1, v1, 20, v84
	; wave barrier
	ds_read_b32 v51, v1 offset:20
	v_and_b32_e32 v1, 1, v37
	v_add_co_u32_e32 v38, vcc, -1, v1
	v_addc_co_u32_e64 v40, s[28:29], 0, -1, vcc
	v_cmp_ne_u32_e32 vcc, 0, v1
	v_xor_b32_e32 v1, vcc_hi, v40
	v_and_b32_e32 v40, exec_hi, v1
	v_lshlrev_b32_e32 v1, 30, v37
	v_xor_b32_e32 v38, vcc_lo, v38
	v_cmp_gt_i64_e32 vcc, 0, v[0:1]
	v_not_b32_e32 v1, v1
	v_ashrrev_i32_e32 v1, 31, v1
	v_and_b32_e32 v38, exec_lo, v38
	v_xor_b32_e32 v52, vcc_hi, v1
	v_xor_b32_e32 v1, vcc_lo, v1
	v_and_b32_e32 v38, v38, v1
	v_lshlrev_b32_e32 v1, 29, v37
	v_cmp_gt_i64_e32 vcc, 0, v[0:1]
	v_not_b32_e32 v1, v1
	v_ashrrev_i32_e32 v1, 31, v1
	v_and_b32_e32 v40, v40, v52
	v_xor_b32_e32 v52, vcc_hi, v1
	v_xor_b32_e32 v1, vcc_lo, v1
	v_and_b32_e32 v38, v38, v1
	v_lshlrev_b32_e32 v1, 28, v37
	v_cmp_gt_i64_e32 vcc, 0, v[0:1]
	v_not_b32_e32 v1, v1
	v_ashrrev_i32_e32 v1, 31, v1
	v_and_b32_e32 v40, v40, v52
	;; [unrolled: 8-line block ×5, first 2 shown]
	v_xor_b32_e32 v52, vcc_hi, v1
	v_xor_b32_e32 v1, vcc_lo, v1
	v_and_b32_e32 v40, v40, v52
	v_and_b32_e32 v52, v38, v1
	v_lshlrev_b32_e32 v1, 24, v37
	v_cmp_gt_i64_e32 vcc, 0, v[0:1]
	v_not_b32_e32 v1, v1
	v_ashrrev_i32_e32 v1, 31, v1
	v_xor_b32_e32 v37, vcc_hi, v1
	v_xor_b32_e32 v1, vcc_lo, v1
	v_and_b32_e32 v38, v40, v37
	v_and_b32_e32 v37, v52, v1
	v_mbcnt_lo_u32_b32 v1, v37, 0
	v_mbcnt_hi_u32_b32 v52, v38, v1
	v_cmp_ne_u64_e32 vcc, 0, v[37:38]
	v_cmp_eq_u32_e64 s[28:29], 0, v52
	s_and_b64 s[38:39], vcc, s[28:29]
	v_add_u32_e32 v53, v84, v39
	; wave barrier
	s_and_saveexec_b64 s[28:29], s[38:39]
	s_cbranch_execz .LBB327_14
; %bb.13:                               ;   in Loop: Header=BB327_4 Depth=2
	v_bcnt_u32_b32 v1, v37, 0
	v_bcnt_u32_b32 v1, v38, v1
	s_waitcnt lgkmcnt(0)
	v_add_u32_e32 v1, v51, v1
	ds_write_b32 v53, v1 offset:20
.LBB327_14:                             ;   in Loop: Header=BB327_4 Depth=2
	s_or_b64 exec, exec, s[28:29]
	v_lshrrev_b64 v[37:38], v2, v[8:9]
	v_and_b32_e32 v1, 0xff, v37
	v_mul_u32_u24_e32 v39, 20, v1
	v_mad_u32_u24 v1, v1, 20, v84
	; wave barrier
	ds_read_b32 v54, v1 offset:20
	v_and_b32_e32 v1, 1, v37
	v_add_co_u32_e32 v38, vcc, -1, v1
	v_addc_co_u32_e64 v40, s[28:29], 0, -1, vcc
	v_cmp_ne_u32_e32 vcc, 0, v1
	v_xor_b32_e32 v1, vcc_hi, v40
	v_and_b32_e32 v40, exec_hi, v1
	v_lshlrev_b32_e32 v1, 30, v37
	v_xor_b32_e32 v38, vcc_lo, v38
	v_cmp_gt_i64_e32 vcc, 0, v[0:1]
	v_not_b32_e32 v1, v1
	v_ashrrev_i32_e32 v1, 31, v1
	v_and_b32_e32 v38, exec_lo, v38
	v_xor_b32_e32 v55, vcc_hi, v1
	v_xor_b32_e32 v1, vcc_lo, v1
	v_and_b32_e32 v38, v38, v1
	v_lshlrev_b32_e32 v1, 29, v37
	v_cmp_gt_i64_e32 vcc, 0, v[0:1]
	v_not_b32_e32 v1, v1
	v_ashrrev_i32_e32 v1, 31, v1
	v_and_b32_e32 v40, v40, v55
	v_xor_b32_e32 v55, vcc_hi, v1
	v_xor_b32_e32 v1, vcc_lo, v1
	v_and_b32_e32 v38, v38, v1
	v_lshlrev_b32_e32 v1, 28, v37
	v_cmp_gt_i64_e32 vcc, 0, v[0:1]
	v_not_b32_e32 v1, v1
	v_ashrrev_i32_e32 v1, 31, v1
	v_and_b32_e32 v40, v40, v55
	;; [unrolled: 8-line block ×5, first 2 shown]
	v_xor_b32_e32 v55, vcc_hi, v1
	v_xor_b32_e32 v1, vcc_lo, v1
	v_and_b32_e32 v40, v40, v55
	v_and_b32_e32 v55, v38, v1
	v_lshlrev_b32_e32 v1, 24, v37
	v_cmp_gt_i64_e32 vcc, 0, v[0:1]
	v_not_b32_e32 v1, v1
	v_ashrrev_i32_e32 v1, 31, v1
	v_xor_b32_e32 v37, vcc_hi, v1
	v_xor_b32_e32 v1, vcc_lo, v1
	v_and_b32_e32 v38, v40, v37
	v_and_b32_e32 v37, v55, v1
	v_mbcnt_lo_u32_b32 v1, v37, 0
	v_mbcnt_hi_u32_b32 v55, v38, v1
	v_cmp_ne_u64_e32 vcc, 0, v[37:38]
	v_cmp_eq_u32_e64 s[28:29], 0, v55
	s_and_b64 s[38:39], vcc, s[28:29]
	v_add_u32_e32 v56, v84, v39
	; wave barrier
	s_and_saveexec_b64 s[28:29], s[38:39]
	s_cbranch_execz .LBB327_16
; %bb.15:                               ;   in Loop: Header=BB327_4 Depth=2
	v_bcnt_u32_b32 v1, v37, 0
	v_bcnt_u32_b32 v1, v38, v1
	s_waitcnt lgkmcnt(0)
	v_add_u32_e32 v1, v54, v1
	ds_write_b32 v56, v1 offset:20
.LBB327_16:                             ;   in Loop: Header=BB327_4 Depth=2
	s_or_b64 exec, exec, s[28:29]
	v_lshrrev_b64 v[37:38], v2, v[6:7]
	v_and_b32_e32 v1, 0xff, v37
	v_mul_u32_u24_e32 v39, 20, v1
	v_mad_u32_u24 v1, v1, 20, v84
	; wave barrier
	ds_read_b32 v57, v1 offset:20
	v_and_b32_e32 v1, 1, v37
	v_add_co_u32_e32 v38, vcc, -1, v1
	v_addc_co_u32_e64 v40, s[28:29], 0, -1, vcc
	v_cmp_ne_u32_e32 vcc, 0, v1
	v_xor_b32_e32 v1, vcc_hi, v40
	v_and_b32_e32 v40, exec_hi, v1
	v_lshlrev_b32_e32 v1, 30, v37
	v_xor_b32_e32 v38, vcc_lo, v38
	v_cmp_gt_i64_e32 vcc, 0, v[0:1]
	v_not_b32_e32 v1, v1
	v_ashrrev_i32_e32 v1, 31, v1
	v_and_b32_e32 v38, exec_lo, v38
	v_xor_b32_e32 v58, vcc_hi, v1
	v_xor_b32_e32 v1, vcc_lo, v1
	v_and_b32_e32 v38, v38, v1
	v_lshlrev_b32_e32 v1, 29, v37
	v_cmp_gt_i64_e32 vcc, 0, v[0:1]
	v_not_b32_e32 v1, v1
	v_ashrrev_i32_e32 v1, 31, v1
	v_and_b32_e32 v40, v40, v58
	v_xor_b32_e32 v58, vcc_hi, v1
	v_xor_b32_e32 v1, vcc_lo, v1
	v_and_b32_e32 v38, v38, v1
	v_lshlrev_b32_e32 v1, 28, v37
	v_cmp_gt_i64_e32 vcc, 0, v[0:1]
	v_not_b32_e32 v1, v1
	v_ashrrev_i32_e32 v1, 31, v1
	v_and_b32_e32 v40, v40, v58
	;; [unrolled: 8-line block ×5, first 2 shown]
	v_xor_b32_e32 v58, vcc_hi, v1
	v_xor_b32_e32 v1, vcc_lo, v1
	v_and_b32_e32 v40, v40, v58
	v_and_b32_e32 v58, v38, v1
	v_lshlrev_b32_e32 v1, 24, v37
	v_cmp_gt_i64_e32 vcc, 0, v[0:1]
	v_not_b32_e32 v1, v1
	v_ashrrev_i32_e32 v1, 31, v1
	v_xor_b32_e32 v37, vcc_hi, v1
	v_xor_b32_e32 v1, vcc_lo, v1
	v_and_b32_e32 v38, v40, v37
	v_and_b32_e32 v37, v58, v1
	v_mbcnt_lo_u32_b32 v1, v37, 0
	v_mbcnt_hi_u32_b32 v58, v38, v1
	v_cmp_ne_u64_e32 vcc, 0, v[37:38]
	v_cmp_eq_u32_e64 s[28:29], 0, v58
	s_and_b64 s[38:39], vcc, s[28:29]
	v_add_u32_e32 v59, v84, v39
	; wave barrier
	s_and_saveexec_b64 s[28:29], s[38:39]
	s_cbranch_execz .LBB327_18
; %bb.17:                               ;   in Loop: Header=BB327_4 Depth=2
	v_bcnt_u32_b32 v1, v37, 0
	v_bcnt_u32_b32 v1, v38, v1
	s_waitcnt lgkmcnt(0)
	v_add_u32_e32 v1, v57, v1
	ds_write_b32 v59, v1 offset:20
.LBB327_18:                             ;   in Loop: Header=BB327_4 Depth=2
	s_or_b64 exec, exec, s[28:29]
	v_lshrrev_b64 v[37:38], v2, v[4:5]
	v_and_b32_e32 v1, 0xff, v37
	v_mul_u32_u24_e32 v39, 20, v1
	v_mad_u32_u24 v1, v1, 20, v84
	; wave barrier
	ds_read_b32 v60, v1 offset:20
	v_and_b32_e32 v1, 1, v37
	v_add_co_u32_e32 v38, vcc, -1, v1
	v_addc_co_u32_e64 v40, s[28:29], 0, -1, vcc
	v_cmp_ne_u32_e32 vcc, 0, v1
	v_xor_b32_e32 v1, vcc_hi, v40
	v_and_b32_e32 v40, exec_hi, v1
	v_lshlrev_b32_e32 v1, 30, v37
	v_xor_b32_e32 v38, vcc_lo, v38
	v_cmp_gt_i64_e32 vcc, 0, v[0:1]
	v_not_b32_e32 v1, v1
	v_ashrrev_i32_e32 v1, 31, v1
	v_and_b32_e32 v38, exec_lo, v38
	v_xor_b32_e32 v61, vcc_hi, v1
	v_xor_b32_e32 v1, vcc_lo, v1
	v_and_b32_e32 v38, v38, v1
	v_lshlrev_b32_e32 v1, 29, v37
	v_cmp_gt_i64_e32 vcc, 0, v[0:1]
	v_not_b32_e32 v1, v1
	v_ashrrev_i32_e32 v1, 31, v1
	v_and_b32_e32 v40, v40, v61
	v_xor_b32_e32 v61, vcc_hi, v1
	v_xor_b32_e32 v1, vcc_lo, v1
	v_and_b32_e32 v38, v38, v1
	v_lshlrev_b32_e32 v1, 28, v37
	v_cmp_gt_i64_e32 vcc, 0, v[0:1]
	v_not_b32_e32 v1, v1
	v_ashrrev_i32_e32 v1, 31, v1
	v_and_b32_e32 v40, v40, v61
	;; [unrolled: 8-line block ×5, first 2 shown]
	v_xor_b32_e32 v61, vcc_hi, v1
	v_xor_b32_e32 v1, vcc_lo, v1
	v_and_b32_e32 v40, v40, v61
	v_and_b32_e32 v61, v38, v1
	v_lshlrev_b32_e32 v1, 24, v37
	v_cmp_gt_i64_e32 vcc, 0, v[0:1]
	v_not_b32_e32 v1, v1
	v_ashrrev_i32_e32 v1, 31, v1
	v_xor_b32_e32 v37, vcc_hi, v1
	v_xor_b32_e32 v1, vcc_lo, v1
	v_and_b32_e32 v38, v40, v37
	v_and_b32_e32 v37, v61, v1
	v_mbcnt_lo_u32_b32 v1, v37, 0
	v_mbcnt_hi_u32_b32 v61, v38, v1
	v_cmp_ne_u64_e32 vcc, 0, v[37:38]
	v_cmp_eq_u32_e64 s[28:29], 0, v61
	s_and_b64 s[38:39], vcc, s[28:29]
	v_add_u32_e32 v62, v84, v39
	; wave barrier
	s_and_saveexec_b64 s[28:29], s[38:39]
	s_cbranch_execz .LBB327_20
; %bb.19:                               ;   in Loop: Header=BB327_4 Depth=2
	v_bcnt_u32_b32 v1, v37, 0
	v_bcnt_u32_b32 v1, v38, v1
	s_waitcnt lgkmcnt(0)
	v_add_u32_e32 v1, v60, v1
	ds_write_b32 v62, v1 offset:20
.LBB327_20:                             ;   in Loop: Header=BB327_4 Depth=2
	s_or_b64 exec, exec, s[28:29]
	; wave barrier
	s_waitcnt lgkmcnt(0)
	s_barrier
	ds_read2_b32 v[39:40], v79 offset0:5 offset1:6
	ds_read2_b32 v[37:38], v79 offset0:7 offset1:8
	s_waitcnt lgkmcnt(1)
	v_add_u32_e32 v1, v40, v39
	s_waitcnt lgkmcnt(0)
	v_add3_u32 v1, v1, v37, v38
	s_nop 1
	v_mov_b32_dpp v38, v1 row_shr:1 row_mask:0xf bank_mask:0xf
	v_cndmask_b32_e64 v38, v38, 0, s[0:1]
	v_add_u32_e32 v1, v38, v1
	s_nop 1
	v_mov_b32_dpp v38, v1 row_shr:2 row_mask:0xf bank_mask:0xf
	v_cndmask_b32_e64 v38, 0, v38, s[2:3]
	v_add_u32_e32 v1, v1, v38
	;; [unrolled: 4-line block ×4, first 2 shown]
	s_nop 1
	v_mov_b32_dpp v38, v1 row_bcast:15 row_mask:0xf bank_mask:0xf
	v_cndmask_b32_e64 v38, v38, 0, s[8:9]
	v_add_u32_e32 v1, v1, v38
	s_nop 1
	v_mov_b32_dpp v38, v1 row_bcast:31 row_mask:0xf bank_mask:0xf
	v_cndmask_b32_e64 v38, 0, v38, s[10:11]
	v_add_u32_e32 v1, v1, v38
	s_and_saveexec_b64 s[28:29], s[12:13]
; %bb.21:                               ;   in Loop: Header=BB327_4 Depth=2
	ds_write_b32 v81, v1
; %bb.22:                               ;   in Loop: Header=BB327_4 Depth=2
	s_or_b64 exec, exec, s[28:29]
	s_waitcnt lgkmcnt(0)
	s_barrier
	s_and_saveexec_b64 s[28:29], s[14:15]
	s_cbranch_execz .LBB327_24
; %bb.23:                               ;   in Loop: Header=BB327_4 Depth=2
	ds_read_b32 v38, v82
	s_waitcnt lgkmcnt(0)
	s_nop 0
	v_mov_b32_dpp v63, v38 row_shr:1 row_mask:0xf bank_mask:0xf
	v_cndmask_b32_e64 v63, v63, 0, s[22:23]
	v_add_u32_e32 v38, v63, v38
	s_nop 1
	v_mov_b32_dpp v63, v38 row_shr:2 row_mask:0xf bank_mask:0xf
	v_cndmask_b32_e64 v63, 0, v63, s[24:25]
	v_add_u32_e32 v38, v38, v63
	;; [unrolled: 4-line block ×3, first 2 shown]
	ds_write_b32 v82, v38
.LBB327_24:                             ;   in Loop: Header=BB327_4 Depth=2
	s_or_b64 exec, exec, s[28:29]
	v_mov_b32_e32 v38, 0
	s_waitcnt lgkmcnt(0)
	s_barrier
	s_and_saveexec_b64 s[28:29], s[16:17]
; %bb.25:                               ;   in Loop: Header=BB327_4 Depth=2
	ds_read_b32 v38, v83
; %bb.26:                               ;   in Loop: Header=BB327_4 Depth=2
	s_or_b64 exec, exec, s[28:29]
	s_waitcnt lgkmcnt(0)
	v_add_u32_e32 v1, v38, v1
	ds_bpermute_b32 v1, v80, v1
	v_cmp_lt_u32_e32 vcc, 55, v2
	s_and_b64 vcc, exec, vcc
	s_mov_b64 s[28:29], -1
                                        ; implicit-def: $vgpr67_vgpr68
                                        ; implicit-def: $vgpr65_vgpr66
                                        ; implicit-def: $vgpr63_vgpr64
	s_waitcnt lgkmcnt(0)
	v_cndmask_b32_e64 v1, v1, v38, s[18:19]
	v_cndmask_b32_e64 v1, v1, 0, s[20:21]
	v_add_u32_e32 v38, v1, v39
	v_add_u32_e32 v39, v38, v40
	ds_write2_b32 v79, v1, v38 offset0:5 offset1:6
	v_add_u32_e32 v1, v39, v37
	ds_write2_b32 v79, v39, v1 offset0:7 offset1:8
	s_waitcnt lgkmcnt(0)
	s_barrier
	ds_read_b32 v1, v41 offset:20
	ds_read_b32 v37, v44 offset:20
	;; [unrolled: 1-line block ×3, first 2 shown]
	s_waitcnt lgkmcnt(2)
	v_add_u32_e32 v18, v1, v18
	s_waitcnt lgkmcnt(1)
	v_add3_u32 v1, v43, v42, v37
	ds_read_b32 v37, v50 offset:20
	s_waitcnt lgkmcnt(1)
	v_add3_u32 v87, v46, v45, v38
	ds_read_b32 v38, v53 offset:20
	ds_read_b32 v39, v56 offset:20
	;; [unrolled: 1-line block ×4, first 2 shown]
                                        ; implicit-def: $vgpr45_vgpr46
                                        ; implicit-def: $vgpr43_vgpr44
	s_waitcnt lgkmcnt(3)
	v_add3_u32 v91, v52, v51, v38
	v_add3_u32 v92, v49, v48, v37
	s_waitcnt lgkmcnt(2)
	v_add3_u32 v90, v55, v54, v39
	s_waitcnt lgkmcnt(1)
	;; [unrolled: 2-line block ×3, first 2 shown]
	v_add3_u32 v88, v61, v60, v41
                                        ; implicit-def: $vgpr51_vgpr52
                                        ; implicit-def: $vgpr49_vgpr50
                                        ; implicit-def: $vgpr47_vgpr48
                                        ; implicit-def: $vgpr41_vgpr42
                                        ; implicit-def: $vgpr39_vgpr40
                                        ; implicit-def: $vgpr37_vgpr38
                                        ; implicit-def: $vgpr61_vgpr62
                                        ; implicit-def: $vgpr59_vgpr60
                                        ; implicit-def: $vgpr57_vgpr58
                                        ; implicit-def: $vgpr55_vgpr56
                                        ; implicit-def: $vgpr53_vgpr54
	s_cbranch_vccnz .LBB327_3
; %bb.27:                               ;   in Loop: Header=BB327_4 Depth=2
	v_lshrrev_b32_e32 v37, 2, v18
	v_and_b32_e32 v37, 0x3ffffff8, v37
	v_lshl_add_u32 v53, v18, 3, v37
	v_lshrrev_b32_e32 v37, 2, v1
	v_and_b32_e32 v37, 0x3ffffff8, v37
	v_lshl_add_u32 v54, v1, 3, v37
	;; [unrolled: 3-line block ×8, first 2 shown]
	s_barrier
	ds_write_b64 v53, v[35:36]
	ds_write_b64 v54, v[16:17]
	;; [unrolled: 1-line block ×8, first 2 shown]
	s_waitcnt lgkmcnt(0)
	s_barrier
	ds_read_b64 v[37:38], v71
	ds_read_b64 v[39:40], v72 offset:512
	ds_read_b64 v[41:42], v73 offset:1024
	;; [unrolled: 1-line block ×7, first 2 shown]
	s_waitcnt lgkmcnt(0)
	s_barrier
	ds_write_b64 v53, v[33:34]
	ds_write_b64 v54, v[31:32]
	ds_write_b64 v55, v[29:30]
	ds_write_b64 v56, v[27:28]
	ds_write_b64 v57, v[25:26]
	ds_write_b64 v58, v[23:24]
	ds_write_b64 v59, v[21:22]
	ds_write_b64 v60, v[19:20]
	s_waitcnt lgkmcnt(0)
	s_barrier
	ds_read_b64 v[53:54], v71
	ds_read_b64 v[55:56], v72 offset:512
	ds_read_b64 v[57:58], v73 offset:1024
	ds_read_b64 v[59:60], v74 offset:1536
	ds_read_b64 v[61:62], v75 offset:2048
	ds_read_b64 v[63:64], v76 offset:2560
	ds_read_b64 v[65:66], v77 offset:3072
	ds_read_b64 v[67:68], v78 offset:3584
	v_add_co_u32_e32 v2, vcc, 8, v2
	v_addc_co_u32_e32 v3, vcc, 0, v3, vcc
	s_mov_b64 s[28:29], 0
	s_waitcnt lgkmcnt(0)
	s_barrier
	s_branch .LBB327_3
.LBB327_28:
	s_waitcnt lgkmcnt(3)
	v_add_co_u32_e32 v0, vcc, v15, v31
	v_addc_co_u32_e32 v1, vcc, v16, v32, vcc
	v_add_co_u32_e32 v15, vcc, v17, v33
	v_addc_co_u32_e32 v16, vcc, v18, v34, vcc
	s_waitcnt lgkmcnt(2)
	v_add_co_u32_e32 v11, vcc, v11, v27
	v_addc_co_u32_e32 v12, vcc, v12, v28, vcc
	v_add_co_u32_e32 v13, vcc, v13, v29
	v_addc_co_u32_e32 v14, vcc, v14, v30, vcc
	;; [unrolled: 5-line block ×3, first 2 shown]
	s_waitcnt lgkmcnt(0)
	v_add_co_u32_e32 v2, vcc, v3, v19
	v_addc_co_u32_e32 v3, vcc, v4, v20, vcc
	v_add_co_u32_e32 v4, vcc, v5, v21
	s_add_u32 s0, s30, s34
	v_addc_co_u32_e32 v5, vcc, v6, v22, vcc
	s_addc_u32 s1, s31, s35
	v_mov_b32_e32 v6, s1
	v_add_co_u32_e32 v17, vcc, s0, v69
	v_addc_co_u32_e32 v6, vcc, 0, v6, vcc
	global_store_dwordx2 v69, v[0:1], s[0:1]
	global_store_dwordx2 v69, v[15:16], s[0:1] offset:2560
	s_movk_i32 s0, 0x1000
	v_add_co_u32_e32 v0, vcc, s0, v17
	v_addc_co_u32_e32 v1, vcc, 0, v6, vcc
	s_movk_i32 s0, 0x2000
	global_store_dwordx2 v[0:1], v[11:12], off offset:1024
	global_store_dwordx2 v[0:1], v[13:14], off offset:3584
	v_add_co_u32_e32 v0, vcc, s0, v17
	v_addc_co_u32_e32 v1, vcc, 0, v6, vcc
	global_store_dwordx2 v[0:1], v[7:8], off offset:2048
	v_add_co_u32_e32 v0, vcc, 0x3000, v17
	v_addc_co_u32_e32 v1, vcc, 0, v6, vcc
	global_store_dwordx2 v[0:1], v[9:10], off offset:512
	global_store_dwordx2 v[0:1], v[2:3], off offset:3072
	v_add_co_u32_e32 v0, vcc, 0x4000, v17
	v_addc_co_u32_e32 v1, vcc, 0, v6, vcc
	global_store_dwordx2 v[0:1], v[4:5], off offset:1536
	s_endpgm
	.section	.rodata,"a",@progbits
	.p2align	6, 0x0
	.amdhsa_kernel _Z17sort_pairs_kernelI22helper_blocked_stripedxLj320ELj8ELj10EEvPKT0_PS1_
		.amdhsa_group_segment_fixed_size 21120
		.amdhsa_private_segment_fixed_size 0
		.amdhsa_kernarg_size 272
		.amdhsa_user_sgpr_count 6
		.amdhsa_user_sgpr_private_segment_buffer 1
		.amdhsa_user_sgpr_dispatch_ptr 0
		.amdhsa_user_sgpr_queue_ptr 0
		.amdhsa_user_sgpr_kernarg_segment_ptr 1
		.amdhsa_user_sgpr_dispatch_id 0
		.amdhsa_user_sgpr_flat_scratch_init 0
		.amdhsa_user_sgpr_private_segment_size 0
		.amdhsa_uses_dynamic_stack 0
		.amdhsa_system_sgpr_private_segment_wavefront_offset 0
		.amdhsa_system_sgpr_workgroup_id_x 1
		.amdhsa_system_sgpr_workgroup_id_y 0
		.amdhsa_system_sgpr_workgroup_id_z 0
		.amdhsa_system_sgpr_workgroup_info 0
		.amdhsa_system_vgpr_workitem_id 2
		.amdhsa_next_free_vgpr 93
		.amdhsa_next_free_sgpr 98
		.amdhsa_reserve_vcc 1
		.amdhsa_reserve_flat_scratch 0
		.amdhsa_float_round_mode_32 0
		.amdhsa_float_round_mode_16_64 0
		.amdhsa_float_denorm_mode_32 3
		.amdhsa_float_denorm_mode_16_64 3
		.amdhsa_dx10_clamp 1
		.amdhsa_ieee_mode 1
		.amdhsa_fp16_overflow 0
		.amdhsa_exception_fp_ieee_invalid_op 0
		.amdhsa_exception_fp_denorm_src 0
		.amdhsa_exception_fp_ieee_div_zero 0
		.amdhsa_exception_fp_ieee_overflow 0
		.amdhsa_exception_fp_ieee_underflow 0
		.amdhsa_exception_fp_ieee_inexact 0
		.amdhsa_exception_int_div_zero 0
	.end_amdhsa_kernel
	.section	.text._Z17sort_pairs_kernelI22helper_blocked_stripedxLj320ELj8ELj10EEvPKT0_PS1_,"axG",@progbits,_Z17sort_pairs_kernelI22helper_blocked_stripedxLj320ELj8ELj10EEvPKT0_PS1_,comdat
.Lfunc_end327:
	.size	_Z17sort_pairs_kernelI22helper_blocked_stripedxLj320ELj8ELj10EEvPKT0_PS1_, .Lfunc_end327-_Z17sort_pairs_kernelI22helper_blocked_stripedxLj320ELj8ELj10EEvPKT0_PS1_
                                        ; -- End function
	.set _Z17sort_pairs_kernelI22helper_blocked_stripedxLj320ELj8ELj10EEvPKT0_PS1_.num_vgpr, 93
	.set _Z17sort_pairs_kernelI22helper_blocked_stripedxLj320ELj8ELj10EEvPKT0_PS1_.num_agpr, 0
	.set _Z17sort_pairs_kernelI22helper_blocked_stripedxLj320ELj8ELj10EEvPKT0_PS1_.numbered_sgpr, 40
	.set _Z17sort_pairs_kernelI22helper_blocked_stripedxLj320ELj8ELj10EEvPKT0_PS1_.num_named_barrier, 0
	.set _Z17sort_pairs_kernelI22helper_blocked_stripedxLj320ELj8ELj10EEvPKT0_PS1_.private_seg_size, 0
	.set _Z17sort_pairs_kernelI22helper_blocked_stripedxLj320ELj8ELj10EEvPKT0_PS1_.uses_vcc, 1
	.set _Z17sort_pairs_kernelI22helper_blocked_stripedxLj320ELj8ELj10EEvPKT0_PS1_.uses_flat_scratch, 0
	.set _Z17sort_pairs_kernelI22helper_blocked_stripedxLj320ELj8ELj10EEvPKT0_PS1_.has_dyn_sized_stack, 0
	.set _Z17sort_pairs_kernelI22helper_blocked_stripedxLj320ELj8ELj10EEvPKT0_PS1_.has_recursion, 0
	.set _Z17sort_pairs_kernelI22helper_blocked_stripedxLj320ELj8ELj10EEvPKT0_PS1_.has_indirect_call, 0
	.section	.AMDGPU.csdata,"",@progbits
; Kernel info:
; codeLenInByte = 5660
; TotalNumSgprs: 44
; NumVgprs: 93
; ScratchSize: 0
; MemoryBound: 0
; FloatMode: 240
; IeeeMode: 1
; LDSByteSize: 21120 bytes/workgroup (compile time only)
; SGPRBlocks: 12
; VGPRBlocks: 23
; NumSGPRsForWavesPerEU: 102
; NumVGPRsForWavesPerEU: 93
; Occupancy: 2
; WaveLimiterHint : 1
; COMPUTE_PGM_RSRC2:SCRATCH_EN: 0
; COMPUTE_PGM_RSRC2:USER_SGPR: 6
; COMPUTE_PGM_RSRC2:TRAP_HANDLER: 0
; COMPUTE_PGM_RSRC2:TGID_X_EN: 1
; COMPUTE_PGM_RSRC2:TGID_Y_EN: 0
; COMPUTE_PGM_RSRC2:TGID_Z_EN: 0
; COMPUTE_PGM_RSRC2:TIDIG_COMP_CNT: 2
	.section	.text._Z16sort_keys_kernelI22helper_blocked_stripedxLj512ELj1ELj10EEvPKT0_PS1_,"axG",@progbits,_Z16sort_keys_kernelI22helper_blocked_stripedxLj512ELj1ELj10EEvPKT0_PS1_,comdat
	.protected	_Z16sort_keys_kernelI22helper_blocked_stripedxLj512ELj1ELj10EEvPKT0_PS1_ ; -- Begin function _Z16sort_keys_kernelI22helper_blocked_stripedxLj512ELj1ELj10EEvPKT0_PS1_
	.globl	_Z16sort_keys_kernelI22helper_blocked_stripedxLj512ELj1ELj10EEvPKT0_PS1_
	.p2align	8
	.type	_Z16sort_keys_kernelI22helper_blocked_stripedxLj512ELj1ELj10EEvPKT0_PS1_,@function
_Z16sort_keys_kernelI22helper_blocked_stripedxLj512ELj1ELj10EEvPKT0_PS1_: ; @_Z16sort_keys_kernelI22helper_blocked_stripedxLj512ELj1ELj10EEvPKT0_PS1_
; %bb.0:
	s_load_dwordx4 s[28:31], s[4:5], 0x0
	s_load_dword s33, s[4:5], 0x1c
	s_lshl_b32 s36, s6, 9
	s_mov_b32 s37, 0
	s_lshl_b64 s[34:35], s[36:37], 3
	s_waitcnt lgkmcnt(0)
	s_add_u32 s0, s28, s34
	s_addc_u32 s1, s29, s35
	v_lshlrev_b32_e32 v3, 3, v0
	global_load_dwordx2 v[3:4], v3, s[0:1]
	s_lshr_b32 s28, s33, 16
	s_and_b32 s29, s33, 0xffff
	v_mad_u32_u24 v1, v2, s28, v1
	v_mbcnt_lo_u32_b32 v6, -1, 0
	v_mad_u64_u32 v[1:2], s[28:29], v1, s29, v[0:1]
	v_mbcnt_hi_u32_b32 v6, -1, v6
	v_and_b32_e32 v7, 0x1c0, v0
	v_lshrrev_b32_e32 v8, 4, v0
	s_mov_b32 s10, s37
	v_subrev_co_u32_e64 v13, s[8:9], 1, v6
	v_and_b32_e32 v14, 64, v6
	v_lshlrev_b32_e32 v15, 4, v0
	s_mov_b32 s11, s37
	v_and_b32_e32 v9, 15, v6
	v_and_b32_e32 v10, 16, v6
	v_or_b32_e32 v12, 63, v7
	v_and_b32_e32 v16, 28, v8
	v_lshlrev_b32_e32 v19, 3, v7
	s_mov_b32 s36, s37
	v_mov_b32_e32 v7, s10
	v_cmp_lt_i32_e32 vcc, v13, v14
	v_lshlrev_b32_e32 v11, 2, v0
	v_mad_i32_i24 v17, v0, -12, v15
	v_and_b32_e32 v18, 7, v6
	v_mov_b32_e32 v8, s11
	v_cmp_eq_u32_e64 s[10:11], 0, v9
	v_cmp_lt_u32_e64 s[12:13], 1, v9
	v_cmp_lt_u32_e64 s[14:15], 3, v9
	;; [unrolled: 1-line block ×3, first 2 shown]
	v_cmp_eq_u32_e64 s[18:19], 0, v10
	v_cmp_eq_u32_e64 s[20:21], v0, v12
	v_cndmask_b32_e32 v12, v13, v6, vcc
	v_mov_b32_e32 v9, s36
	v_lshrrev_b32_e32 v1, 4, v1
	v_mov_b32_e32 v5, 0
	v_cmp_gt_u32_e64 s[0:1], 8, v0
	v_cmp_lt_u32_e64 s[2:3], 63, v0
	v_cmp_eq_u32_e64 s[4:5], 0, v0
	v_cmp_lt_u32_e64 s[6:7], 31, v6
	v_cmp_eq_u32_e64 s[22:23], 0, v18
	v_cmp_lt_u32_e64 s[24:25], 1, v18
	v_cmp_lt_u32_e64 s[26:27], 3, v18
	v_add_u32_e32 v18, -4, v16
	v_lshl_add_u32 v19, v6, 3, v19
	v_mov_b32_e32 v10, s37
	v_lshlrev_b32_e32 v20, 2, v12
	v_and_b32_e32 v21, 0xffffffc, v1
	v_add_u32_e32 v22, v17, v11
	s_waitcnt vmcnt(0)
	v_xor_b32_e32 v4, 0x80000000, v4
	s_branch .LBB328_2
.LBB328_1:                              ;   in Loop: Header=BB328_2 Depth=1
	v_lshlrev_b32_e32 v1, 3, v1
	s_barrier
	ds_write_b64 v1, v[13:14]
	s_waitcnt lgkmcnt(0)
	s_barrier
	ds_read_b64 v[3:4], v22
	s_add_i32 s37, s37, 1
	s_cmp_eq_u32 s37, 10
	s_cbranch_scc1 .LBB328_14
.LBB328_2:                              ; =>This Loop Header: Depth=1
                                        ;     Child Loop BB328_4 Depth 2
	v_mov_b32_e32 v11, 0
	v_mov_b32_e32 v12, 0
	s_branch .LBB328_4
.LBB328_3:                              ;   in Loop: Header=BB328_4 Depth=2
	s_andn2_b64 vcc, exec, s[28:29]
	s_cbranch_vccz .LBB328_1
.LBB328_4:                              ;   Parent Loop BB328_2 Depth=1
                                        ; =>  This Inner Loop Header: Depth=2
	s_waitcnt lgkmcnt(0)
	v_mov_b32_e32 v14, v4
	v_mov_b32_e32 v13, v3
	v_lshrrev_b64 v[3:4], v11, v[13:14]
	ds_write2_b64 v15, v[9:10], v[7:8] offset0:4 offset1:5
	v_and_b32_e32 v1, 1, v3
	v_cmp_ne_u32_e32 vcc, 0, v1
	v_add_co_u32_e64 v1, s[28:29], -1, v1
	v_addc_co_u32_e64 v2, s[28:29], 0, -1, s[28:29]
	v_lshlrev_b32_e32 v6, 30, v3
	v_cmp_gt_i64_e64 s[28:29], 0, v[5:6]
	v_not_b32_e32 v4, v6
	v_xor_b32_e32 v2, vcc_hi, v2
	v_ashrrev_i32_e32 v4, 31, v4
	v_and_b32_e32 v2, exec_hi, v2
	v_xor_b32_e32 v6, s29, v4
	v_xor_b32_e32 v1, vcc_lo, v1
	v_and_b32_e32 v2, v2, v6
	v_and_b32_e32 v1, exec_lo, v1
	v_xor_b32_e32 v4, s28, v4
	v_lshlrev_b32_e32 v6, 29, v3
	v_and_b32_e32 v1, v1, v4
	v_cmp_gt_i64_e32 vcc, 0, v[5:6]
	v_not_b32_e32 v4, v6
	v_ashrrev_i32_e32 v4, 31, v4
	v_xor_b32_e32 v6, vcc_hi, v4
	v_and_b32_e32 v2, v2, v6
	v_xor_b32_e32 v4, vcc_lo, v4
	v_lshlrev_b32_e32 v6, 28, v3
	v_and_b32_e32 v1, v1, v4
	v_cmp_gt_i64_e32 vcc, 0, v[5:6]
	v_not_b32_e32 v4, v6
	v_ashrrev_i32_e32 v4, 31, v4
	v_xor_b32_e32 v6, vcc_hi, v4
	v_and_b32_e32 v2, v2, v6
	v_xor_b32_e32 v4, vcc_lo, v4
	v_lshlrev_b32_e32 v6, 27, v3
	v_and_b32_e32 v1, v1, v4
	v_cmp_gt_i64_e32 vcc, 0, v[5:6]
	v_not_b32_e32 v4, v6
	v_ashrrev_i32_e32 v4, 31, v4
	v_xor_b32_e32 v6, vcc_hi, v4
	v_and_b32_e32 v2, v2, v6
	v_xor_b32_e32 v4, vcc_lo, v4
	v_lshlrev_b32_e32 v6, 26, v3
	v_and_b32_e32 v1, v1, v4
	v_cmp_gt_i64_e32 vcc, 0, v[5:6]
	v_not_b32_e32 v4, v6
	v_ashrrev_i32_e32 v4, 31, v4
	v_xor_b32_e32 v6, vcc_hi, v4
	v_and_b32_e32 v2, v2, v6
	v_xor_b32_e32 v4, vcc_lo, v4
	v_lshlrev_b32_e32 v6, 25, v3
	v_and_b32_e32 v1, v1, v4
	v_cmp_gt_i64_e32 vcc, 0, v[5:6]
	v_not_b32_e32 v4, v6
	v_ashrrev_i32_e32 v4, 31, v4
	v_xor_b32_e32 v6, vcc_hi, v4
	v_and_b32_e32 v2, v2, v6
	v_xor_b32_e32 v4, vcc_lo, v4
	v_lshlrev_b32_e32 v6, 24, v3
	v_and_b32_e32 v1, v1, v4
	v_cmp_gt_i64_e32 vcc, 0, v[5:6]
	v_not_b32_e32 v4, v6
	v_ashrrev_i32_e32 v4, 31, v4
	v_xor_b32_e32 v6, vcc_hi, v4
	v_xor_b32_e32 v4, vcc_lo, v4
	v_lshlrev_b32_e32 v3, 5, v3
	v_and_b32_e32 v1, v1, v4
	v_and_b32_e32 v3, 0x1fe0, v3
	;; [unrolled: 1-line block ×3, first 2 shown]
	v_add_u32_e32 v6, v21, v3
	v_mbcnt_lo_u32_b32 v3, v1, 0
	v_mbcnt_hi_u32_b32 v23, v2, v3
	v_cmp_ne_u64_e32 vcc, 0, v[1:2]
	v_cmp_eq_u32_e64 s[28:29], 0, v23
	s_and_b64 s[38:39], vcc, s[28:29]
	s_waitcnt lgkmcnt(0)
	s_barrier
	; wave barrier
	s_and_saveexec_b64 s[28:29], s[38:39]
; %bb.5:                                ;   in Loop: Header=BB328_4 Depth=2
	v_bcnt_u32_b32 v1, v1, 0
	v_bcnt_u32_b32 v1, v2, v1
	ds_write_b32 v6, v1 offset:32
; %bb.6:                                ;   in Loop: Header=BB328_4 Depth=2
	s_or_b64 exec, exec, s[28:29]
	; wave barrier
	s_waitcnt lgkmcnt(0)
	s_barrier
	ds_read2_b64 v[1:4], v15 offset0:4 offset1:5
	s_waitcnt lgkmcnt(0)
	v_add_u32_e32 v24, v2, v1
	v_add3_u32 v4, v24, v3, v4
	s_nop 1
	v_mov_b32_dpp v24, v4 row_shr:1 row_mask:0xf bank_mask:0xf
	v_cndmask_b32_e64 v24, v24, 0, s[10:11]
	v_add_u32_e32 v4, v24, v4
	s_nop 1
	v_mov_b32_dpp v24, v4 row_shr:2 row_mask:0xf bank_mask:0xf
	v_cndmask_b32_e64 v24, 0, v24, s[12:13]
	v_add_u32_e32 v4, v4, v24
	;; [unrolled: 4-line block ×4, first 2 shown]
	s_nop 1
	v_mov_b32_dpp v24, v4 row_bcast:15 row_mask:0xf bank_mask:0xf
	v_cndmask_b32_e64 v24, v24, 0, s[18:19]
	v_add_u32_e32 v4, v4, v24
	s_nop 1
	v_mov_b32_dpp v24, v4 row_bcast:31 row_mask:0xf bank_mask:0xf
	v_cndmask_b32_e64 v24, 0, v24, s[6:7]
	v_add_u32_e32 v4, v4, v24
	s_and_saveexec_b64 s[28:29], s[20:21]
; %bb.7:                                ;   in Loop: Header=BB328_4 Depth=2
	ds_write_b32 v16, v4
; %bb.8:                                ;   in Loop: Header=BB328_4 Depth=2
	s_or_b64 exec, exec, s[28:29]
	s_waitcnt lgkmcnt(0)
	s_barrier
	s_and_saveexec_b64 s[28:29], s[0:1]
	s_cbranch_execz .LBB328_10
; %bb.9:                                ;   in Loop: Header=BB328_4 Depth=2
	ds_read_b32 v24, v17
	s_waitcnt lgkmcnt(0)
	s_nop 0
	v_mov_b32_dpp v25, v24 row_shr:1 row_mask:0xf bank_mask:0xf
	v_cndmask_b32_e64 v25, v25, 0, s[22:23]
	v_add_u32_e32 v24, v25, v24
	s_nop 1
	v_mov_b32_dpp v25, v24 row_shr:2 row_mask:0xf bank_mask:0xf
	v_cndmask_b32_e64 v25, 0, v25, s[24:25]
	v_add_u32_e32 v24, v24, v25
	;; [unrolled: 4-line block ×3, first 2 shown]
	ds_write_b32 v17, v24
.LBB328_10:                             ;   in Loop: Header=BB328_4 Depth=2
	s_or_b64 exec, exec, s[28:29]
	v_mov_b32_e32 v24, 0
	s_waitcnt lgkmcnt(0)
	s_barrier
	s_and_saveexec_b64 s[28:29], s[2:3]
; %bb.11:                               ;   in Loop: Header=BB328_4 Depth=2
	ds_read_b32 v24, v18
; %bb.12:                               ;   in Loop: Header=BB328_4 Depth=2
	s_or_b64 exec, exec, s[28:29]
	s_waitcnt lgkmcnt(0)
	v_add_u32_e32 v4, v24, v4
	ds_bpermute_b32 v4, v20, v4
	v_cmp_lt_u32_e32 vcc, 55, v11
	s_and_b64 vcc, exec, vcc
	s_mov_b64 s[28:29], -1
	s_waitcnt lgkmcnt(0)
	v_cndmask_b32_e64 v4, v4, v24, s[8:9]
	v_cndmask_b32_e64 v24, v4, 0, s[4:5]
	v_add_u32_e32 v25, v24, v1
	v_add_u32_e32 v1, v25, v2
	;; [unrolled: 1-line block ×3, first 2 shown]
	ds_write2_b64 v15, v[24:25], v[1:2] offset0:4 offset1:5
	s_waitcnt lgkmcnt(0)
	s_barrier
	ds_read_b32 v1, v6 offset:32
                                        ; implicit-def: $vgpr3_vgpr4
	s_waitcnt lgkmcnt(0)
	v_add_u32_e32 v1, v1, v23
	s_cbranch_vccnz .LBB328_3
; %bb.13:                               ;   in Loop: Header=BB328_4 Depth=2
	v_lshlrev_b32_e32 v2, 3, v1
	s_barrier
	ds_write_b64 v2, v[13:14]
	s_waitcnt lgkmcnt(0)
	s_barrier
	ds_read_b64 v[3:4], v19
	v_add_co_u32_e32 v11, vcc, 8, v11
	v_addc_co_u32_e32 v12, vcc, 0, v12, vcc
	s_mov_b64 s[28:29], 0
	s_waitcnt lgkmcnt(0)
	s_barrier
	s_branch .LBB328_3
.LBB328_14:
	s_add_u32 s0, s30, s34
	s_waitcnt lgkmcnt(0)
	v_xor_b32_e32 v4, 0x80000000, v4
	s_addc_u32 s1, s31, s35
	v_lshlrev_b32_e32 v0, 3, v0
	global_store_dwordx2 v0, v[3:4], s[0:1]
	s_endpgm
	.section	.rodata,"a",@progbits
	.p2align	6, 0x0
	.amdhsa_kernel _Z16sort_keys_kernelI22helper_blocked_stripedxLj512ELj1ELj10EEvPKT0_PS1_
		.amdhsa_group_segment_fixed_size 8224
		.amdhsa_private_segment_fixed_size 0
		.amdhsa_kernarg_size 272
		.amdhsa_user_sgpr_count 6
		.amdhsa_user_sgpr_private_segment_buffer 1
		.amdhsa_user_sgpr_dispatch_ptr 0
		.amdhsa_user_sgpr_queue_ptr 0
		.amdhsa_user_sgpr_kernarg_segment_ptr 1
		.amdhsa_user_sgpr_dispatch_id 0
		.amdhsa_user_sgpr_flat_scratch_init 0
		.amdhsa_user_sgpr_private_segment_size 0
		.amdhsa_uses_dynamic_stack 0
		.amdhsa_system_sgpr_private_segment_wavefront_offset 0
		.amdhsa_system_sgpr_workgroup_id_x 1
		.amdhsa_system_sgpr_workgroup_id_y 0
		.amdhsa_system_sgpr_workgroup_id_z 0
		.amdhsa_system_sgpr_workgroup_info 0
		.amdhsa_system_vgpr_workitem_id 2
		.amdhsa_next_free_vgpr 26
		.amdhsa_next_free_sgpr 40
		.amdhsa_reserve_vcc 1
		.amdhsa_reserve_flat_scratch 0
		.amdhsa_float_round_mode_32 0
		.amdhsa_float_round_mode_16_64 0
		.amdhsa_float_denorm_mode_32 3
		.amdhsa_float_denorm_mode_16_64 3
		.amdhsa_dx10_clamp 1
		.amdhsa_ieee_mode 1
		.amdhsa_fp16_overflow 0
		.amdhsa_exception_fp_ieee_invalid_op 0
		.amdhsa_exception_fp_denorm_src 0
		.amdhsa_exception_fp_ieee_div_zero 0
		.amdhsa_exception_fp_ieee_overflow 0
		.amdhsa_exception_fp_ieee_underflow 0
		.amdhsa_exception_fp_ieee_inexact 0
		.amdhsa_exception_int_div_zero 0
	.end_amdhsa_kernel
	.section	.text._Z16sort_keys_kernelI22helper_blocked_stripedxLj512ELj1ELj10EEvPKT0_PS1_,"axG",@progbits,_Z16sort_keys_kernelI22helper_blocked_stripedxLj512ELj1ELj10EEvPKT0_PS1_,comdat
.Lfunc_end328:
	.size	_Z16sort_keys_kernelI22helper_blocked_stripedxLj512ELj1ELj10EEvPKT0_PS1_, .Lfunc_end328-_Z16sort_keys_kernelI22helper_blocked_stripedxLj512ELj1ELj10EEvPKT0_PS1_
                                        ; -- End function
	.set _Z16sort_keys_kernelI22helper_blocked_stripedxLj512ELj1ELj10EEvPKT0_PS1_.num_vgpr, 26
	.set _Z16sort_keys_kernelI22helper_blocked_stripedxLj512ELj1ELj10EEvPKT0_PS1_.num_agpr, 0
	.set _Z16sort_keys_kernelI22helper_blocked_stripedxLj512ELj1ELj10EEvPKT0_PS1_.numbered_sgpr, 40
	.set _Z16sort_keys_kernelI22helper_blocked_stripedxLj512ELj1ELj10EEvPKT0_PS1_.num_named_barrier, 0
	.set _Z16sort_keys_kernelI22helper_blocked_stripedxLj512ELj1ELj10EEvPKT0_PS1_.private_seg_size, 0
	.set _Z16sort_keys_kernelI22helper_blocked_stripedxLj512ELj1ELj10EEvPKT0_PS1_.uses_vcc, 1
	.set _Z16sort_keys_kernelI22helper_blocked_stripedxLj512ELj1ELj10EEvPKT0_PS1_.uses_flat_scratch, 0
	.set _Z16sort_keys_kernelI22helper_blocked_stripedxLj512ELj1ELj10EEvPKT0_PS1_.has_dyn_sized_stack, 0
	.set _Z16sort_keys_kernelI22helper_blocked_stripedxLj512ELj1ELj10EEvPKT0_PS1_.has_recursion, 0
	.set _Z16sort_keys_kernelI22helper_blocked_stripedxLj512ELj1ELj10EEvPKT0_PS1_.has_indirect_call, 0
	.section	.AMDGPU.csdata,"",@progbits
; Kernel info:
; codeLenInByte = 1320
; TotalNumSgprs: 44
; NumVgprs: 26
; ScratchSize: 0
; MemoryBound: 0
; FloatMode: 240
; IeeeMode: 1
; LDSByteSize: 8224 bytes/workgroup (compile time only)
; SGPRBlocks: 5
; VGPRBlocks: 6
; NumSGPRsForWavesPerEU: 44
; NumVGPRsForWavesPerEU: 26
; Occupancy: 9
; WaveLimiterHint : 0
; COMPUTE_PGM_RSRC2:SCRATCH_EN: 0
; COMPUTE_PGM_RSRC2:USER_SGPR: 6
; COMPUTE_PGM_RSRC2:TRAP_HANDLER: 0
; COMPUTE_PGM_RSRC2:TGID_X_EN: 1
; COMPUTE_PGM_RSRC2:TGID_Y_EN: 0
; COMPUTE_PGM_RSRC2:TGID_Z_EN: 0
; COMPUTE_PGM_RSRC2:TIDIG_COMP_CNT: 2
	.section	.text._Z17sort_pairs_kernelI22helper_blocked_stripedxLj512ELj1ELj10EEvPKT0_PS1_,"axG",@progbits,_Z17sort_pairs_kernelI22helper_blocked_stripedxLj512ELj1ELj10EEvPKT0_PS1_,comdat
	.protected	_Z17sort_pairs_kernelI22helper_blocked_stripedxLj512ELj1ELj10EEvPKT0_PS1_ ; -- Begin function _Z17sort_pairs_kernelI22helper_blocked_stripedxLj512ELj1ELj10EEvPKT0_PS1_
	.globl	_Z17sort_pairs_kernelI22helper_blocked_stripedxLj512ELj1ELj10EEvPKT0_PS1_
	.p2align	8
	.type	_Z17sort_pairs_kernelI22helper_blocked_stripedxLj512ELj1ELj10EEvPKT0_PS1_,@function
_Z17sort_pairs_kernelI22helper_blocked_stripedxLj512ELj1ELj10EEvPKT0_PS1_: ; @_Z17sort_pairs_kernelI22helper_blocked_stripedxLj512ELj1ELj10EEvPKT0_PS1_
; %bb.0:
	s_load_dwordx4 s[28:31], s[4:5], 0x0
	s_load_dword s33, s[4:5], 0x1c
	s_lshl_b32 s36, s6, 9
	s_mov_b32 s37, 0
	s_lshl_b64 s[34:35], s[36:37], 3
	s_waitcnt lgkmcnt(0)
	s_add_u32 s0, s28, s34
	s_addc_u32 s1, s29, s35
	v_lshlrev_b32_e32 v3, 3, v0
	global_load_dwordx2 v[3:4], v3, s[0:1]
	s_lshr_b32 s28, s33, 16
	s_and_b32 s29, s33, 0xffff
	v_mad_u32_u24 v1, v2, s28, v1
	v_mad_u64_u32 v[1:2], s[28:29], v1, s29, v[0:1]
	v_mbcnt_lo_u32_b32 v6, -1, 0
	v_mbcnt_hi_u32_b32 v6, -1, v6
	v_and_b32_e32 v7, 0x1c0, v0
	v_lshrrev_b32_e32 v8, 4, v0
	s_mov_b32 s20, s37
	v_subrev_co_u32_e64 v13, s[8:9], 1, v6
	v_and_b32_e32 v14, 64, v6
	v_lshlrev_b32_e32 v17, 4, v0
	s_mov_b32 s21, s37
	v_and_b32_e32 v9, 15, v6
	v_and_b32_e32 v10, 16, v6
	v_or_b32_e32 v12, 63, v7
	v_and_b32_e32 v18, 28, v8
	v_lshlrev_b32_e32 v16, 3, v7
	s_mov_b32 s36, s37
	v_mov_b32_e32 v7, s20
	v_cmp_lt_i32_e32 vcc, v13, v14
	v_lshrrev_b32_e32 v1, 4, v1
	v_lshlrev_b32_e32 v11, 2, v0
	v_mad_i32_i24 v19, v0, -12, v17
	v_and_b32_e32 v15, 7, v6
	v_cmp_eq_u32_e64 s[10:11], 0, v9
	v_cmp_lt_u32_e64 s[12:13], 1, v9
	v_cmp_lt_u32_e64 s[14:15], 3, v9
	;; [unrolled: 1-line block ×3, first 2 shown]
	v_cmp_eq_u32_e64 s[18:19], 0, v10
	v_mov_b32_e32 v8, s21
	v_cmp_eq_u32_e64 s[20:21], v0, v12
	v_cndmask_b32_e32 v12, v13, v6, vcc
	v_mov_b32_e32 v9, s36
	v_and_b32_e32 v22, 0xffffffc, v1
	v_mov_b32_e32 v5, 0
	v_cmp_gt_u32_e64 s[0:1], 8, v0
	v_cmp_lt_u32_e64 s[2:3], 63, v0
	v_cmp_eq_u32_e64 s[4:5], 0, v0
	v_cmp_lt_u32_e64 s[6:7], 31, v6
	v_cmp_eq_u32_e64 s[22:23], 0, v15
	v_cmp_lt_u32_e64 s[24:25], 1, v15
	v_cmp_lt_u32_e64 s[26:27], 3, v15
	v_lshl_add_u32 v20, v6, 3, v16
	v_mov_b32_e32 v10, s37
	v_lshlrev_b32_e32 v21, 2, v12
	v_add_u32_e32 v23, v19, v11
	s_waitcnt vmcnt(0)
	v_add_co_u32_e32 v1, vcc, 1, v3
	v_addc_co_u32_e32 v2, vcc, 0, v4, vcc
	v_xor_b32_e32 v4, 0x80000000, v4
	s_branch .LBB329_2
.LBB329_1:                              ;   in Loop: Header=BB329_2 Depth=1
	v_lshlrev_b32_e32 v1, 3, v6
	s_barrier
	ds_write_b64 v1, v[15:16]
	s_waitcnt lgkmcnt(0)
	s_barrier
	ds_read_b64 v[3:4], v23
	s_waitcnt lgkmcnt(0)
	s_barrier
	ds_write_b64 v1, v[11:12]
	s_waitcnt lgkmcnt(0)
	s_barrier
	ds_read_b64 v[1:2], v23
	s_add_i32 s37, s37, 1
	s_cmp_eq_u32 s37, 10
	s_cbranch_scc1 .LBB329_14
.LBB329_2:                              ; =>This Loop Header: Depth=1
                                        ;     Child Loop BB329_4 Depth 2
	v_mov_b32_e32 v13, 0
	v_mov_b32_e32 v14, 0
	s_branch .LBB329_4
.LBB329_3:                              ;   in Loop: Header=BB329_4 Depth=2
	s_andn2_b64 vcc, exec, s[28:29]
	s_cbranch_vccz .LBB329_1
.LBB329_4:                              ;   Parent Loop BB329_2 Depth=1
                                        ; =>  This Inner Loop Header: Depth=2
	v_mov_b32_e32 v16, v4
	s_waitcnt lgkmcnt(0)
	v_mov_b32_e32 v12, v2
	v_mov_b32_e32 v15, v3
	;; [unrolled: 1-line block ×3, first 2 shown]
	v_lshrrev_b64 v[1:2], v13, v[15:16]
	ds_write2_b64 v17, v[9:10], v[7:8] offset0:4 offset1:5
	v_and_b32_e32 v2, 1, v1
	v_add_co_u32_e32 v3, vcc, -1, v2
	v_addc_co_u32_e64 v4, s[28:29], 0, -1, vcc
	v_cmp_ne_u32_e32 vcc, 0, v2
	v_lshlrev_b32_e32 v6, 30, v1
	v_xor_b32_e32 v2, vcc_hi, v4
	v_xor_b32_e32 v3, vcc_lo, v3
	v_cmp_gt_i64_e32 vcc, 0, v[5:6]
	v_not_b32_e32 v4, v6
	v_ashrrev_i32_e32 v4, 31, v4
	v_and_b32_e32 v2, exec_hi, v2
	v_xor_b32_e32 v6, vcc_hi, v4
	v_and_b32_e32 v3, exec_lo, v3
	v_xor_b32_e32 v4, vcc_lo, v4
	v_and_b32_e32 v2, v2, v6
	v_lshlrev_b32_e32 v6, 29, v1
	v_and_b32_e32 v3, v3, v4
	v_cmp_gt_i64_e32 vcc, 0, v[5:6]
	v_not_b32_e32 v4, v6
	v_ashrrev_i32_e32 v4, 31, v4
	v_xor_b32_e32 v6, vcc_hi, v4
	v_xor_b32_e32 v4, vcc_lo, v4
	v_and_b32_e32 v2, v2, v6
	v_lshlrev_b32_e32 v6, 28, v1
	v_and_b32_e32 v3, v3, v4
	v_cmp_gt_i64_e32 vcc, 0, v[5:6]
	v_not_b32_e32 v4, v6
	v_ashrrev_i32_e32 v4, 31, v4
	v_xor_b32_e32 v6, vcc_hi, v4
	;; [unrolled: 8-line block ×5, first 2 shown]
	v_and_b32_e32 v2, v2, v6
	v_lshlrev_b32_e32 v6, 5, v1
	v_and_b32_e32 v6, 0x1fe0, v6
	v_add_u32_e32 v24, v22, v6
	v_lshlrev_b32_e32 v6, 24, v1
	v_xor_b32_e32 v4, vcc_lo, v4
	v_cmp_gt_i64_e32 vcc, 0, v[5:6]
	v_not_b32_e32 v1, v6
	v_ashrrev_i32_e32 v1, 31, v1
	v_and_b32_e32 v3, v3, v4
	v_xor_b32_e32 v4, vcc_hi, v1
	v_xor_b32_e32 v1, vcc_lo, v1
	v_and_b32_e32 v1, v3, v1
	v_and_b32_e32 v2, v2, v4
	v_mbcnt_lo_u32_b32 v3, v1, 0
	v_mbcnt_hi_u32_b32 v6, v2, v3
	v_cmp_ne_u64_e32 vcc, 0, v[1:2]
	v_cmp_eq_u32_e64 s[28:29], 0, v6
	s_and_b64 s[38:39], vcc, s[28:29]
	s_waitcnt lgkmcnt(0)
	s_barrier
	; wave barrier
	s_and_saveexec_b64 s[28:29], s[38:39]
; %bb.5:                                ;   in Loop: Header=BB329_4 Depth=2
	v_bcnt_u32_b32 v1, v1, 0
	v_bcnt_u32_b32 v1, v2, v1
	ds_write_b32 v24, v1 offset:32
; %bb.6:                                ;   in Loop: Header=BB329_4 Depth=2
	s_or_b64 exec, exec, s[28:29]
	; wave barrier
	s_waitcnt lgkmcnt(0)
	s_barrier
	ds_read2_b64 v[1:4], v17 offset0:4 offset1:5
	s_waitcnt lgkmcnt(0)
	v_add_u32_e32 v25, v2, v1
	v_add3_u32 v4, v25, v3, v4
	s_nop 1
	v_mov_b32_dpp v25, v4 row_shr:1 row_mask:0xf bank_mask:0xf
	v_cndmask_b32_e64 v25, v25, 0, s[10:11]
	v_add_u32_e32 v4, v25, v4
	s_nop 1
	v_mov_b32_dpp v25, v4 row_shr:2 row_mask:0xf bank_mask:0xf
	v_cndmask_b32_e64 v25, 0, v25, s[12:13]
	v_add_u32_e32 v4, v4, v25
	;; [unrolled: 4-line block ×4, first 2 shown]
	s_nop 1
	v_mov_b32_dpp v25, v4 row_bcast:15 row_mask:0xf bank_mask:0xf
	v_cndmask_b32_e64 v25, v25, 0, s[18:19]
	v_add_u32_e32 v4, v4, v25
	s_nop 1
	v_mov_b32_dpp v25, v4 row_bcast:31 row_mask:0xf bank_mask:0xf
	v_cndmask_b32_e64 v25, 0, v25, s[6:7]
	v_add_u32_e32 v4, v4, v25
	s_and_saveexec_b64 s[28:29], s[20:21]
; %bb.7:                                ;   in Loop: Header=BB329_4 Depth=2
	ds_write_b32 v18, v4
; %bb.8:                                ;   in Loop: Header=BB329_4 Depth=2
	s_or_b64 exec, exec, s[28:29]
	s_waitcnt lgkmcnt(0)
	s_barrier
	s_and_saveexec_b64 s[28:29], s[0:1]
	s_cbranch_execz .LBB329_10
; %bb.9:                                ;   in Loop: Header=BB329_4 Depth=2
	ds_read_b32 v25, v19
	s_waitcnt lgkmcnt(0)
	s_nop 0
	v_mov_b32_dpp v26, v25 row_shr:1 row_mask:0xf bank_mask:0xf
	v_cndmask_b32_e64 v26, v26, 0, s[22:23]
	v_add_u32_e32 v25, v26, v25
	s_nop 1
	v_mov_b32_dpp v26, v25 row_shr:2 row_mask:0xf bank_mask:0xf
	v_cndmask_b32_e64 v26, 0, v26, s[24:25]
	v_add_u32_e32 v25, v25, v26
	;; [unrolled: 4-line block ×3, first 2 shown]
	ds_write_b32 v19, v25
.LBB329_10:                             ;   in Loop: Header=BB329_4 Depth=2
	s_or_b64 exec, exec, s[28:29]
	v_mov_b32_e32 v25, 0
	s_waitcnt lgkmcnt(0)
	s_barrier
	s_and_saveexec_b64 s[28:29], s[2:3]
; %bb.11:                               ;   in Loop: Header=BB329_4 Depth=2
	v_add_u32_e32 v25, -4, v18
	ds_read_b32 v25, v25
; %bb.12:                               ;   in Loop: Header=BB329_4 Depth=2
	s_or_b64 exec, exec, s[28:29]
	s_waitcnt lgkmcnt(0)
	v_add_u32_e32 v4, v25, v4
	ds_bpermute_b32 v4, v21, v4
	v_cmp_lt_u32_e32 vcc, 55, v13
	s_and_b64 vcc, exec, vcc
	s_mov_b64 s[28:29], -1
	s_waitcnt lgkmcnt(0)
	v_cndmask_b32_e64 v4, v4, v25, s[8:9]
	v_cndmask_b32_e64 v25, v4, 0, s[4:5]
	v_add_u32_e32 v26, v25, v1
	v_add_u32_e32 v1, v26, v2
	;; [unrolled: 1-line block ×3, first 2 shown]
	ds_write2_b64 v17, v[25:26], v[1:2] offset0:4 offset1:5
	s_waitcnt lgkmcnt(0)
	s_barrier
	ds_read_b32 v1, v24 offset:32
                                        ; implicit-def: $vgpr3_vgpr4
	s_waitcnt lgkmcnt(0)
	v_add_u32_e32 v6, v1, v6
                                        ; implicit-def: $vgpr1_vgpr2
	s_cbranch_vccnz .LBB329_3
; %bb.13:                               ;   in Loop: Header=BB329_4 Depth=2
	v_lshlrev_b32_e32 v1, 3, v6
	s_barrier
	ds_write_b64 v1, v[15:16]
	s_waitcnt lgkmcnt(0)
	s_barrier
	ds_read_b64 v[3:4], v20
	s_waitcnt lgkmcnt(0)
	s_barrier
	ds_write_b64 v1, v[11:12]
	s_waitcnt lgkmcnt(0)
	s_barrier
	ds_read_b64 v[1:2], v20
	v_add_co_u32_e32 v13, vcc, 8, v13
	v_addc_co_u32_e32 v14, vcc, 0, v14, vcc
	s_mov_b64 s[28:29], 0
	s_waitcnt lgkmcnt(0)
	s_barrier
	s_branch .LBB329_3
.LBB329_14:
	s_waitcnt lgkmcnt(0)
	v_add_co_u32_e32 v1, vcc, v1, v3
	v_addc_co_u32_e32 v2, vcc, v2, v4, vcc
	s_add_u32 s0, s30, s34
	v_add_u32_e32 v2, 0x80000000, v2
	s_addc_u32 s1, s31, s35
	v_lshlrev_b32_e32 v0, 3, v0
	global_store_dwordx2 v0, v[1:2], s[0:1]
	s_endpgm
	.section	.rodata,"a",@progbits
	.p2align	6, 0x0
	.amdhsa_kernel _Z17sort_pairs_kernelI22helper_blocked_stripedxLj512ELj1ELj10EEvPKT0_PS1_
		.amdhsa_group_segment_fixed_size 8224
		.amdhsa_private_segment_fixed_size 0
		.amdhsa_kernarg_size 272
		.amdhsa_user_sgpr_count 6
		.amdhsa_user_sgpr_private_segment_buffer 1
		.amdhsa_user_sgpr_dispatch_ptr 0
		.amdhsa_user_sgpr_queue_ptr 0
		.amdhsa_user_sgpr_kernarg_segment_ptr 1
		.amdhsa_user_sgpr_dispatch_id 0
		.amdhsa_user_sgpr_flat_scratch_init 0
		.amdhsa_user_sgpr_private_segment_size 0
		.amdhsa_uses_dynamic_stack 0
		.amdhsa_system_sgpr_private_segment_wavefront_offset 0
		.amdhsa_system_sgpr_workgroup_id_x 1
		.amdhsa_system_sgpr_workgroup_id_y 0
		.amdhsa_system_sgpr_workgroup_id_z 0
		.amdhsa_system_sgpr_workgroup_info 0
		.amdhsa_system_vgpr_workitem_id 2
		.amdhsa_next_free_vgpr 27
		.amdhsa_next_free_sgpr 40
		.amdhsa_reserve_vcc 1
		.amdhsa_reserve_flat_scratch 0
		.amdhsa_float_round_mode_32 0
		.amdhsa_float_round_mode_16_64 0
		.amdhsa_float_denorm_mode_32 3
		.amdhsa_float_denorm_mode_16_64 3
		.amdhsa_dx10_clamp 1
		.amdhsa_ieee_mode 1
		.amdhsa_fp16_overflow 0
		.amdhsa_exception_fp_ieee_invalid_op 0
		.amdhsa_exception_fp_denorm_src 0
		.amdhsa_exception_fp_ieee_div_zero 0
		.amdhsa_exception_fp_ieee_overflow 0
		.amdhsa_exception_fp_ieee_underflow 0
		.amdhsa_exception_fp_ieee_inexact 0
		.amdhsa_exception_int_div_zero 0
	.end_amdhsa_kernel
	.section	.text._Z17sort_pairs_kernelI22helper_blocked_stripedxLj512ELj1ELj10EEvPKT0_PS1_,"axG",@progbits,_Z17sort_pairs_kernelI22helper_blocked_stripedxLj512ELj1ELj10EEvPKT0_PS1_,comdat
.Lfunc_end329:
	.size	_Z17sort_pairs_kernelI22helper_blocked_stripedxLj512ELj1ELj10EEvPKT0_PS1_, .Lfunc_end329-_Z17sort_pairs_kernelI22helper_blocked_stripedxLj512ELj1ELj10EEvPKT0_PS1_
                                        ; -- End function
	.set _Z17sort_pairs_kernelI22helper_blocked_stripedxLj512ELj1ELj10EEvPKT0_PS1_.num_vgpr, 27
	.set _Z17sort_pairs_kernelI22helper_blocked_stripedxLj512ELj1ELj10EEvPKT0_PS1_.num_agpr, 0
	.set _Z17sort_pairs_kernelI22helper_blocked_stripedxLj512ELj1ELj10EEvPKT0_PS1_.numbered_sgpr, 40
	.set _Z17sort_pairs_kernelI22helper_blocked_stripedxLj512ELj1ELj10EEvPKT0_PS1_.num_named_barrier, 0
	.set _Z17sort_pairs_kernelI22helper_blocked_stripedxLj512ELj1ELj10EEvPKT0_PS1_.private_seg_size, 0
	.set _Z17sort_pairs_kernelI22helper_blocked_stripedxLj512ELj1ELj10EEvPKT0_PS1_.uses_vcc, 1
	.set _Z17sort_pairs_kernelI22helper_blocked_stripedxLj512ELj1ELj10EEvPKT0_PS1_.uses_flat_scratch, 0
	.set _Z17sort_pairs_kernelI22helper_blocked_stripedxLj512ELj1ELj10EEvPKT0_PS1_.has_dyn_sized_stack, 0
	.set _Z17sort_pairs_kernelI22helper_blocked_stripedxLj512ELj1ELj10EEvPKT0_PS1_.has_recursion, 0
	.set _Z17sort_pairs_kernelI22helper_blocked_stripedxLj512ELj1ELj10EEvPKT0_PS1_.has_indirect_call, 0
	.section	.AMDGPU.csdata,"",@progbits
; Kernel info:
; codeLenInByte = 1400
; TotalNumSgprs: 44
; NumVgprs: 27
; ScratchSize: 0
; MemoryBound: 0
; FloatMode: 240
; IeeeMode: 1
; LDSByteSize: 8224 bytes/workgroup (compile time only)
; SGPRBlocks: 5
; VGPRBlocks: 6
; NumSGPRsForWavesPerEU: 44
; NumVGPRsForWavesPerEU: 27
; Occupancy: 9
; WaveLimiterHint : 0
; COMPUTE_PGM_RSRC2:SCRATCH_EN: 0
; COMPUTE_PGM_RSRC2:USER_SGPR: 6
; COMPUTE_PGM_RSRC2:TRAP_HANDLER: 0
; COMPUTE_PGM_RSRC2:TGID_X_EN: 1
; COMPUTE_PGM_RSRC2:TGID_Y_EN: 0
; COMPUTE_PGM_RSRC2:TGID_Z_EN: 0
; COMPUTE_PGM_RSRC2:TIDIG_COMP_CNT: 2
	.section	.text._Z16sort_keys_kernelI22helper_blocked_stripedxLj512ELj3ELj10EEvPKT0_PS1_,"axG",@progbits,_Z16sort_keys_kernelI22helper_blocked_stripedxLj512ELj3ELj10EEvPKT0_PS1_,comdat
	.protected	_Z16sort_keys_kernelI22helper_blocked_stripedxLj512ELj3ELj10EEvPKT0_PS1_ ; -- Begin function _Z16sort_keys_kernelI22helper_blocked_stripedxLj512ELj3ELj10EEvPKT0_PS1_
	.globl	_Z16sort_keys_kernelI22helper_blocked_stripedxLj512ELj3ELj10EEvPKT0_PS1_
	.p2align	8
	.type	_Z16sort_keys_kernelI22helper_blocked_stripedxLj512ELj3ELj10EEvPKT0_PS1_,@function
_Z16sort_keys_kernelI22helper_blocked_stripedxLj512ELj3ELj10EEvPKT0_PS1_: ; @_Z16sort_keys_kernelI22helper_blocked_stripedxLj512ELj3ELj10EEvPKT0_PS1_
; %bb.0:
	s_load_dwordx4 s[28:31], s[4:5], 0x0
	s_load_dword s2, s[4:5], 0x1c
	s_mul_i32 s34, s6, 0x600
	s_mov_b32 s35, 0
	s_lshl_b64 s[36:37], s[34:35], 3
	s_waitcnt lgkmcnt(0)
	s_add_u32 s0, s28, s36
	v_mul_u32_u24_e32 v3, 3, v0
	s_addc_u32 s1, s29, s37
	v_lshlrev_b32_e32 v7, 3, v3
	global_load_dwordx2 v[12:13], v7, s[0:1] offset:16
	global_load_dwordx4 v[3:6], v7, s[0:1]
	s_lshr_b32 s0, s2, 16
	v_mbcnt_lo_u32_b32 v7, -1, 0
	s_and_b32 s1, s2, 0xffff
	v_mad_u32_u24 v1, v2, s0, v1
	v_mbcnt_hi_u32_b32 v7, -1, v7
	v_mad_u64_u32 v[1:2], s[0:1], v1, s1, v[0:1]
	v_lshrrev_b32_e32 v8, 6, v0
	v_and_b32_e32 v2, 15, v7
	v_mul_u32_u24_e32 v9, 0xc0, v8
	v_cmp_eq_u32_e64 s[0:1], 0, v2
	v_cmp_lt_u32_e64 s[2:3], 1, v2
	v_cmp_lt_u32_e64 s[4:5], 3, v2
	;; [unrolled: 1-line block ×3, first 2 shown]
	v_and_b32_e32 v2, 16, v7
	v_lshlrev_b32_e32 v9, 3, v9
	v_lshlrev_b32_e32 v14, 3, v7
	v_cmp_eq_u32_e64 s[8:9], 0, v2
	v_and_b32_e32 v2, 0x1c0, v0
	v_mad_u32_u24 v21, v7, 24, v9
	v_add_u32_e32 v22, v14, v9
	v_or_b32_e32 v9, 63, v2
	v_cmp_eq_u32_e64 s[12:13], v0, v9
	v_subrev_co_u32_e64 v9, s[18:19], 1, v7
	v_and_b32_e32 v10, 64, v7
	v_cmp_lt_i32_e32 vcc, v9, v10
	v_lshlrev_b32_e32 v23, 4, v0
	v_cmp_lt_u32_e64 s[10:11], 31, v7
	v_cndmask_b32_e32 v9, v9, v7, vcc
	v_and_b32_e32 v7, 7, v7
	v_lshrrev_b32_e32 v1, 4, v1
	s_mov_b32 s34, s35
	s_mov_b32 s28, s35
	v_lshlrev_b32_e32 v24, 2, v9
	v_lshlrev_b32_e32 v25, 2, v8
	v_mad_i32_i24 v26, v0, -12, v23
	v_cmp_eq_u32_e64 s[22:23], 0, v7
	v_cmp_lt_u32_e64 s[24:25], 1, v7
	v_cmp_lt_u32_e64 s[26:27], 3, v7
	v_mul_u32_u24_e32 v2, 24, v2
	v_and_b32_e32 v28, 0xffffffc, v1
	v_lshlrev_b32_e32 v1, 2, v0
	s_mov_b32 s29, s35
	v_mov_b32_e32 v7, s34
	v_mov_b32_e32 v9, s28
	v_cmp_gt_u32_e64 s[14:15], 8, v0
	v_cmp_lt_u32_e64 s[16:17], 63, v0
	v_cmp_eq_u32_e64 s[20:21], 0, v0
	v_add_u32_e32 v27, -4, v25
	v_mov_b32_e32 v8, s35
	v_mov_b32_e32 v10, s29
	;; [unrolled: 1-line block ×3, first 2 shown]
	v_add_u32_e32 v29, v14, v2
	v_add_u32_e32 v30, v26, v1
	s_branch .LBB330_2
.LBB330_1:                              ;   in Loop: Header=BB330_2 Depth=1
	v_lshlrev_b32_e32 v1, 3, v32
	s_barrier
	ds_write_b64 v1, v[13:14]
	v_lshlrev_b32_e32 v1, 3, v31
	ds_write_b64 v1, v[15:16]
	v_lshlrev_b32_e32 v1, 3, v12
	ds_write_b64 v1, v[17:18]
	s_waitcnt lgkmcnt(0)
	s_barrier
	ds_read2st64_b64 v[3:6], v30 offset1:8
	ds_read_b64 v[12:13], v30 offset:8192
	s_add_i32 s35, s35, 1
	s_cmp_eq_u32 s35, 10
	s_waitcnt lgkmcnt(1)
	v_xor_b32_e32 v4, 0x80000000, v4
	v_xor_b32_e32 v6, 0x80000000, v6
	s_waitcnt lgkmcnt(0)
	v_xor_b32_e32 v13, 0x80000000, v13
	s_cbranch_scc1 .LBB330_18
.LBB330_2:                              ; =>This Loop Header: Depth=1
                                        ;     Child Loop BB330_4 Depth 2
	s_waitcnt vmcnt(0)
	v_xor_b32_e32 v4, 0x80000000, v4
	v_xor_b32_e32 v6, 0x80000000, v6
	;; [unrolled: 1-line block ×3, first 2 shown]
	ds_write2_b64 v21, v[3:4], v[5:6] offset1:1
	ds_write_b64 v21, v[12:13] offset:16
	; wave barrier
	ds_read2st64_b64 v[1:4], v22 offset1:1
	ds_read_b64 v[19:20], v22 offset:1024
	v_mov_b32_e32 v5, 0
	v_mov_b32_e32 v6, 0
	s_waitcnt lgkmcnt(0)
	s_barrier
	; wave barrier
	s_barrier
	s_branch .LBB330_4
.LBB330_3:                              ;   in Loop: Header=BB330_4 Depth=2
	s_andn2_b64 vcc, exec, s[28:29]
	s_cbranch_vccz .LBB330_1
.LBB330_4:                              ;   Parent Loop BB330_2 Depth=1
                                        ; =>  This Inner Loop Header: Depth=2
	v_mov_b32_e32 v14, v2
	v_mov_b32_e32 v13, v1
	v_lshrrev_b64 v[31:32], v5, v[13:14]
	v_mov_b32_e32 v16, v4
	v_and_b32_e32 v1, 1, v31
	v_cmp_ne_u32_e32 vcc, 0, v1
	v_add_co_u32_e64 v1, s[28:29], -1, v1
	v_addc_co_u32_e64 v2, s[28:29], 0, -1, s[28:29]
	v_lshlrev_b32_e32 v12, 30, v31
	v_mov_b32_e32 v15, v3
	v_cmp_gt_i64_e64 s[28:29], 0, v[11:12]
	v_not_b32_e32 v3, v12
	v_ashrrev_i32_e32 v3, 31, v3
	v_xor_b32_e32 v1, vcc_lo, v1
	v_xor_b32_e32 v4, s29, v3
	v_and_b32_e32 v1, exec_lo, v1
	v_xor_b32_e32 v3, s28, v3
	v_lshlrev_b32_e32 v12, 29, v31
	v_xor_b32_e32 v2, vcc_hi, v2
	v_and_b32_e32 v1, v1, v3
	v_cmp_gt_i64_e32 vcc, 0, v[11:12]
	v_not_b32_e32 v3, v12
	v_and_b32_e32 v2, exec_hi, v2
	v_ashrrev_i32_e32 v3, 31, v3
	v_and_b32_e32 v2, v2, v4
	v_xor_b32_e32 v4, vcc_hi, v3
	v_xor_b32_e32 v3, vcc_lo, v3
	v_lshlrev_b32_e32 v12, 28, v31
	v_and_b32_e32 v1, v1, v3
	v_cmp_gt_i64_e32 vcc, 0, v[11:12]
	v_not_b32_e32 v3, v12
	v_ashrrev_i32_e32 v3, 31, v3
	v_and_b32_e32 v2, v2, v4
	v_xor_b32_e32 v4, vcc_hi, v3
	v_xor_b32_e32 v3, vcc_lo, v3
	v_lshlrev_b32_e32 v12, 27, v31
	v_and_b32_e32 v1, v1, v3
	v_cmp_gt_i64_e32 vcc, 0, v[11:12]
	v_not_b32_e32 v3, v12
	;; [unrolled: 8-line block ×5, first 2 shown]
	v_ashrrev_i32_e32 v3, 31, v3
	v_and_b32_e32 v2, v2, v4
	v_xor_b32_e32 v4, vcc_hi, v3
	v_xor_b32_e32 v3, vcc_lo, v3
	v_and_b32_e32 v1, v1, v3
	v_lshlrev_b32_e32 v3, 5, v31
	v_mov_b32_e32 v17, v19
	v_and_b32_e32 v3, 0x1fe0, v3
	v_and_b32_e32 v2, v2, v4
	v_mov_b32_e32 v18, v20
	v_add_u32_e32 v19, v28, v3
	v_mbcnt_lo_u32_b32 v3, v1, 0
	v_mbcnt_hi_u32_b32 v20, v2, v3
	v_cmp_ne_u64_e32 vcc, 0, v[1:2]
	v_cmp_eq_u32_e64 s[28:29], 0, v20
	s_and_b64 s[38:39], vcc, s[28:29]
	ds_write2_b64 v23, v[7:8], v[9:10] offset0:4 offset1:5
	s_waitcnt lgkmcnt(0)
	s_barrier
	; wave barrier
	s_and_saveexec_b64 s[28:29], s[38:39]
; %bb.5:                                ;   in Loop: Header=BB330_4 Depth=2
	v_bcnt_u32_b32 v1, v1, 0
	v_bcnt_u32_b32 v1, v2, v1
	ds_write_b32 v19, v1 offset:32
; %bb.6:                                ;   in Loop: Header=BB330_4 Depth=2
	s_or_b64 exec, exec, s[28:29]
	v_lshrrev_b64 v[1:2], v5, v[15:16]
	v_lshlrev_b32_e32 v2, 5, v1
	v_and_b32_e32 v2, 0x1fe0, v2
	v_add_u32_e32 v32, v28, v2
	v_and_b32_e32 v2, 1, v1
	v_add_co_u32_e32 v3, vcc, -1, v2
	v_addc_co_u32_e64 v4, s[28:29], 0, -1, vcc
	v_cmp_ne_u32_e32 vcc, 0, v2
	v_lshlrev_b32_e32 v12, 30, v1
	v_xor_b32_e32 v2, vcc_hi, v4
	v_xor_b32_e32 v3, vcc_lo, v3
	v_cmp_gt_i64_e32 vcc, 0, v[11:12]
	v_not_b32_e32 v4, v12
	v_ashrrev_i32_e32 v4, 31, v4
	v_and_b32_e32 v2, exec_hi, v2
	v_xor_b32_e32 v12, vcc_hi, v4
	v_and_b32_e32 v3, exec_lo, v3
	v_xor_b32_e32 v4, vcc_lo, v4
	v_and_b32_e32 v2, v2, v12
	v_lshlrev_b32_e32 v12, 29, v1
	v_and_b32_e32 v3, v3, v4
	v_cmp_gt_i64_e32 vcc, 0, v[11:12]
	v_not_b32_e32 v4, v12
	v_ashrrev_i32_e32 v4, 31, v4
	v_xor_b32_e32 v12, vcc_hi, v4
	v_xor_b32_e32 v4, vcc_lo, v4
	v_and_b32_e32 v2, v2, v12
	v_lshlrev_b32_e32 v12, 28, v1
	v_and_b32_e32 v3, v3, v4
	v_cmp_gt_i64_e32 vcc, 0, v[11:12]
	v_not_b32_e32 v4, v12
	v_ashrrev_i32_e32 v4, 31, v4
	v_xor_b32_e32 v12, vcc_hi, v4
	;; [unrolled: 8-line block ×5, first 2 shown]
	v_and_b32_e32 v2, v2, v12
	v_lshlrev_b32_e32 v12, 24, v1
	v_xor_b32_e32 v4, vcc_lo, v4
	v_cmp_gt_i64_e32 vcc, 0, v[11:12]
	v_not_b32_e32 v1, v12
	v_ashrrev_i32_e32 v1, 31, v1
	v_and_b32_e32 v3, v3, v4
	v_xor_b32_e32 v4, vcc_hi, v1
	v_xor_b32_e32 v1, vcc_lo, v1
	; wave barrier
	ds_read_b32 v31, v32 offset:32
	v_and_b32_e32 v1, v3, v1
	v_and_b32_e32 v2, v2, v4
	v_mbcnt_lo_u32_b32 v3, v1, 0
	v_mbcnt_hi_u32_b32 v33, v2, v3
	v_cmp_ne_u64_e32 vcc, 0, v[1:2]
	v_cmp_eq_u32_e64 s[28:29], 0, v33
	s_and_b64 s[38:39], vcc, s[28:29]
	; wave barrier
	s_and_saveexec_b64 s[28:29], s[38:39]
	s_cbranch_execz .LBB330_8
; %bb.7:                                ;   in Loop: Header=BB330_4 Depth=2
	v_bcnt_u32_b32 v1, v1, 0
	v_bcnt_u32_b32 v1, v2, v1
	s_waitcnt lgkmcnt(0)
	v_add_u32_e32 v1, v31, v1
	ds_write_b32 v32, v1 offset:32
.LBB330_8:                              ;   in Loop: Header=BB330_4 Depth=2
	s_or_b64 exec, exec, s[28:29]
	v_lshrrev_b64 v[1:2], v5, v[17:18]
	v_lshlrev_b32_e32 v2, 5, v1
	v_and_b32_e32 v2, 0x1fe0, v2
	v_add_u32_e32 v35, v28, v2
	v_and_b32_e32 v2, 1, v1
	v_add_co_u32_e32 v3, vcc, -1, v2
	v_addc_co_u32_e64 v4, s[28:29], 0, -1, vcc
	v_cmp_ne_u32_e32 vcc, 0, v2
	v_lshlrev_b32_e32 v12, 30, v1
	v_xor_b32_e32 v2, vcc_hi, v4
	v_xor_b32_e32 v3, vcc_lo, v3
	v_cmp_gt_i64_e32 vcc, 0, v[11:12]
	v_not_b32_e32 v4, v12
	v_ashrrev_i32_e32 v4, 31, v4
	v_and_b32_e32 v2, exec_hi, v2
	v_xor_b32_e32 v12, vcc_hi, v4
	v_and_b32_e32 v3, exec_lo, v3
	v_xor_b32_e32 v4, vcc_lo, v4
	v_and_b32_e32 v2, v2, v12
	v_lshlrev_b32_e32 v12, 29, v1
	v_and_b32_e32 v3, v3, v4
	v_cmp_gt_i64_e32 vcc, 0, v[11:12]
	v_not_b32_e32 v4, v12
	v_ashrrev_i32_e32 v4, 31, v4
	v_xor_b32_e32 v12, vcc_hi, v4
	v_xor_b32_e32 v4, vcc_lo, v4
	v_and_b32_e32 v2, v2, v12
	v_lshlrev_b32_e32 v12, 28, v1
	v_and_b32_e32 v3, v3, v4
	v_cmp_gt_i64_e32 vcc, 0, v[11:12]
	v_not_b32_e32 v4, v12
	v_ashrrev_i32_e32 v4, 31, v4
	v_xor_b32_e32 v12, vcc_hi, v4
	;; [unrolled: 8-line block ×5, first 2 shown]
	v_and_b32_e32 v2, v2, v12
	v_lshlrev_b32_e32 v12, 24, v1
	v_xor_b32_e32 v4, vcc_lo, v4
	v_cmp_gt_i64_e32 vcc, 0, v[11:12]
	v_not_b32_e32 v1, v12
	v_ashrrev_i32_e32 v1, 31, v1
	v_and_b32_e32 v3, v3, v4
	v_xor_b32_e32 v4, vcc_hi, v1
	v_xor_b32_e32 v1, vcc_lo, v1
	; wave barrier
	ds_read_b32 v34, v35 offset:32
	v_and_b32_e32 v1, v3, v1
	v_and_b32_e32 v2, v2, v4
	v_mbcnt_lo_u32_b32 v3, v1, 0
	v_mbcnt_hi_u32_b32 v12, v2, v3
	v_cmp_ne_u64_e32 vcc, 0, v[1:2]
	v_cmp_eq_u32_e64 s[28:29], 0, v12
	s_and_b64 s[38:39], vcc, s[28:29]
	; wave barrier
	s_and_saveexec_b64 s[28:29], s[38:39]
	s_cbranch_execz .LBB330_10
; %bb.9:                                ;   in Loop: Header=BB330_4 Depth=2
	v_bcnt_u32_b32 v1, v1, 0
	v_bcnt_u32_b32 v1, v2, v1
	s_waitcnt lgkmcnt(0)
	v_add_u32_e32 v1, v34, v1
	ds_write_b32 v35, v1 offset:32
.LBB330_10:                             ;   in Loop: Header=BB330_4 Depth=2
	s_or_b64 exec, exec, s[28:29]
	; wave barrier
	s_waitcnt lgkmcnt(0)
	s_barrier
	ds_read2_b64 v[1:4], v23 offset0:4 offset1:5
	s_waitcnt lgkmcnt(0)
	v_add_u32_e32 v36, v2, v1
	v_add3_u32 v4, v36, v3, v4
	s_nop 1
	v_mov_b32_dpp v36, v4 row_shr:1 row_mask:0xf bank_mask:0xf
	v_cndmask_b32_e64 v36, v36, 0, s[0:1]
	v_add_u32_e32 v4, v36, v4
	s_nop 1
	v_mov_b32_dpp v36, v4 row_shr:2 row_mask:0xf bank_mask:0xf
	v_cndmask_b32_e64 v36, 0, v36, s[2:3]
	v_add_u32_e32 v4, v4, v36
	;; [unrolled: 4-line block ×4, first 2 shown]
	s_nop 1
	v_mov_b32_dpp v36, v4 row_bcast:15 row_mask:0xf bank_mask:0xf
	v_cndmask_b32_e64 v36, v36, 0, s[8:9]
	v_add_u32_e32 v4, v4, v36
	s_nop 1
	v_mov_b32_dpp v36, v4 row_bcast:31 row_mask:0xf bank_mask:0xf
	v_cndmask_b32_e64 v36, 0, v36, s[10:11]
	v_add_u32_e32 v4, v4, v36
	s_and_saveexec_b64 s[28:29], s[12:13]
; %bb.11:                               ;   in Loop: Header=BB330_4 Depth=2
	ds_write_b32 v25, v4
; %bb.12:                               ;   in Loop: Header=BB330_4 Depth=2
	s_or_b64 exec, exec, s[28:29]
	s_waitcnt lgkmcnt(0)
	s_barrier
	s_and_saveexec_b64 s[28:29], s[14:15]
	s_cbranch_execz .LBB330_14
; %bb.13:                               ;   in Loop: Header=BB330_4 Depth=2
	ds_read_b32 v36, v26
	s_waitcnt lgkmcnt(0)
	s_nop 0
	v_mov_b32_dpp v37, v36 row_shr:1 row_mask:0xf bank_mask:0xf
	v_cndmask_b32_e64 v37, v37, 0, s[22:23]
	v_add_u32_e32 v36, v37, v36
	s_nop 1
	v_mov_b32_dpp v37, v36 row_shr:2 row_mask:0xf bank_mask:0xf
	v_cndmask_b32_e64 v37, 0, v37, s[24:25]
	v_add_u32_e32 v36, v36, v37
	;; [unrolled: 4-line block ×3, first 2 shown]
	ds_write_b32 v26, v36
.LBB330_14:                             ;   in Loop: Header=BB330_4 Depth=2
	s_or_b64 exec, exec, s[28:29]
	v_mov_b32_e32 v36, 0
	s_waitcnt lgkmcnt(0)
	s_barrier
	s_and_saveexec_b64 s[28:29], s[16:17]
; %bb.15:                               ;   in Loop: Header=BB330_4 Depth=2
	ds_read_b32 v36, v27
; %bb.16:                               ;   in Loop: Header=BB330_4 Depth=2
	s_or_b64 exec, exec, s[28:29]
	s_waitcnt lgkmcnt(0)
	v_add_u32_e32 v4, v36, v4
	ds_bpermute_b32 v4, v24, v4
	v_cmp_lt_u32_e32 vcc, 55, v5
	s_and_b64 vcc, exec, vcc
	s_mov_b64 s[28:29], -1
	s_waitcnt lgkmcnt(0)
	v_cndmask_b32_e64 v4, v4, v36, s[18:19]
	v_cndmask_b32_e64 v36, v4, 0, s[20:21]
	v_add_u32_e32 v37, v36, v1
	v_add_u32_e32 v1, v37, v2
	;; [unrolled: 1-line block ×3, first 2 shown]
	ds_write2_b64 v23, v[36:37], v[1:2] offset0:4 offset1:5
	s_waitcnt lgkmcnt(0)
	s_barrier
	ds_read_b32 v1, v19 offset:32
	ds_read_b32 v2, v32 offset:32
	;; [unrolled: 1-line block ×3, first 2 shown]
	s_waitcnt lgkmcnt(2)
	v_add_u32_e32 v32, v1, v20
	s_waitcnt lgkmcnt(1)
	v_add3_u32 v31, v33, v31, v2
	s_waitcnt lgkmcnt(0)
	v_add3_u32 v12, v12, v34, v3
                                        ; implicit-def: $vgpr19_vgpr20
                                        ; implicit-def: $vgpr3_vgpr4
	s_cbranch_vccnz .LBB330_3
; %bb.17:                               ;   in Loop: Header=BB330_4 Depth=2
	v_lshlrev_b32_e32 v1, 3, v32
	s_barrier
	ds_write_b64 v1, v[13:14]
	v_lshlrev_b32_e32 v1, 3, v31
	ds_write_b64 v1, v[15:16]
	v_lshlrev_b32_e32 v1, 3, v12
	ds_write_b64 v1, v[17:18]
	s_waitcnt lgkmcnt(0)
	s_barrier
	ds_read2st64_b64 v[1:4], v29 offset1:1
	ds_read_b64 v[19:20], v29 offset:1024
	v_add_co_u32_e32 v5, vcc, 8, v5
	v_addc_co_u32_e32 v6, vcc, 0, v6, vcc
	s_mov_b64 s[28:29], 0
	s_waitcnt lgkmcnt(0)
	s_barrier
	s_branch .LBB330_3
.LBB330_18:
	s_add_u32 s0, s30, s36
	s_addc_u32 s1, s31, s37
	v_lshlrev_b32_e32 v0, 3, v0
	v_mov_b32_e32 v1, s1
	v_add_co_u32_e32 v2, vcc, s0, v0
	v_addc_co_u32_e32 v7, vcc, 0, v1, vcc
	global_store_dwordx2 v0, v[3:4], s[0:1]
	v_add_co_u32_e32 v0, vcc, 0x1000, v2
	v_addc_co_u32_e32 v1, vcc, 0, v7, vcc
	global_store_dwordx2 v[0:1], v[5:6], off
	v_add_co_u32_e32 v0, vcc, 0x2000, v2
	v_addc_co_u32_e32 v1, vcc, 0, v7, vcc
	global_store_dwordx2 v[0:1], v[12:13], off
	s_endpgm
	.section	.rodata,"a",@progbits
	.p2align	6, 0x0
	.amdhsa_kernel _Z16sort_keys_kernelI22helper_blocked_stripedxLj512ELj3ELj10EEvPKT0_PS1_
		.amdhsa_group_segment_fixed_size 12288
		.amdhsa_private_segment_fixed_size 0
		.amdhsa_kernarg_size 272
		.amdhsa_user_sgpr_count 6
		.amdhsa_user_sgpr_private_segment_buffer 1
		.amdhsa_user_sgpr_dispatch_ptr 0
		.amdhsa_user_sgpr_queue_ptr 0
		.amdhsa_user_sgpr_kernarg_segment_ptr 1
		.amdhsa_user_sgpr_dispatch_id 0
		.amdhsa_user_sgpr_flat_scratch_init 0
		.amdhsa_user_sgpr_private_segment_size 0
		.amdhsa_uses_dynamic_stack 0
		.amdhsa_system_sgpr_private_segment_wavefront_offset 0
		.amdhsa_system_sgpr_workgroup_id_x 1
		.amdhsa_system_sgpr_workgroup_id_y 0
		.amdhsa_system_sgpr_workgroup_id_z 0
		.amdhsa_system_sgpr_workgroup_info 0
		.amdhsa_system_vgpr_workitem_id 2
		.amdhsa_next_free_vgpr 38
		.amdhsa_next_free_sgpr 40
		.amdhsa_reserve_vcc 1
		.amdhsa_reserve_flat_scratch 0
		.amdhsa_float_round_mode_32 0
		.amdhsa_float_round_mode_16_64 0
		.amdhsa_float_denorm_mode_32 3
		.amdhsa_float_denorm_mode_16_64 3
		.amdhsa_dx10_clamp 1
		.amdhsa_ieee_mode 1
		.amdhsa_fp16_overflow 0
		.amdhsa_exception_fp_ieee_invalid_op 0
		.amdhsa_exception_fp_denorm_src 0
		.amdhsa_exception_fp_ieee_div_zero 0
		.amdhsa_exception_fp_ieee_overflow 0
		.amdhsa_exception_fp_ieee_underflow 0
		.amdhsa_exception_fp_ieee_inexact 0
		.amdhsa_exception_int_div_zero 0
	.end_amdhsa_kernel
	.section	.text._Z16sort_keys_kernelI22helper_blocked_stripedxLj512ELj3ELj10EEvPKT0_PS1_,"axG",@progbits,_Z16sort_keys_kernelI22helper_blocked_stripedxLj512ELj3ELj10EEvPKT0_PS1_,comdat
.Lfunc_end330:
	.size	_Z16sort_keys_kernelI22helper_blocked_stripedxLj512ELj3ELj10EEvPKT0_PS1_, .Lfunc_end330-_Z16sort_keys_kernelI22helper_blocked_stripedxLj512ELj3ELj10EEvPKT0_PS1_
                                        ; -- End function
	.set _Z16sort_keys_kernelI22helper_blocked_stripedxLj512ELj3ELj10EEvPKT0_PS1_.num_vgpr, 38
	.set _Z16sort_keys_kernelI22helper_blocked_stripedxLj512ELj3ELj10EEvPKT0_PS1_.num_agpr, 0
	.set _Z16sort_keys_kernelI22helper_blocked_stripedxLj512ELj3ELj10EEvPKT0_PS1_.numbered_sgpr, 40
	.set _Z16sort_keys_kernelI22helper_blocked_stripedxLj512ELj3ELj10EEvPKT0_PS1_.num_named_barrier, 0
	.set _Z16sort_keys_kernelI22helper_blocked_stripedxLj512ELj3ELj10EEvPKT0_PS1_.private_seg_size, 0
	.set _Z16sort_keys_kernelI22helper_blocked_stripedxLj512ELj3ELj10EEvPKT0_PS1_.uses_vcc, 1
	.set _Z16sort_keys_kernelI22helper_blocked_stripedxLj512ELj3ELj10EEvPKT0_PS1_.uses_flat_scratch, 0
	.set _Z16sort_keys_kernelI22helper_blocked_stripedxLj512ELj3ELj10EEvPKT0_PS1_.has_dyn_sized_stack, 0
	.set _Z16sort_keys_kernelI22helper_blocked_stripedxLj512ELj3ELj10EEvPKT0_PS1_.has_recursion, 0
	.set _Z16sort_keys_kernelI22helper_blocked_stripedxLj512ELj3ELj10EEvPKT0_PS1_.has_indirect_call, 0
	.section	.AMDGPU.csdata,"",@progbits
; Kernel info:
; codeLenInByte = 2344
; TotalNumSgprs: 44
; NumVgprs: 38
; ScratchSize: 0
; MemoryBound: 0
; FloatMode: 240
; IeeeMode: 1
; LDSByteSize: 12288 bytes/workgroup (compile time only)
; SGPRBlocks: 5
; VGPRBlocks: 9
; NumSGPRsForWavesPerEU: 44
; NumVGPRsForWavesPerEU: 38
; Occupancy: 6
; WaveLimiterHint : 1
; COMPUTE_PGM_RSRC2:SCRATCH_EN: 0
; COMPUTE_PGM_RSRC2:USER_SGPR: 6
; COMPUTE_PGM_RSRC2:TRAP_HANDLER: 0
; COMPUTE_PGM_RSRC2:TGID_X_EN: 1
; COMPUTE_PGM_RSRC2:TGID_Y_EN: 0
; COMPUTE_PGM_RSRC2:TGID_Z_EN: 0
; COMPUTE_PGM_RSRC2:TIDIG_COMP_CNT: 2
	.section	.text._Z17sort_pairs_kernelI22helper_blocked_stripedxLj512ELj3ELj10EEvPKT0_PS1_,"axG",@progbits,_Z17sort_pairs_kernelI22helper_blocked_stripedxLj512ELj3ELj10EEvPKT0_PS1_,comdat
	.protected	_Z17sort_pairs_kernelI22helper_blocked_stripedxLj512ELj3ELj10EEvPKT0_PS1_ ; -- Begin function _Z17sort_pairs_kernelI22helper_blocked_stripedxLj512ELj3ELj10EEvPKT0_PS1_
	.globl	_Z17sort_pairs_kernelI22helper_blocked_stripedxLj512ELj3ELj10EEvPKT0_PS1_
	.p2align	8
	.type	_Z17sort_pairs_kernelI22helper_blocked_stripedxLj512ELj3ELj10EEvPKT0_PS1_,@function
_Z17sort_pairs_kernelI22helper_blocked_stripedxLj512ELj3ELj10EEvPKT0_PS1_: ; @_Z17sort_pairs_kernelI22helper_blocked_stripedxLj512ELj3ELj10EEvPKT0_PS1_
; %bb.0:
	s_load_dwordx4 s[28:31], s[4:5], 0x0
	s_load_dword s33, s[4:5], 0x1c
	s_mul_i32 s36, s6, 0x600
	s_mov_b32 s37, 0
	s_lshl_b64 s[34:35], s[36:37], 3
	s_waitcnt lgkmcnt(0)
	s_add_u32 s0, s28, s34
	v_mul_u32_u24_e32 v3, 3, v0
	s_addc_u32 s1, s29, s35
	v_lshlrev_b32_e32 v7, 3, v3
	global_load_dwordx4 v[3:6], v7, s[0:1]
	global_load_dwordx2 v[21:22], v7, s[0:1] offset:16
	v_mbcnt_lo_u32_b32 v7, -1, 0
	v_mbcnt_hi_u32_b32 v7, -1, v7
	v_lshrrev_b32_e32 v8, 6, v0
	v_and_b32_e32 v9, 0x1c0, v0
	v_mul_u32_u24_e32 v13, 0xc0, v8
	v_and_b32_e32 v16, 16, v7
	v_subrev_co_u32_e64 v18, s[8:9], 1, v7
	v_and_b32_e32 v19, 64, v7
	s_lshr_b32 s28, s33, 16
	v_or_b32_e32 v17, 63, v9
	v_cmp_eq_u32_e64 s[18:19], 0, v16
	v_lshlrev_b32_e32 v16, 3, v13
	v_cmp_lt_i32_e32 vcc, v18, v19
	s_and_b32 s29, s33, 0xffff
	v_mad_u32_u24 v1, v2, s28, v1
	v_lshlrev_b32_e32 v15, 3, v7
	v_and_b32_e32 v14, 15, v7
	v_cmp_lt_u32_e64 s[6:7], 31, v7
	v_lshlrev_b32_e32 v34, 2, v8
	v_and_b32_e32 v8, 7, v7
	v_cmp_eq_u32_e64 s[20:21], v0, v17
	v_cndmask_b32_e32 v17, v18, v7, vcc
	v_mad_u64_u32 v[1:2], s[28:29], v1, s29, v[0:1]
	v_mad_u32_u24 v39, v7, 24, v16
	v_lshlrev_b32_e32 v33, 4, v0
	v_mul_u32_u24_e32 v9, 24, v9
	v_cmp_eq_u32_e64 s[22:23], 0, v8
	v_cmp_lt_u32_e64 s[24:25], 1, v8
	v_cmp_lt_u32_e64 s[26:27], 3, v8
	v_lshlrev_b32_e32 v10, 2, v0
	s_mov_b32 s11, s37
	v_mad_i32_i24 v35, v0, -12, v33
	v_add_u32_e32 v36, v15, v9
	s_mov_b32 s10, s37
	s_mov_b32 s36, s37
	v_mov_b32_e32 v12, s11
	v_add_u32_e32 v37, v35, v10
	v_mov_b32_e32 v11, s10
	v_cmp_eq_u32_e64 s[10:11], 0, v14
	v_cmp_lt_u32_e64 s[12:13], 1, v14
	v_cmp_lt_u32_e64 s[14:15], 3, v14
	;; [unrolled: 1-line block ×3, first 2 shown]
	v_mov_b32_e32 v13, s36
	v_add_u32_e32 v40, v15, v16
	v_lshrrev_b32_e32 v1, 4, v1
	v_cmp_gt_u32_e64 s[0:1], 8, v0
	v_cmp_lt_u32_e64 s[2:3], 63, v0
	v_cmp_eq_u32_e64 s[4:5], 0, v0
	v_add_u32_e32 v38, -4, v34
	v_mov_b32_e32 v14, s37
	v_lshlrev_b32_e32 v41, 2, v17
	v_and_b32_e32 v42, 0xffffffc, v1
	v_mov_b32_e32 v15, 0
	s_waitcnt vmcnt(1)
	v_add_co_u32_e32 v7, vcc, 1, v3
	v_addc_co_u32_e32 v8, vcc, 0, v4, vcc
	v_add_co_u32_e32 v9, vcc, 1, v5
	v_addc_co_u32_e32 v10, vcc, 0, v6, vcc
	s_waitcnt vmcnt(0)
	v_add_co_u32_e32 v16, vcc, 1, v21
	v_addc_co_u32_e32 v17, vcc, 0, v22, vcc
	s_branch .LBB331_2
.LBB331_1:                              ;   in Loop: Header=BB331_2 Depth=1
	v_lshlrev_b32_e32 v1, 3, v44
	v_lshlrev_b32_e32 v2, 3, v43
	;; [unrolled: 1-line block ×3, first 2 shown]
	s_barrier
	ds_write_b64 v1, v[27:28]
	ds_write_b64 v2, v[25:26]
	;; [unrolled: 1-line block ×3, first 2 shown]
	s_waitcnt lgkmcnt(0)
	s_barrier
	ds_read2st64_b64 v[3:6], v37 offset1:8
	ds_read_b64 v[21:22], v37 offset:8192
	s_waitcnt lgkmcnt(0)
	s_barrier
	ds_write_b64 v1, v[19:20]
	ds_write_b64 v2, v[17:18]
	;; [unrolled: 1-line block ×3, first 2 shown]
	s_waitcnt lgkmcnt(0)
	s_barrier
	ds_read2st64_b64 v[7:10], v37 offset1:8
	ds_read_b64 v[16:17], v37 offset:8192
	s_add_i32 s37, s37, 1
	v_xor_b32_e32 v4, 0x80000000, v4
	v_xor_b32_e32 v6, 0x80000000, v6
	s_cmp_eq_u32 s37, 10
	v_xor_b32_e32 v22, 0x80000000, v22
	s_cbranch_scc1 .LBB331_18
.LBB331_2:                              ; =>This Loop Header: Depth=1
                                        ;     Child Loop BB331_4 Depth 2
	v_xor_b32_e32 v4, 0x80000000, v4
	v_xor_b32_e32 v6, 0x80000000, v6
	;; [unrolled: 1-line block ×3, first 2 shown]
	ds_write2_b64 v39, v[3:4], v[5:6] offset1:1
	ds_write_b64 v39, v[21:22] offset:16
	; wave barrier
	ds_read2st64_b64 v[1:4], v40 offset1:1
	ds_read_b64 v[29:30], v40 offset:1024
	; wave barrier
	s_waitcnt lgkmcnt(5)
	ds_write2_b64 v39, v[7:8], v[9:10] offset1:1
	s_waitcnt lgkmcnt(5)
	ds_write_b64 v39, v[16:17] offset:16
	; wave barrier
	ds_read2st64_b64 v[5:8], v40 offset1:1
	ds_read_b64 v[31:32], v40 offset:1024
	v_mov_b32_e32 v21, 0
	v_mov_b32_e32 v22, 0
	s_waitcnt lgkmcnt(0)
	s_barrier
	s_branch .LBB331_4
.LBB331_3:                              ;   in Loop: Header=BB331_4 Depth=2
	s_andn2_b64 vcc, exec, s[28:29]
	s_cbranch_vccz .LBB331_1
.LBB331_4:                              ;   Parent Loop BB331_2 Depth=1
                                        ; =>  This Inner Loop Header: Depth=2
	v_mov_b32_e32 v28, v2
	v_mov_b32_e32 v27, v1
	v_lshrrev_b64 v[1:2], v21, v[27:28]
	v_mov_b32_e32 v26, v4
	v_and_b32_e32 v2, 1, v1
	v_mov_b32_e32 v25, v3
	v_add_co_u32_e32 v3, vcc, -1, v2
	v_addc_co_u32_e64 v4, s[28:29], 0, -1, vcc
	v_cmp_ne_u32_e32 vcc, 0, v2
	v_lshlrev_b32_e32 v16, 30, v1
	v_xor_b32_e32 v2, vcc_hi, v4
	v_xor_b32_e32 v3, vcc_lo, v3
	v_cmp_gt_i64_e32 vcc, 0, v[15:16]
	v_not_b32_e32 v4, v16
	v_mov_b32_e32 v20, v6
	v_ashrrev_i32_e32 v4, 31, v4
	v_mov_b32_e32 v19, v5
	v_and_b32_e32 v3, exec_lo, v3
	v_xor_b32_e32 v5, vcc_hi, v4
	v_xor_b32_e32 v4, vcc_lo, v4
	v_lshlrev_b32_e32 v16, 29, v1
	v_and_b32_e32 v3, v3, v4
	v_cmp_gt_i64_e32 vcc, 0, v[15:16]
	v_not_b32_e32 v4, v16
	v_and_b32_e32 v2, exec_hi, v2
	v_ashrrev_i32_e32 v4, 31, v4
	v_and_b32_e32 v2, v2, v5
	v_xor_b32_e32 v5, vcc_hi, v4
	v_xor_b32_e32 v4, vcc_lo, v4
	v_lshlrev_b32_e32 v16, 28, v1
	v_and_b32_e32 v3, v3, v4
	v_cmp_gt_i64_e32 vcc, 0, v[15:16]
	v_not_b32_e32 v4, v16
	v_ashrrev_i32_e32 v4, 31, v4
	v_and_b32_e32 v2, v2, v5
	v_xor_b32_e32 v5, vcc_hi, v4
	v_xor_b32_e32 v4, vcc_lo, v4
	v_lshlrev_b32_e32 v16, 27, v1
	v_and_b32_e32 v3, v3, v4
	v_cmp_gt_i64_e32 vcc, 0, v[15:16]
	v_not_b32_e32 v4, v16
	;; [unrolled: 8-line block ×4, first 2 shown]
	v_ashrrev_i32_e32 v4, 31, v4
	v_and_b32_e32 v2, v2, v5
	v_xor_b32_e32 v5, vcc_hi, v4
	v_lshlrev_b32_e32 v16, 24, v1
	v_and_b32_e32 v2, v2, v5
	v_lshlrev_b32_e32 v5, 5, v1
	v_xor_b32_e32 v4, vcc_lo, v4
	v_cmp_gt_i64_e32 vcc, 0, v[15:16]
	v_not_b32_e32 v1, v16
	v_ashrrev_i32_e32 v1, 31, v1
	v_and_b32_e32 v3, v3, v4
	v_xor_b32_e32 v4, vcc_hi, v1
	v_xor_b32_e32 v1, vcc_lo, v1
	v_and_b32_e32 v1, v3, v1
	v_and_b32_e32 v2, v2, v4
	v_mbcnt_lo_u32_b32 v3, v1, 0
	v_mbcnt_hi_u32_b32 v6, v2, v3
	v_cmp_ne_u64_e32 vcc, 0, v[1:2]
	v_mov_b32_e32 v23, v29
	v_mov_b32_e32 v9, v31
	;; [unrolled: 1-line block ×3, first 2 shown]
	v_and_b32_e32 v5, 0x1fe0, v5
	v_cmp_eq_u32_e64 s[28:29], 0, v6
	v_mov_b32_e32 v24, v30
	v_mov_b32_e32 v10, v32
	;; [unrolled: 1-line block ×3, first 2 shown]
	v_add_u32_e32 v5, v42, v5
	s_and_b64 s[38:39], vcc, s[28:29]
	ds_write2_b64 v33, v[13:14], v[11:12] offset0:4 offset1:5
	s_waitcnt lgkmcnt(0)
	s_barrier
	; wave barrier
	s_and_saveexec_b64 s[28:29], s[38:39]
; %bb.5:                                ;   in Loop: Header=BB331_4 Depth=2
	v_bcnt_u32_b32 v1, v1, 0
	v_bcnt_u32_b32 v1, v2, v1
	ds_write_b32 v5, v1 offset:32
; %bb.6:                                ;   in Loop: Header=BB331_4 Depth=2
	s_or_b64 exec, exec, s[28:29]
	v_lshrrev_b64 v[1:2], v21, v[25:26]
	v_lshlrev_b32_e32 v2, 5, v1
	v_and_b32_e32 v2, 0x1fe0, v2
	v_add_u32_e32 v8, v42, v2
	v_and_b32_e32 v2, 1, v1
	v_add_co_u32_e32 v3, vcc, -1, v2
	v_addc_co_u32_e64 v4, s[28:29], 0, -1, vcc
	v_cmp_ne_u32_e32 vcc, 0, v2
	v_lshlrev_b32_e32 v16, 30, v1
	v_xor_b32_e32 v2, vcc_hi, v4
	v_xor_b32_e32 v3, vcc_lo, v3
	v_cmp_gt_i64_e32 vcc, 0, v[15:16]
	v_not_b32_e32 v4, v16
	v_ashrrev_i32_e32 v4, 31, v4
	v_and_b32_e32 v2, exec_hi, v2
	v_xor_b32_e32 v16, vcc_hi, v4
	v_and_b32_e32 v3, exec_lo, v3
	v_xor_b32_e32 v4, vcc_lo, v4
	v_and_b32_e32 v2, v2, v16
	v_lshlrev_b32_e32 v16, 29, v1
	v_and_b32_e32 v3, v3, v4
	v_cmp_gt_i64_e32 vcc, 0, v[15:16]
	v_not_b32_e32 v4, v16
	v_ashrrev_i32_e32 v4, 31, v4
	v_xor_b32_e32 v16, vcc_hi, v4
	v_xor_b32_e32 v4, vcc_lo, v4
	v_and_b32_e32 v2, v2, v16
	v_lshlrev_b32_e32 v16, 28, v1
	v_and_b32_e32 v3, v3, v4
	v_cmp_gt_i64_e32 vcc, 0, v[15:16]
	v_not_b32_e32 v4, v16
	v_ashrrev_i32_e32 v4, 31, v4
	v_xor_b32_e32 v16, vcc_hi, v4
	;; [unrolled: 8-line block ×5, first 2 shown]
	v_and_b32_e32 v2, v2, v16
	v_lshlrev_b32_e32 v16, 24, v1
	v_xor_b32_e32 v4, vcc_lo, v4
	v_cmp_gt_i64_e32 vcc, 0, v[15:16]
	v_not_b32_e32 v1, v16
	v_ashrrev_i32_e32 v1, 31, v1
	v_and_b32_e32 v3, v3, v4
	v_xor_b32_e32 v4, vcc_hi, v1
	v_xor_b32_e32 v1, vcc_lo, v1
	; wave barrier
	ds_read_b32 v7, v8 offset:32
	v_and_b32_e32 v1, v3, v1
	v_and_b32_e32 v2, v2, v4
	v_mbcnt_lo_u32_b32 v3, v1, 0
	v_mbcnt_hi_u32_b32 v29, v2, v3
	v_cmp_ne_u64_e32 vcc, 0, v[1:2]
	v_cmp_eq_u32_e64 s[28:29], 0, v29
	s_and_b64 s[38:39], vcc, s[28:29]
	; wave barrier
	s_and_saveexec_b64 s[28:29], s[38:39]
	s_cbranch_execz .LBB331_8
; %bb.7:                                ;   in Loop: Header=BB331_4 Depth=2
	v_bcnt_u32_b32 v1, v1, 0
	v_bcnt_u32_b32 v1, v2, v1
	s_waitcnt lgkmcnt(0)
	v_add_u32_e32 v1, v7, v1
	ds_write_b32 v8, v1 offset:32
.LBB331_8:                              ;   in Loop: Header=BB331_4 Depth=2
	s_or_b64 exec, exec, s[28:29]
	v_lshrrev_b64 v[1:2], v21, v[23:24]
	v_lshlrev_b32_e32 v2, 5, v1
	v_and_b32_e32 v2, 0x1fe0, v2
	v_add_u32_e32 v31, v42, v2
	v_and_b32_e32 v2, 1, v1
	v_add_co_u32_e32 v3, vcc, -1, v2
	v_addc_co_u32_e64 v4, s[28:29], 0, -1, vcc
	v_cmp_ne_u32_e32 vcc, 0, v2
	v_lshlrev_b32_e32 v16, 30, v1
	v_xor_b32_e32 v2, vcc_hi, v4
	v_xor_b32_e32 v3, vcc_lo, v3
	v_cmp_gt_i64_e32 vcc, 0, v[15:16]
	v_not_b32_e32 v4, v16
	v_ashrrev_i32_e32 v4, 31, v4
	v_and_b32_e32 v2, exec_hi, v2
	v_xor_b32_e32 v16, vcc_hi, v4
	v_and_b32_e32 v3, exec_lo, v3
	v_xor_b32_e32 v4, vcc_lo, v4
	v_and_b32_e32 v2, v2, v16
	v_lshlrev_b32_e32 v16, 29, v1
	v_and_b32_e32 v3, v3, v4
	v_cmp_gt_i64_e32 vcc, 0, v[15:16]
	v_not_b32_e32 v4, v16
	v_ashrrev_i32_e32 v4, 31, v4
	v_xor_b32_e32 v16, vcc_hi, v4
	v_xor_b32_e32 v4, vcc_lo, v4
	v_and_b32_e32 v2, v2, v16
	v_lshlrev_b32_e32 v16, 28, v1
	v_and_b32_e32 v3, v3, v4
	v_cmp_gt_i64_e32 vcc, 0, v[15:16]
	v_not_b32_e32 v4, v16
	v_ashrrev_i32_e32 v4, 31, v4
	v_xor_b32_e32 v16, vcc_hi, v4
	;; [unrolled: 8-line block ×5, first 2 shown]
	v_and_b32_e32 v2, v2, v16
	v_lshlrev_b32_e32 v16, 24, v1
	v_xor_b32_e32 v4, vcc_lo, v4
	v_cmp_gt_i64_e32 vcc, 0, v[15:16]
	v_not_b32_e32 v1, v16
	v_ashrrev_i32_e32 v1, 31, v1
	v_and_b32_e32 v3, v3, v4
	v_xor_b32_e32 v4, vcc_hi, v1
	v_xor_b32_e32 v1, vcc_lo, v1
	; wave barrier
	ds_read_b32 v30, v31 offset:32
	v_and_b32_e32 v1, v3, v1
	v_and_b32_e32 v2, v2, v4
	v_mbcnt_lo_u32_b32 v3, v1, 0
	v_mbcnt_hi_u32_b32 v16, v2, v3
	v_cmp_ne_u64_e32 vcc, 0, v[1:2]
	v_cmp_eq_u32_e64 s[28:29], 0, v16
	s_and_b64 s[38:39], vcc, s[28:29]
	; wave barrier
	s_and_saveexec_b64 s[28:29], s[38:39]
	s_cbranch_execz .LBB331_10
; %bb.9:                                ;   in Loop: Header=BB331_4 Depth=2
	v_bcnt_u32_b32 v1, v1, 0
	v_bcnt_u32_b32 v1, v2, v1
	s_waitcnt lgkmcnt(0)
	v_add_u32_e32 v1, v30, v1
	ds_write_b32 v31, v1 offset:32
.LBB331_10:                             ;   in Loop: Header=BB331_4 Depth=2
	s_or_b64 exec, exec, s[28:29]
	; wave barrier
	s_waitcnt lgkmcnt(0)
	s_barrier
	ds_read2_b64 v[1:4], v33 offset0:4 offset1:5
	s_waitcnt lgkmcnt(0)
	v_add_u32_e32 v32, v2, v1
	v_add3_u32 v4, v32, v3, v4
	s_nop 1
	v_mov_b32_dpp v32, v4 row_shr:1 row_mask:0xf bank_mask:0xf
	v_cndmask_b32_e64 v32, v32, 0, s[10:11]
	v_add_u32_e32 v4, v32, v4
	s_nop 1
	v_mov_b32_dpp v32, v4 row_shr:2 row_mask:0xf bank_mask:0xf
	v_cndmask_b32_e64 v32, 0, v32, s[12:13]
	v_add_u32_e32 v4, v4, v32
	;; [unrolled: 4-line block ×4, first 2 shown]
	s_nop 1
	v_mov_b32_dpp v32, v4 row_bcast:15 row_mask:0xf bank_mask:0xf
	v_cndmask_b32_e64 v32, v32, 0, s[18:19]
	v_add_u32_e32 v4, v4, v32
	s_nop 1
	v_mov_b32_dpp v32, v4 row_bcast:31 row_mask:0xf bank_mask:0xf
	v_cndmask_b32_e64 v32, 0, v32, s[6:7]
	v_add_u32_e32 v4, v4, v32
	s_and_saveexec_b64 s[28:29], s[20:21]
; %bb.11:                               ;   in Loop: Header=BB331_4 Depth=2
	ds_write_b32 v34, v4
; %bb.12:                               ;   in Loop: Header=BB331_4 Depth=2
	s_or_b64 exec, exec, s[28:29]
	s_waitcnt lgkmcnt(0)
	s_barrier
	s_and_saveexec_b64 s[28:29], s[0:1]
	s_cbranch_execz .LBB331_14
; %bb.13:                               ;   in Loop: Header=BB331_4 Depth=2
	ds_read_b32 v32, v35
	s_waitcnt lgkmcnt(0)
	s_nop 0
	v_mov_b32_dpp v43, v32 row_shr:1 row_mask:0xf bank_mask:0xf
	v_cndmask_b32_e64 v43, v43, 0, s[22:23]
	v_add_u32_e32 v32, v43, v32
	s_nop 1
	v_mov_b32_dpp v43, v32 row_shr:2 row_mask:0xf bank_mask:0xf
	v_cndmask_b32_e64 v43, 0, v43, s[24:25]
	v_add_u32_e32 v32, v32, v43
	s_nop 1
	v_mov_b32_dpp v43, v32 row_shr:4 row_mask:0xf bank_mask:0xf
	v_cndmask_b32_e64 v43, 0, v43, s[26:27]
	v_add_u32_e32 v32, v32, v43
	ds_write_b32 v35, v32
.LBB331_14:                             ;   in Loop: Header=BB331_4 Depth=2
	s_or_b64 exec, exec, s[28:29]
	v_mov_b32_e32 v32, 0
	s_waitcnt lgkmcnt(0)
	s_barrier
	s_and_saveexec_b64 s[28:29], s[2:3]
; %bb.15:                               ;   in Loop: Header=BB331_4 Depth=2
	ds_read_b32 v32, v38
; %bb.16:                               ;   in Loop: Header=BB331_4 Depth=2
	s_or_b64 exec, exec, s[28:29]
	s_waitcnt lgkmcnt(0)
	v_add_u32_e32 v4, v32, v4
	ds_bpermute_b32 v4, v41, v4
	v_cmp_lt_u32_e32 vcc, 55, v21
	s_and_b64 vcc, exec, vcc
	s_mov_b64 s[28:29], -1
	s_waitcnt lgkmcnt(0)
	v_cndmask_b32_e64 v4, v4, v32, s[8:9]
	v_cndmask_b32_e64 v43, v4, 0, s[4:5]
	v_add_u32_e32 v44, v43, v1
	v_add_u32_e32 v1, v44, v2
	;; [unrolled: 1-line block ×3, first 2 shown]
	ds_write2_b64 v33, v[43:44], v[1:2] offset0:4 offset1:5
	s_waitcnt lgkmcnt(0)
	s_barrier
	ds_read_b32 v1, v5 offset:32
	ds_read_b32 v2, v8 offset:32
	;; [unrolled: 1-line block ×3, first 2 shown]
                                        ; implicit-def: $vgpr31_vgpr32
	s_waitcnt lgkmcnt(2)
	v_add_u32_e32 v44, v1, v6
	s_waitcnt lgkmcnt(1)
	v_add3_u32 v43, v29, v7, v2
	s_waitcnt lgkmcnt(0)
	v_add3_u32 v16, v16, v30, v3
                                        ; implicit-def: $vgpr29_vgpr30
                                        ; implicit-def: $vgpr3_vgpr4
                                        ; implicit-def: $vgpr7_vgpr8
	s_cbranch_vccnz .LBB331_3
; %bb.17:                               ;   in Loop: Header=BB331_4 Depth=2
	v_lshlrev_b32_e32 v5, 3, v44
	v_lshlrev_b32_e32 v6, 3, v43
	;; [unrolled: 1-line block ×3, first 2 shown]
	s_barrier
	ds_write_b64 v5, v[27:28]
	ds_write_b64 v6, v[25:26]
	;; [unrolled: 1-line block ×3, first 2 shown]
	s_waitcnt lgkmcnt(0)
	s_barrier
	ds_read2st64_b64 v[1:4], v36 offset1:1
	ds_read_b64 v[29:30], v36 offset:1024
	s_waitcnt lgkmcnt(0)
	s_barrier
	ds_write_b64 v5, v[19:20]
	ds_write_b64 v6, v[17:18]
	;; [unrolled: 1-line block ×3, first 2 shown]
	s_waitcnt lgkmcnt(0)
	s_barrier
	ds_read2st64_b64 v[5:8], v36 offset1:1
	ds_read_b64 v[31:32], v36 offset:1024
	v_add_co_u32_e32 v21, vcc, 8, v21
	v_addc_co_u32_e32 v22, vcc, 0, v22, vcc
	s_mov_b64 s[28:29], 0
	s_waitcnt lgkmcnt(0)
	s_barrier
	s_branch .LBB331_3
.LBB331_18:
	s_waitcnt lgkmcnt(1)
	v_add_co_u32_e32 v1, vcc, v3, v7
	v_addc_co_u32_e32 v2, vcc, v4, v8, vcc
	v_add_co_u32_e32 v3, vcc, v5, v9
	v_addc_co_u32_e32 v4, vcc, v6, v10, vcc
	s_waitcnt lgkmcnt(0)
	v_add_co_u32_e32 v5, vcc, v21, v16
	s_add_u32 s0, s30, s34
	v_addc_co_u32_e32 v6, vcc, v22, v17, vcc
	s_addc_u32 s1, s31, s35
	v_lshlrev_b32_e32 v0, 3, v0
	v_mov_b32_e32 v7, s1
	v_add_co_u32_e32 v8, vcc, s0, v0
	v_addc_co_u32_e32 v7, vcc, 0, v7, vcc
	global_store_dwordx2 v0, v[1:2], s[0:1]
	v_add_co_u32_e32 v0, vcc, 0x1000, v8
	v_addc_co_u32_e32 v1, vcc, 0, v7, vcc
	global_store_dwordx2 v[0:1], v[3:4], off
	v_add_co_u32_e32 v0, vcc, 0x2000, v8
	v_addc_co_u32_e32 v1, vcc, 0, v7, vcc
	global_store_dwordx2 v[0:1], v[5:6], off
	s_endpgm
	.section	.rodata,"a",@progbits
	.p2align	6, 0x0
	.amdhsa_kernel _Z17sort_pairs_kernelI22helper_blocked_stripedxLj512ELj3ELj10EEvPKT0_PS1_
		.amdhsa_group_segment_fixed_size 12288
		.amdhsa_private_segment_fixed_size 0
		.amdhsa_kernarg_size 272
		.amdhsa_user_sgpr_count 6
		.amdhsa_user_sgpr_private_segment_buffer 1
		.amdhsa_user_sgpr_dispatch_ptr 0
		.amdhsa_user_sgpr_queue_ptr 0
		.amdhsa_user_sgpr_kernarg_segment_ptr 1
		.amdhsa_user_sgpr_dispatch_id 0
		.amdhsa_user_sgpr_flat_scratch_init 0
		.amdhsa_user_sgpr_private_segment_size 0
		.amdhsa_uses_dynamic_stack 0
		.amdhsa_system_sgpr_private_segment_wavefront_offset 0
		.amdhsa_system_sgpr_workgroup_id_x 1
		.amdhsa_system_sgpr_workgroup_id_y 0
		.amdhsa_system_sgpr_workgroup_id_z 0
		.amdhsa_system_sgpr_workgroup_info 0
		.amdhsa_system_vgpr_workitem_id 2
		.amdhsa_next_free_vgpr 45
		.amdhsa_next_free_sgpr 40
		.amdhsa_reserve_vcc 1
		.amdhsa_reserve_flat_scratch 0
		.amdhsa_float_round_mode_32 0
		.amdhsa_float_round_mode_16_64 0
		.amdhsa_float_denorm_mode_32 3
		.amdhsa_float_denorm_mode_16_64 3
		.amdhsa_dx10_clamp 1
		.amdhsa_ieee_mode 1
		.amdhsa_fp16_overflow 0
		.amdhsa_exception_fp_ieee_invalid_op 0
		.amdhsa_exception_fp_denorm_src 0
		.amdhsa_exception_fp_ieee_div_zero 0
		.amdhsa_exception_fp_ieee_overflow 0
		.amdhsa_exception_fp_ieee_underflow 0
		.amdhsa_exception_fp_ieee_inexact 0
		.amdhsa_exception_int_div_zero 0
	.end_amdhsa_kernel
	.section	.text._Z17sort_pairs_kernelI22helper_blocked_stripedxLj512ELj3ELj10EEvPKT0_PS1_,"axG",@progbits,_Z17sort_pairs_kernelI22helper_blocked_stripedxLj512ELj3ELj10EEvPKT0_PS1_,comdat
.Lfunc_end331:
	.size	_Z17sort_pairs_kernelI22helper_blocked_stripedxLj512ELj3ELj10EEvPKT0_PS1_, .Lfunc_end331-_Z17sort_pairs_kernelI22helper_blocked_stripedxLj512ELj3ELj10EEvPKT0_PS1_
                                        ; -- End function
	.set _Z17sort_pairs_kernelI22helper_blocked_stripedxLj512ELj3ELj10EEvPKT0_PS1_.num_vgpr, 45
	.set _Z17sort_pairs_kernelI22helper_blocked_stripedxLj512ELj3ELj10EEvPKT0_PS1_.num_agpr, 0
	.set _Z17sort_pairs_kernelI22helper_blocked_stripedxLj512ELj3ELj10EEvPKT0_PS1_.numbered_sgpr, 40
	.set _Z17sort_pairs_kernelI22helper_blocked_stripedxLj512ELj3ELj10EEvPKT0_PS1_.num_named_barrier, 0
	.set _Z17sort_pairs_kernelI22helper_blocked_stripedxLj512ELj3ELj10EEvPKT0_PS1_.private_seg_size, 0
	.set _Z17sort_pairs_kernelI22helper_blocked_stripedxLj512ELj3ELj10EEvPKT0_PS1_.uses_vcc, 1
	.set _Z17sort_pairs_kernelI22helper_blocked_stripedxLj512ELj3ELj10EEvPKT0_PS1_.uses_flat_scratch, 0
	.set _Z17sort_pairs_kernelI22helper_blocked_stripedxLj512ELj3ELj10EEvPKT0_PS1_.has_dyn_sized_stack, 0
	.set _Z17sort_pairs_kernelI22helper_blocked_stripedxLj512ELj3ELj10EEvPKT0_PS1_.has_recursion, 0
	.set _Z17sort_pairs_kernelI22helper_blocked_stripedxLj512ELj3ELj10EEvPKT0_PS1_.has_indirect_call, 0
	.section	.AMDGPU.csdata,"",@progbits
; Kernel info:
; codeLenInByte = 2560
; TotalNumSgprs: 44
; NumVgprs: 45
; ScratchSize: 0
; MemoryBound: 0
; FloatMode: 240
; IeeeMode: 1
; LDSByteSize: 12288 bytes/workgroup (compile time only)
; SGPRBlocks: 5
; VGPRBlocks: 11
; NumSGPRsForWavesPerEU: 44
; NumVGPRsForWavesPerEU: 45
; Occupancy: 5
; WaveLimiterHint : 1
; COMPUTE_PGM_RSRC2:SCRATCH_EN: 0
; COMPUTE_PGM_RSRC2:USER_SGPR: 6
; COMPUTE_PGM_RSRC2:TRAP_HANDLER: 0
; COMPUTE_PGM_RSRC2:TGID_X_EN: 1
; COMPUTE_PGM_RSRC2:TGID_Y_EN: 0
; COMPUTE_PGM_RSRC2:TGID_Z_EN: 0
; COMPUTE_PGM_RSRC2:TIDIG_COMP_CNT: 2
	.section	.text._Z16sort_keys_kernelI22helper_blocked_stripedxLj512ELj4ELj10EEvPKT0_PS1_,"axG",@progbits,_Z16sort_keys_kernelI22helper_blocked_stripedxLj512ELj4ELj10EEvPKT0_PS1_,comdat
	.protected	_Z16sort_keys_kernelI22helper_blocked_stripedxLj512ELj4ELj10EEvPKT0_PS1_ ; -- Begin function _Z16sort_keys_kernelI22helper_blocked_stripedxLj512ELj4ELj10EEvPKT0_PS1_
	.globl	_Z16sort_keys_kernelI22helper_blocked_stripedxLj512ELj4ELj10EEvPKT0_PS1_
	.p2align	8
	.type	_Z16sort_keys_kernelI22helper_blocked_stripedxLj512ELj4ELj10EEvPKT0_PS1_,@function
_Z16sort_keys_kernelI22helper_blocked_stripedxLj512ELj4ELj10EEvPKT0_PS1_: ; @_Z16sort_keys_kernelI22helper_blocked_stripedxLj512ELj4ELj10EEvPKT0_PS1_
; %bb.0:
	s_load_dwordx4 s[40:43], s[4:5], 0x0
	s_load_dword s8, s[4:5], 0x1c
	s_lshl_b32 s44, s6, 11
	s_mov_b32 s45, 0
	s_lshl_b64 s[46:47], s[44:45], 3
	s_waitcnt lgkmcnt(0)
	s_add_u32 s0, s40, s46
	s_addc_u32 s1, s41, s47
	v_lshlrev_b32_e32 v11, 5, v0
	global_load_dwordx4 v[3:6], v11, s[0:1] offset:16
	global_load_dwordx4 v[7:10], v11, s[0:1]
	s_lshr_b32 s9, s8, 16
	v_mbcnt_lo_u32_b32 v13, -1, 0
	s_and_b32 s8, s8, 0xffff
	v_mad_u32_u24 v1, v2, s9, v1
	v_mbcnt_hi_u32_b32 v13, -1, v13
	v_mad_u64_u32 v[1:2], s[8:9], v1, s8, v[0:1]
	v_and_b32_e32 v2, 15, v13
	v_cmp_eq_u32_e64 s[8:9], 0, v2
	v_cmp_lt_u32_e64 s[10:11], 1, v2
	v_cmp_lt_u32_e64 s[12:13], 3, v2
	;; [unrolled: 1-line block ×3, first 2 shown]
	v_and_b32_e32 v2, 16, v13
	v_and_b32_e32 v15, 3, v13
	v_cmp_eq_u32_e64 s[16:17], 0, v2
	v_or_b32_e32 v2, 63, v0
	v_cmp_eq_u32_e64 s[0:1], 3, v15
	v_cmp_eq_u32_e64 s[2:3], 2, v15
	;; [unrolled: 1-line block ×4, first 2 shown]
	v_and_b32_e32 v15, 64, v13
	v_cmp_eq_u32_e64 s[20:21], v0, v2
	v_subrev_co_u32_e64 v2, s[26:27], 1, v13
	v_cmp_lt_i32_e32 vcc, v2, v15
	v_lshrrev_b32_e32 v14, 2, v13
	v_cndmask_b32_e32 v2, v2, v13, vcc
	v_or_b32_e32 v16, v14, v15
	v_add_u32_e32 v14, 48, v14
	v_lshlrev_b32_e32 v31, 2, v2
	v_lshrrev_b32_e32 v2, 4, v0
	v_and_or_b32 v14, v14, 63, v15
	v_lshlrev_b32_e32 v30, 4, v0
	v_and_b32_e32 v32, 28, v2
	v_and_b32_e32 v2, 7, v13
	s_mov_b32 s44, s45
	s_mov_b32 s38, s45
	v_lshlrev_b32_e32 v12, 2, v0
	v_lshlrev_b32_e32 v26, 2, v16
	;; [unrolled: 1-line block ×3, first 2 shown]
	v_mad_i32_i24 v33, v0, -12, v30
	v_cmp_eq_u32_e64 s[30:31], 0, v2
	v_cmp_lt_u32_e64 s[34:35], 1, v2
	v_cmp_lt_u32_e64 s[36:37], 3, v2
	v_and_b32_e32 v2, 0x3800, v11
	v_lshrrev_b32_e32 v1, 4, v1
	s_mov_b32 s39, s45
	v_mov_b32_e32 v14, s44
	v_mov_b32_e32 v16, s38
	v_add_u32_e32 v27, 64, v26
	v_or_b32_e32 v28, 0x80, v26
	v_cmp_lt_u32_e64 s[18:19], 31, v13
	v_cmp_gt_u32_e64 s[22:23], 8, v0
	v_cmp_lt_u32_e64 s[24:25], 63, v0
	v_cmp_eq_u32_e64 s[28:29], 0, v0
	v_add_u32_e32 v34, -4, v32
	v_lshl_or_b32 v35, v13, 3, v2
	v_and_b32_e32 v36, 0xffffffc, v1
	v_mov_b32_e32 v15, s45
	v_mov_b32_e32 v17, s39
	;; [unrolled: 1-line block ×3, first 2 shown]
	v_add_u32_e32 v37, v33, v12
	s_branch .LBB332_2
.LBB332_1:                              ;   in Loop: Header=BB332_2 Depth=1
	v_lshlrev_b32_e32 v1, 3, v42
	s_barrier
	ds_write_b64 v1, v[24:25]
	v_lshlrev_b32_e32 v1, 3, v39
	ds_write_b64 v1, v[22:23]
	v_lshlrev_b32_e32 v1, 3, v38
	;; [unrolled: 2-line block ×3, first 2 shown]
	ds_write_b64 v1, v[5:6]
	s_waitcnt lgkmcnt(0)
	s_barrier
	ds_read2st64_b64 v[7:10], v37 offset1:8
	ds_read2st64_b64 v[3:6], v37 offset0:16 offset1:24
	s_add_i32 s45, s45, 1
	s_cmp_eq_u32 s45, 10
	s_waitcnt lgkmcnt(1)
	v_xor_b32_e32 v8, 0x80000000, v8
	v_xor_b32_e32 v10, 0x80000000, v10
	s_waitcnt lgkmcnt(0)
	v_xor_b32_e32 v4, 0x80000000, v4
	v_xor_b32_e32 v6, 0x80000000, v6
	s_cbranch_scc1 .LBB332_20
.LBB332_2:                              ; =>This Loop Header: Depth=1
                                        ;     Child Loop BB332_4 Depth 2
	s_waitcnt vmcnt(0)
	v_xor_b32_e32 v1, 0x80000000, v8
	ds_bpermute_b32 v2, v26, v7
	ds_bpermute_b32 v8, v26, v1
	v_xor_b32_e32 v19, 0x80000000, v10
	ds_bpermute_b32 v10, v26, v9
	ds_bpermute_b32 v11, v26, v19
	v_xor_b32_e32 v4, 0x80000000, v4
	s_waitcnt lgkmcnt(3)
	v_cndmask_b32_e64 v2, 0, v2, s[6:7]
	ds_bpermute_b32 v12, v26, v4
	ds_bpermute_b32 v13, v26, v3
	s_waitcnt lgkmcnt(4)
	v_cndmask_b32_e64 v8, 0, v8, s[6:7]
	s_waitcnt lgkmcnt(3)
	v_cndmask_b32_e64 v2, v2, v10, s[4:5]
	ds_bpermute_b32 v10, v26, v5
	v_xor_b32_e32 v6, 0x80000000, v6
	s_waitcnt lgkmcnt(3)
	v_cndmask_b32_e64 v8, v8, v11, s[4:5]
	ds_bpermute_b32 v11, v26, v6
	s_waitcnt lgkmcnt(3)
	v_cndmask_b32_e64 v8, v8, v12, s[2:3]
	s_waitcnt lgkmcnt(2)
	v_cndmask_b32_e64 v2, v2, v13, s[2:3]
	ds_bpermute_b32 v12, v27, v7
	s_waitcnt lgkmcnt(2)
	v_cndmask_b32_e64 v10, v2, v10, s[0:1]
	ds_bpermute_b32 v2, v27, v1
	ds_bpermute_b32 v13, v27, v9
	s_waitcnt lgkmcnt(3)
	v_cndmask_b32_e64 v11, v8, v11, s[0:1]
	ds_bpermute_b32 v8, v27, v19
	s_waitcnt lgkmcnt(3)
	v_cndmask_b32_e64 v12, 0, v12, s[6:7]
	s_waitcnt lgkmcnt(2)
	v_cndmask_b32_e64 v2, 0, v2, s[6:7]
	;; [unrolled: 2-line block ×3, first 2 shown]
	ds_bpermute_b32 v13, v27, v4
	s_waitcnt lgkmcnt(1)
	v_cndmask_b32_e64 v2, v2, v8, s[4:5]
	ds_bpermute_b32 v8, v27, v3
	ds_bpermute_b32 v21, v27, v6
	;; [unrolled: 1-line block ×4, first 2 shown]
	s_waitcnt lgkmcnt(4)
	v_cndmask_b32_e64 v2, v2, v13, s[2:3]
	s_waitcnt lgkmcnt(3)
	v_cndmask_b32_e64 v8, v12, v8, s[2:3]
	;; [unrolled: 2-line block ×3, first 2 shown]
	ds_bpermute_b32 v2, v28, v7
	ds_bpermute_b32 v21, v28, v19
	s_waitcnt lgkmcnt(3)
	v_cndmask_b32_e64 v12, v8, v20, s[0:1]
	s_waitcnt lgkmcnt(2)
	v_cndmask_b32_e64 v8, 0, v22, s[6:7]
	ds_bpermute_b32 v20, v28, v9
	ds_bpermute_b32 v22, v28, v4
	s_waitcnt lgkmcnt(3)
	v_cndmask_b32_e64 v2, 0, v2, s[6:7]
	ds_bpermute_b32 v23, v28, v3
	s_waitcnt lgkmcnt(3)
	v_cndmask_b32_e64 v8, v8, v21, s[4:5]
	s_waitcnt lgkmcnt(2)
	v_cndmask_b32_e64 v2, v2, v20, s[4:5]
	;; [unrolled: 2-line block ×3, first 2 shown]
	ds_bpermute_b32 v20, v28, v5
	ds_bpermute_b32 v21, v28, v6
	;; [unrolled: 1-line block ×10, first 2 shown]
	s_waitcnt lgkmcnt(10)
	v_cndmask_b32_e64 v2, v2, v23, s[2:3]
	s_waitcnt lgkmcnt(9)
	v_cndmask_b32_e64 v1, v2, v20, s[0:1]
	;; [unrolled: 2-line block ×9, first 2 shown]
	v_mov_b32_e32 v20, 0
	s_waitcnt lgkmcnt(1)
	v_cndmask_b32_e64 v3, v3, v5, s[0:1]
	s_waitcnt lgkmcnt(0)
	v_cndmask_b32_e64 v4, v4, v6, s[0:1]
	v_mov_b32_e32 v21, 0
	s_barrier
	s_branch .LBB332_4
.LBB332_3:                              ;   in Loop: Header=BB332_4 Depth=2
	s_andn2_b64 vcc, exec, s[38:39]
	s_cbranch_vccz .LBB332_1
.LBB332_4:                              ;   Parent Loop BB332_2 Depth=1
                                        ; =>  This Inner Loop Header: Depth=2
	v_mov_b32_e32 v25, v11
	v_mov_b32_e32 v8, v2
	;; [unrolled: 1-line block ×4, first 2 shown]
	v_lshrrev_b64 v[1:2], v20, v[24:25]
	v_mov_b32_e32 v6, v4
	v_lshlrev_b32_e32 v2, 5, v1
	v_and_b32_e32 v2, 0x1fe0, v2
	v_add_u32_e32 v9, v36, v2
	v_and_b32_e32 v2, 1, v1
	v_mov_b32_e32 v5, v3
	v_add_co_u32_e32 v3, vcc, -1, v2
	v_addc_co_u32_e64 v4, s[38:39], 0, -1, vcc
	v_cmp_ne_u32_e32 vcc, 0, v2
	v_lshlrev_b32_e32 v19, 30, v1
	v_xor_b32_e32 v2, vcc_hi, v4
	v_xor_b32_e32 v3, vcc_lo, v3
	v_cmp_gt_i64_e32 vcc, 0, v[18:19]
	v_not_b32_e32 v4, v19
	v_ashrrev_i32_e32 v4, 31, v4
	v_and_b32_e32 v3, exec_lo, v3
	v_xor_b32_e32 v10, vcc_hi, v4
	v_xor_b32_e32 v4, vcc_lo, v4
	v_lshlrev_b32_e32 v19, 29, v1
	v_and_b32_e32 v3, v3, v4
	v_cmp_gt_i64_e32 vcc, 0, v[18:19]
	v_not_b32_e32 v4, v19
	v_and_b32_e32 v2, exec_hi, v2
	v_ashrrev_i32_e32 v4, 31, v4
	v_and_b32_e32 v2, v2, v10
	v_xor_b32_e32 v10, vcc_hi, v4
	v_xor_b32_e32 v4, vcc_lo, v4
	v_lshlrev_b32_e32 v19, 28, v1
	v_and_b32_e32 v3, v3, v4
	v_cmp_gt_i64_e32 vcc, 0, v[18:19]
	v_not_b32_e32 v4, v19
	v_ashrrev_i32_e32 v4, 31, v4
	v_and_b32_e32 v2, v2, v10
	v_xor_b32_e32 v10, vcc_hi, v4
	v_xor_b32_e32 v4, vcc_lo, v4
	v_lshlrev_b32_e32 v19, 27, v1
	v_and_b32_e32 v3, v3, v4
	v_cmp_gt_i64_e32 vcc, 0, v[18:19]
	v_not_b32_e32 v4, v19
	;; [unrolled: 8-line block ×4, first 2 shown]
	v_ashrrev_i32_e32 v4, 31, v4
	v_lshlrev_b32_e32 v19, 24, v1
	v_and_b32_e32 v2, v2, v10
	v_xor_b32_e32 v10, vcc_hi, v4
	v_xor_b32_e32 v4, vcc_lo, v4
	v_cmp_gt_i64_e32 vcc, 0, v[18:19]
	v_not_b32_e32 v1, v19
	v_ashrrev_i32_e32 v1, 31, v1
	v_and_b32_e32 v3, v3, v4
	v_xor_b32_e32 v4, vcc_hi, v1
	v_xor_b32_e32 v1, vcc_lo, v1
	v_and_b32_e32 v2, v2, v10
	v_and_b32_e32 v1, v3, v1
	;; [unrolled: 1-line block ×3, first 2 shown]
	v_mbcnt_lo_u32_b32 v3, v1, 0
	v_mbcnt_hi_u32_b32 v10, v2, v3
	v_cmp_ne_u64_e32 vcc, 0, v[1:2]
	v_mov_b32_e32 v23, v13
	v_cmp_eq_u32_e64 s[38:39], 0, v10
	v_mov_b32_e32 v22, v12
	s_and_b64 s[40:41], vcc, s[38:39]
	ds_write2_b64 v30, v[14:15], v[16:17] offset0:4 offset1:5
	s_waitcnt lgkmcnt(0)
	s_barrier
	; wave barrier
	s_and_saveexec_b64 s[38:39], s[40:41]
; %bb.5:                                ;   in Loop: Header=BB332_4 Depth=2
	v_bcnt_u32_b32 v1, v1, 0
	v_bcnt_u32_b32 v1, v2, v1
	ds_write_b32 v9, v1 offset:32
; %bb.6:                                ;   in Loop: Header=BB332_4 Depth=2
	s_or_b64 exec, exec, s[38:39]
	v_lshrrev_b64 v[1:2], v20, v[22:23]
	v_lshlrev_b32_e32 v2, 5, v1
	v_and_b32_e32 v2, 0x1fe0, v2
	v_add_u32_e32 v12, v36, v2
	v_and_b32_e32 v2, 1, v1
	v_add_co_u32_e32 v3, vcc, -1, v2
	v_addc_co_u32_e64 v4, s[38:39], 0, -1, vcc
	v_cmp_ne_u32_e32 vcc, 0, v2
	v_lshlrev_b32_e32 v19, 30, v1
	v_xor_b32_e32 v2, vcc_hi, v4
	v_xor_b32_e32 v3, vcc_lo, v3
	v_cmp_gt_i64_e32 vcc, 0, v[18:19]
	v_not_b32_e32 v4, v19
	v_ashrrev_i32_e32 v4, 31, v4
	v_and_b32_e32 v3, exec_lo, v3
	v_xor_b32_e32 v13, vcc_hi, v4
	v_xor_b32_e32 v4, vcc_lo, v4
	v_lshlrev_b32_e32 v19, 29, v1
	v_and_b32_e32 v3, v3, v4
	v_cmp_gt_i64_e32 vcc, 0, v[18:19]
	v_not_b32_e32 v4, v19
	v_and_b32_e32 v2, exec_hi, v2
	v_ashrrev_i32_e32 v4, 31, v4
	v_and_b32_e32 v2, v2, v13
	v_xor_b32_e32 v13, vcc_hi, v4
	v_xor_b32_e32 v4, vcc_lo, v4
	v_lshlrev_b32_e32 v19, 28, v1
	v_and_b32_e32 v3, v3, v4
	v_cmp_gt_i64_e32 vcc, 0, v[18:19]
	v_not_b32_e32 v4, v19
	v_ashrrev_i32_e32 v4, 31, v4
	v_and_b32_e32 v2, v2, v13
	v_xor_b32_e32 v13, vcc_hi, v4
	v_xor_b32_e32 v4, vcc_lo, v4
	v_lshlrev_b32_e32 v19, 27, v1
	v_and_b32_e32 v3, v3, v4
	v_cmp_gt_i64_e32 vcc, 0, v[18:19]
	v_not_b32_e32 v4, v19
	;; [unrolled: 8-line block ×4, first 2 shown]
	v_ashrrev_i32_e32 v4, 31, v4
	v_lshlrev_b32_e32 v19, 24, v1
	v_and_b32_e32 v2, v2, v13
	v_xor_b32_e32 v13, vcc_hi, v4
	v_xor_b32_e32 v4, vcc_lo, v4
	v_cmp_gt_i64_e32 vcc, 0, v[18:19]
	v_not_b32_e32 v1, v19
	v_ashrrev_i32_e32 v1, 31, v1
	v_and_b32_e32 v3, v3, v4
	v_xor_b32_e32 v4, vcc_hi, v1
	v_xor_b32_e32 v1, vcc_lo, v1
	; wave barrier
	ds_read_b32 v11, v12 offset:32
	v_and_b32_e32 v2, v2, v13
	v_and_b32_e32 v1, v3, v1
	;; [unrolled: 1-line block ×3, first 2 shown]
	v_mbcnt_lo_u32_b32 v3, v1, 0
	v_mbcnt_hi_u32_b32 v13, v2, v3
	v_cmp_ne_u64_e32 vcc, 0, v[1:2]
	v_cmp_eq_u32_e64 s[38:39], 0, v13
	s_and_b64 s[40:41], vcc, s[38:39]
	; wave barrier
	s_and_saveexec_b64 s[38:39], s[40:41]
	s_cbranch_execz .LBB332_8
; %bb.7:                                ;   in Loop: Header=BB332_4 Depth=2
	v_bcnt_u32_b32 v1, v1, 0
	v_bcnt_u32_b32 v1, v2, v1
	s_waitcnt lgkmcnt(0)
	v_add_u32_e32 v1, v11, v1
	ds_write_b32 v12, v1 offset:32
.LBB332_8:                              ;   in Loop: Header=BB332_4 Depth=2
	s_or_b64 exec, exec, s[38:39]
	v_lshrrev_b64 v[1:2], v20, v[7:8]
	v_lshlrev_b32_e32 v2, 5, v1
	v_and_b32_e32 v2, 0x1fe0, v2
	v_add_u32_e32 v39, v36, v2
	v_and_b32_e32 v2, 1, v1
	v_add_co_u32_e32 v3, vcc, -1, v2
	v_addc_co_u32_e64 v4, s[38:39], 0, -1, vcc
	v_cmp_ne_u32_e32 vcc, 0, v2
	v_lshlrev_b32_e32 v19, 30, v1
	v_xor_b32_e32 v2, vcc_hi, v4
	v_xor_b32_e32 v3, vcc_lo, v3
	v_cmp_gt_i64_e32 vcc, 0, v[18:19]
	v_not_b32_e32 v4, v19
	v_ashrrev_i32_e32 v4, 31, v4
	v_and_b32_e32 v2, exec_hi, v2
	v_xor_b32_e32 v19, vcc_hi, v4
	v_and_b32_e32 v3, exec_lo, v3
	v_xor_b32_e32 v4, vcc_lo, v4
	v_and_b32_e32 v2, v2, v19
	v_lshlrev_b32_e32 v19, 29, v1
	v_and_b32_e32 v3, v3, v4
	v_cmp_gt_i64_e32 vcc, 0, v[18:19]
	v_not_b32_e32 v4, v19
	v_ashrrev_i32_e32 v4, 31, v4
	v_xor_b32_e32 v19, vcc_hi, v4
	v_xor_b32_e32 v4, vcc_lo, v4
	v_and_b32_e32 v2, v2, v19
	v_lshlrev_b32_e32 v19, 28, v1
	v_and_b32_e32 v3, v3, v4
	v_cmp_gt_i64_e32 vcc, 0, v[18:19]
	v_not_b32_e32 v4, v19
	v_ashrrev_i32_e32 v4, 31, v4
	v_xor_b32_e32 v19, vcc_hi, v4
	;; [unrolled: 8-line block ×5, first 2 shown]
	v_and_b32_e32 v2, v2, v19
	v_lshlrev_b32_e32 v19, 24, v1
	v_xor_b32_e32 v4, vcc_lo, v4
	v_cmp_gt_i64_e32 vcc, 0, v[18:19]
	v_not_b32_e32 v1, v19
	v_ashrrev_i32_e32 v1, 31, v1
	v_and_b32_e32 v3, v3, v4
	v_xor_b32_e32 v4, vcc_hi, v1
	v_xor_b32_e32 v1, vcc_lo, v1
	; wave barrier
	ds_read_b32 v38, v39 offset:32
	v_and_b32_e32 v1, v3, v1
	v_and_b32_e32 v2, v2, v4
	v_mbcnt_lo_u32_b32 v3, v1, 0
	v_mbcnt_hi_u32_b32 v40, v2, v3
	v_cmp_ne_u64_e32 vcc, 0, v[1:2]
	v_cmp_eq_u32_e64 s[38:39], 0, v40
	s_and_b64 s[40:41], vcc, s[38:39]
	; wave barrier
	s_and_saveexec_b64 s[38:39], s[40:41]
	s_cbranch_execz .LBB332_10
; %bb.9:                                ;   in Loop: Header=BB332_4 Depth=2
	v_bcnt_u32_b32 v1, v1, 0
	v_bcnt_u32_b32 v1, v2, v1
	s_waitcnt lgkmcnt(0)
	v_add_u32_e32 v1, v38, v1
	ds_write_b32 v39, v1 offset:32
.LBB332_10:                             ;   in Loop: Header=BB332_4 Depth=2
	s_or_b64 exec, exec, s[38:39]
	v_lshrrev_b64 v[1:2], v20, v[5:6]
	v_lshlrev_b32_e32 v2, 5, v1
	v_and_b32_e32 v2, 0x1fe0, v2
	v_add_u32_e32 v42, v36, v2
	v_and_b32_e32 v2, 1, v1
	v_add_co_u32_e32 v3, vcc, -1, v2
	v_addc_co_u32_e64 v4, s[38:39], 0, -1, vcc
	v_cmp_ne_u32_e32 vcc, 0, v2
	v_lshlrev_b32_e32 v19, 30, v1
	v_xor_b32_e32 v2, vcc_hi, v4
	v_xor_b32_e32 v3, vcc_lo, v3
	v_cmp_gt_i64_e32 vcc, 0, v[18:19]
	v_not_b32_e32 v4, v19
	v_ashrrev_i32_e32 v4, 31, v4
	v_and_b32_e32 v2, exec_hi, v2
	v_xor_b32_e32 v19, vcc_hi, v4
	v_and_b32_e32 v3, exec_lo, v3
	v_xor_b32_e32 v4, vcc_lo, v4
	v_and_b32_e32 v2, v2, v19
	v_lshlrev_b32_e32 v19, 29, v1
	v_and_b32_e32 v3, v3, v4
	v_cmp_gt_i64_e32 vcc, 0, v[18:19]
	v_not_b32_e32 v4, v19
	v_ashrrev_i32_e32 v4, 31, v4
	v_xor_b32_e32 v19, vcc_hi, v4
	v_xor_b32_e32 v4, vcc_lo, v4
	v_and_b32_e32 v2, v2, v19
	v_lshlrev_b32_e32 v19, 28, v1
	v_and_b32_e32 v3, v3, v4
	v_cmp_gt_i64_e32 vcc, 0, v[18:19]
	v_not_b32_e32 v4, v19
	v_ashrrev_i32_e32 v4, 31, v4
	v_xor_b32_e32 v19, vcc_hi, v4
	;; [unrolled: 8-line block ×5, first 2 shown]
	v_and_b32_e32 v2, v2, v19
	v_lshlrev_b32_e32 v19, 24, v1
	v_xor_b32_e32 v4, vcc_lo, v4
	v_cmp_gt_i64_e32 vcc, 0, v[18:19]
	v_not_b32_e32 v1, v19
	v_ashrrev_i32_e32 v1, 31, v1
	v_and_b32_e32 v3, v3, v4
	v_xor_b32_e32 v4, vcc_hi, v1
	v_xor_b32_e32 v1, vcc_lo, v1
	; wave barrier
	ds_read_b32 v41, v42 offset:32
	v_and_b32_e32 v1, v3, v1
	v_and_b32_e32 v2, v2, v4
	v_mbcnt_lo_u32_b32 v3, v1, 0
	v_mbcnt_hi_u32_b32 v19, v2, v3
	v_cmp_ne_u64_e32 vcc, 0, v[1:2]
	v_cmp_eq_u32_e64 s[38:39], 0, v19
	s_and_b64 s[40:41], vcc, s[38:39]
	; wave barrier
	s_and_saveexec_b64 s[38:39], s[40:41]
	s_cbranch_execz .LBB332_12
; %bb.11:                               ;   in Loop: Header=BB332_4 Depth=2
	v_bcnt_u32_b32 v1, v1, 0
	v_bcnt_u32_b32 v1, v2, v1
	s_waitcnt lgkmcnt(0)
	v_add_u32_e32 v1, v41, v1
	ds_write_b32 v42, v1 offset:32
.LBB332_12:                             ;   in Loop: Header=BB332_4 Depth=2
	s_or_b64 exec, exec, s[38:39]
	; wave barrier
	s_waitcnt lgkmcnt(0)
	s_barrier
	ds_read2_b64 v[1:4], v30 offset0:4 offset1:5
	s_waitcnt lgkmcnt(0)
	v_add_u32_e32 v43, v2, v1
	v_add3_u32 v4, v43, v3, v4
	s_nop 1
	v_mov_b32_dpp v43, v4 row_shr:1 row_mask:0xf bank_mask:0xf
	v_cndmask_b32_e64 v43, v43, 0, s[8:9]
	v_add_u32_e32 v4, v43, v4
	s_nop 1
	v_mov_b32_dpp v43, v4 row_shr:2 row_mask:0xf bank_mask:0xf
	v_cndmask_b32_e64 v43, 0, v43, s[10:11]
	v_add_u32_e32 v4, v4, v43
	s_nop 1
	v_mov_b32_dpp v43, v4 row_shr:4 row_mask:0xf bank_mask:0xf
	v_cndmask_b32_e64 v43, 0, v43, s[12:13]
	v_add_u32_e32 v4, v4, v43
	s_nop 1
	v_mov_b32_dpp v43, v4 row_shr:8 row_mask:0xf bank_mask:0xf
	v_cndmask_b32_e64 v43, 0, v43, s[14:15]
	v_add_u32_e32 v4, v4, v43
	s_nop 1
	v_mov_b32_dpp v43, v4 row_bcast:15 row_mask:0xf bank_mask:0xf
	v_cndmask_b32_e64 v43, v43, 0, s[16:17]
	v_add_u32_e32 v4, v4, v43
	s_nop 1
	v_mov_b32_dpp v43, v4 row_bcast:31 row_mask:0xf bank_mask:0xf
	v_cndmask_b32_e64 v43, 0, v43, s[18:19]
	v_add_u32_e32 v4, v4, v43
	s_and_saveexec_b64 s[38:39], s[20:21]
; %bb.13:                               ;   in Loop: Header=BB332_4 Depth=2
	ds_write_b32 v32, v4
; %bb.14:                               ;   in Loop: Header=BB332_4 Depth=2
	s_or_b64 exec, exec, s[38:39]
	s_waitcnt lgkmcnt(0)
	s_barrier
	s_and_saveexec_b64 s[38:39], s[22:23]
	s_cbranch_execz .LBB332_16
; %bb.15:                               ;   in Loop: Header=BB332_4 Depth=2
	ds_read_b32 v43, v33
	s_waitcnt lgkmcnt(0)
	s_nop 0
	v_mov_b32_dpp v44, v43 row_shr:1 row_mask:0xf bank_mask:0xf
	v_cndmask_b32_e64 v44, v44, 0, s[30:31]
	v_add_u32_e32 v43, v44, v43
	s_nop 1
	v_mov_b32_dpp v44, v43 row_shr:2 row_mask:0xf bank_mask:0xf
	v_cndmask_b32_e64 v44, 0, v44, s[34:35]
	v_add_u32_e32 v43, v43, v44
	;; [unrolled: 4-line block ×3, first 2 shown]
	ds_write_b32 v33, v43
.LBB332_16:                             ;   in Loop: Header=BB332_4 Depth=2
	s_or_b64 exec, exec, s[38:39]
	v_mov_b32_e32 v43, 0
	s_waitcnt lgkmcnt(0)
	s_barrier
	s_and_saveexec_b64 s[38:39], s[24:25]
; %bb.17:                               ;   in Loop: Header=BB332_4 Depth=2
	ds_read_b32 v43, v34
; %bb.18:                               ;   in Loop: Header=BB332_4 Depth=2
	s_or_b64 exec, exec, s[38:39]
	s_waitcnt lgkmcnt(0)
	v_add_u32_e32 v4, v43, v4
	ds_bpermute_b32 v4, v31, v4
	v_cmp_lt_u32_e32 vcc, 55, v20
	s_and_b64 vcc, exec, vcc
	s_mov_b64 s[38:39], -1
	s_waitcnt lgkmcnt(0)
	v_cndmask_b32_e64 v4, v4, v43, s[26:27]
	v_cndmask_b32_e64 v43, v4, 0, s[28:29]
	v_add_u32_e32 v44, v43, v1
	v_add_u32_e32 v1, v44, v2
	;; [unrolled: 1-line block ×3, first 2 shown]
	ds_write2_b64 v30, v[43:44], v[1:2] offset0:4 offset1:5
	s_waitcnt lgkmcnt(0)
	s_barrier
	ds_read_b32 v1, v9 offset:32
	ds_read_b32 v2, v12 offset:32
	;; [unrolled: 1-line block ×4, first 2 shown]
	s_waitcnt lgkmcnt(3)
	v_add_u32_e32 v42, v1, v10
	s_waitcnt lgkmcnt(2)
	v_add3_u32 v39, v13, v11, v2
	s_waitcnt lgkmcnt(1)
	v_add3_u32 v38, v40, v38, v3
	;; [unrolled: 2-line block ×3, first 2 shown]
                                        ; implicit-def: $vgpr3_vgpr4
                                        ; implicit-def: $vgpr12_vgpr13
	s_cbranch_vccnz .LBB332_3
; %bb.19:                               ;   in Loop: Header=BB332_4 Depth=2
	v_lshlrev_b32_e32 v1, 3, v42
	s_barrier
	ds_write_b64 v1, v[24:25]
	v_lshlrev_b32_e32 v1, 3, v39
	ds_write_b64 v1, v[22:23]
	v_lshlrev_b32_e32 v1, 3, v38
	;; [unrolled: 2-line block ×3, first 2 shown]
	ds_write_b64 v1, v[5:6]
	s_waitcnt lgkmcnt(0)
	s_barrier
	ds_read2st64_b64 v[10:13], v35 offset1:1
	ds_read2st64_b64 v[1:4], v35 offset0:2 offset1:3
	v_add_co_u32_e32 v20, vcc, 8, v20
	v_addc_co_u32_e32 v21, vcc, 0, v21, vcc
	s_mov_b64 s[38:39], 0
	s_waitcnt lgkmcnt(0)
	s_barrier
	s_branch .LBB332_3
.LBB332_20:
	s_add_u32 s0, s42, s46
	s_addc_u32 s1, s43, s47
	v_lshlrev_b32_e32 v0, 3, v0
	v_mov_b32_e32 v1, s1
	v_add_co_u32_e32 v2, vcc, s0, v0
	v_addc_co_u32_e32 v11, vcc, 0, v1, vcc
	global_store_dwordx2 v0, v[7:8], s[0:1]
	v_add_co_u32_e32 v0, vcc, 0x1000, v2
	v_addc_co_u32_e32 v1, vcc, 0, v11, vcc
	global_store_dwordx2 v[0:1], v[9:10], off
	v_add_co_u32_e32 v0, vcc, 0x2000, v2
	v_addc_co_u32_e32 v1, vcc, 0, v11, vcc
	global_store_dwordx2 v[0:1], v[3:4], off
	;; [unrolled: 3-line block ×3, first 2 shown]
	s_endpgm
	.section	.rodata,"a",@progbits
	.p2align	6, 0x0
	.amdhsa_kernel _Z16sort_keys_kernelI22helper_blocked_stripedxLj512ELj4ELj10EEvPKT0_PS1_
		.amdhsa_group_segment_fixed_size 16384
		.amdhsa_private_segment_fixed_size 0
		.amdhsa_kernarg_size 272
		.amdhsa_user_sgpr_count 6
		.amdhsa_user_sgpr_private_segment_buffer 1
		.amdhsa_user_sgpr_dispatch_ptr 0
		.amdhsa_user_sgpr_queue_ptr 0
		.amdhsa_user_sgpr_kernarg_segment_ptr 1
		.amdhsa_user_sgpr_dispatch_id 0
		.amdhsa_user_sgpr_flat_scratch_init 0
		.amdhsa_user_sgpr_private_segment_size 0
		.amdhsa_uses_dynamic_stack 0
		.amdhsa_system_sgpr_private_segment_wavefront_offset 0
		.amdhsa_system_sgpr_workgroup_id_x 1
		.amdhsa_system_sgpr_workgroup_id_y 0
		.amdhsa_system_sgpr_workgroup_id_z 0
		.amdhsa_system_sgpr_workgroup_info 0
		.amdhsa_system_vgpr_workitem_id 2
		.amdhsa_next_free_vgpr 45
		.amdhsa_next_free_sgpr 61
		.amdhsa_reserve_vcc 1
		.amdhsa_reserve_flat_scratch 0
		.amdhsa_float_round_mode_32 0
		.amdhsa_float_round_mode_16_64 0
		.amdhsa_float_denorm_mode_32 3
		.amdhsa_float_denorm_mode_16_64 3
		.amdhsa_dx10_clamp 1
		.amdhsa_ieee_mode 1
		.amdhsa_fp16_overflow 0
		.amdhsa_exception_fp_ieee_invalid_op 0
		.amdhsa_exception_fp_denorm_src 0
		.amdhsa_exception_fp_ieee_div_zero 0
		.amdhsa_exception_fp_ieee_overflow 0
		.amdhsa_exception_fp_ieee_underflow 0
		.amdhsa_exception_fp_ieee_inexact 0
		.amdhsa_exception_int_div_zero 0
	.end_amdhsa_kernel
	.section	.text._Z16sort_keys_kernelI22helper_blocked_stripedxLj512ELj4ELj10EEvPKT0_PS1_,"axG",@progbits,_Z16sort_keys_kernelI22helper_blocked_stripedxLj512ELj4ELj10EEvPKT0_PS1_,comdat
.Lfunc_end332:
	.size	_Z16sort_keys_kernelI22helper_blocked_stripedxLj512ELj4ELj10EEvPKT0_PS1_, .Lfunc_end332-_Z16sort_keys_kernelI22helper_blocked_stripedxLj512ELj4ELj10EEvPKT0_PS1_
                                        ; -- End function
	.set _Z16sort_keys_kernelI22helper_blocked_stripedxLj512ELj4ELj10EEvPKT0_PS1_.num_vgpr, 45
	.set _Z16sort_keys_kernelI22helper_blocked_stripedxLj512ELj4ELj10EEvPKT0_PS1_.num_agpr, 0
	.set _Z16sort_keys_kernelI22helper_blocked_stripedxLj512ELj4ELj10EEvPKT0_PS1_.numbered_sgpr, 48
	.set _Z16sort_keys_kernelI22helper_blocked_stripedxLj512ELj4ELj10EEvPKT0_PS1_.num_named_barrier, 0
	.set _Z16sort_keys_kernelI22helper_blocked_stripedxLj512ELj4ELj10EEvPKT0_PS1_.private_seg_size, 0
	.set _Z16sort_keys_kernelI22helper_blocked_stripedxLj512ELj4ELj10EEvPKT0_PS1_.uses_vcc, 1
	.set _Z16sort_keys_kernelI22helper_blocked_stripedxLj512ELj4ELj10EEvPKT0_PS1_.uses_flat_scratch, 0
	.set _Z16sort_keys_kernelI22helper_blocked_stripedxLj512ELj4ELj10EEvPKT0_PS1_.has_dyn_sized_stack, 0
	.set _Z16sort_keys_kernelI22helper_blocked_stripedxLj512ELj4ELj10EEvPKT0_PS1_.has_recursion, 0
	.set _Z16sort_keys_kernelI22helper_blocked_stripedxLj512ELj4ELj10EEvPKT0_PS1_.has_indirect_call, 0
	.section	.AMDGPU.csdata,"",@progbits
; Kernel info:
; codeLenInByte = 3432
; TotalNumSgprs: 52
; NumVgprs: 45
; ScratchSize: 0
; MemoryBound: 0
; FloatMode: 240
; IeeeMode: 1
; LDSByteSize: 16384 bytes/workgroup (compile time only)
; SGPRBlocks: 8
; VGPRBlocks: 11
; NumSGPRsForWavesPerEU: 65
; NumVGPRsForWavesPerEU: 45
; Occupancy: 5
; WaveLimiterHint : 1
; COMPUTE_PGM_RSRC2:SCRATCH_EN: 0
; COMPUTE_PGM_RSRC2:USER_SGPR: 6
; COMPUTE_PGM_RSRC2:TRAP_HANDLER: 0
; COMPUTE_PGM_RSRC2:TGID_X_EN: 1
; COMPUTE_PGM_RSRC2:TGID_Y_EN: 0
; COMPUTE_PGM_RSRC2:TGID_Z_EN: 0
; COMPUTE_PGM_RSRC2:TIDIG_COMP_CNT: 2
	.section	.text._Z17sort_pairs_kernelI22helper_blocked_stripedxLj512ELj4ELj10EEvPKT0_PS1_,"axG",@progbits,_Z17sort_pairs_kernelI22helper_blocked_stripedxLj512ELj4ELj10EEvPKT0_PS1_,comdat
	.protected	_Z17sort_pairs_kernelI22helper_blocked_stripedxLj512ELj4ELj10EEvPKT0_PS1_ ; -- Begin function _Z17sort_pairs_kernelI22helper_blocked_stripedxLj512ELj4ELj10EEvPKT0_PS1_
	.globl	_Z17sort_pairs_kernelI22helper_blocked_stripedxLj512ELj4ELj10EEvPKT0_PS1_
	.p2align	8
	.type	_Z17sort_pairs_kernelI22helper_blocked_stripedxLj512ELj4ELj10EEvPKT0_PS1_,@function
_Z17sort_pairs_kernelI22helper_blocked_stripedxLj512ELj4ELj10EEvPKT0_PS1_: ; @_Z17sort_pairs_kernelI22helper_blocked_stripedxLj512ELj4ELj10EEvPKT0_PS1_
; %bb.0:
	s_load_dwordx4 s[40:43], s[4:5], 0x0
	s_load_dword s33, s[4:5], 0x1c
	s_lshl_b32 s46, s6, 11
	s_mov_b32 s47, 0
	s_lshl_b64 s[44:45], s[46:47], 3
	s_waitcnt lgkmcnt(0)
	s_add_u32 s0, s40, s44
	s_addc_u32 s1, s41, s45
	v_lshlrev_b32_e32 v11, 5, v0
	global_load_dwordx4 v[7:10], v11, s[0:1]
	global_load_dwordx4 v[3:6], v11, s[0:1] offset:16
	v_mbcnt_lo_u32_b32 v12, -1, 0
	v_mbcnt_hi_u32_b32 v12, -1, v12
	v_or_b32_e32 v14, 63, v0
	v_lshrrev_b32_e32 v16, 2, v12
	v_and_b32_e32 v17, 3, v12
	v_and_b32_e32 v18, 64, v12
	v_cmp_eq_u32_e64 s[8:9], v0, v14
	v_subrev_co_u32_e64 v14, s[10:11], 1, v12
	v_and_b32_e32 v11, 0x3800, v11
	v_cmp_eq_u32_e64 s[12:13], 3, v17
	v_cmp_eq_u32_e64 s[14:15], 2, v17
	;; [unrolled: 1-line block ×4, first 2 shown]
	v_or_b32_e32 v17, v16, v18
	v_add_u32_e32 v16, 48, v16
	v_cmp_lt_i32_e32 vcc, v14, v18
	v_and_b32_e32 v19, 15, v12
	v_cndmask_b32_e32 v14, v14, v12, vcc
	v_lshl_or_b32 v46, v12, 3, v11
	v_and_or_b32 v11, v16, 63, v18
	s_lshr_b32 s40, s33, 16
	v_and_b32_e32 v20, 16, v12
	v_cmp_eq_u32_e64 s[20:21], 0, v19
	v_cmp_lt_u32_e64 s[22:23], 1, v19
	v_cmp_lt_u32_e64 s[24:25], 3, v19
	v_cmp_lt_u32_e64 s[26:27], 7, v19
	s_and_b32 s33, s33, 0xffff
	v_mad_u32_u24 v1, v2, s40, v1
	v_cmp_eq_u32_e64 s[28:29], 0, v20
	v_mad_u64_u32 v[1:2], s[40:41], v1, s33, v[0:1]
	v_lshrrev_b32_e32 v15, 4, v0
	v_and_b32_e32 v43, 28, v15
	v_and_b32_e32 v15, 7, v12
	v_lshlrev_b32_e32 v49, 2, v14
	v_lshlrev_b32_e32 v42, 4, v0
	s_mov_b32 s38, s47
	s_mov_b32 s46, s47
	v_cmp_eq_u32_e64 s[30:31], 0, v15
	v_cmp_lt_u32_e64 s[34:35], 1, v15
	v_cmp_lt_u32_e64 s[36:37], 3, v15
	v_lshlrev_b32_e32 v13, 2, v0
	s_mov_b32 s39, s47
	v_mad_i32_i24 v44, v0, -12, v42
	v_mov_b32_e32 v22, s46
	v_lshlrev_b32_e32 v48, 2, v17
	v_lshrrev_b32_e32 v1, 4, v1
	v_mov_b32_e32 v24, s38
	v_cmp_gt_u32_e64 s[0:1], 8, v0
	v_cmp_lt_u32_e64 s[2:3], 63, v0
	v_cmp_eq_u32_e64 s[4:5], 0, v0
	v_cmp_lt_u32_e64 s[6:7], 31, v12
	v_add_u32_e32 v45, -4, v43
	v_add_u32_e32 v47, v44, v13
	v_mov_b32_e32 v23, s47
	v_lshlrev_b32_e32 v50, 2, v11
	v_add_u32_e32 v51, 64, v48
	v_or_b32_e32 v52, 0x80, v48
	v_and_b32_e32 v53, 0xffffffc, v1
	v_mov_b32_e32 v25, s39
	v_mov_b32_e32 v26, 0
	s_waitcnt vmcnt(1)
	v_add_co_u32_e32 v18, vcc, 1, v7
	v_addc_co_u32_e32 v19, vcc, 0, v8, vcc
	v_add_co_u32_e32 v20, vcc, 1, v9
	v_addc_co_u32_e32 v21, vcc, 0, v10, vcc
	s_waitcnt vmcnt(0)
	v_add_co_u32_e32 v14, vcc, 1, v3
	v_addc_co_u32_e32 v15, vcc, 0, v4, vcc
	v_add_co_u32_e32 v16, vcc, 1, v5
	v_addc_co_u32_e32 v17, vcc, 0, v6, vcc
	s_branch .LBB333_2
.LBB333_1:                              ;   in Loop: Header=BB333_2 Depth=1
	v_lshlrev_b32_e32 v1, 3, v55
	v_lshlrev_b32_e32 v2, 3, v54
	v_lshlrev_b32_e32 v11, 3, v27
	v_lshlrev_b32_e32 v12, 3, v9
	s_barrier
	ds_write_b64 v1, v[40:41]
	ds_write_b64 v2, v[38:39]
	;; [unrolled: 1-line block ×4, first 2 shown]
	s_waitcnt lgkmcnt(0)
	s_barrier
	ds_read2st64_b64 v[7:10], v47 offset1:8
	ds_read2st64_b64 v[3:6], v47 offset0:16 offset1:24
	s_waitcnt lgkmcnt(0)
	s_barrier
	ds_write_b64 v1, v[30:31]
	ds_write_b64 v2, v[28:29]
	;; [unrolled: 1-line block ×4, first 2 shown]
	s_waitcnt lgkmcnt(0)
	s_barrier
	ds_read2st64_b64 v[18:21], v47 offset1:8
	ds_read2st64_b64 v[14:17], v47 offset0:16 offset1:24
	s_add_i32 s47, s47, 1
	v_xor_b32_e32 v8, 0x80000000, v8
	v_xor_b32_e32 v10, 0x80000000, v10
	;; [unrolled: 1-line block ×3, first 2 shown]
	s_cmp_lg_u32 s47, 10
	v_xor_b32_e32 v6, 0x80000000, v6
	s_cbranch_scc0 .LBB333_20
.LBB333_2:                              ; =>This Loop Header: Depth=1
                                        ;     Child Loop BB333_4 Depth 2
	ds_bpermute_b32 v2, v48, v7
	ds_bpermute_b32 v11, v48, v9
	v_xor_b32_e32 v1, 0x80000000, v8
	ds_bpermute_b32 v8, v48, v1
	v_xor_b32_e32 v27, 0x80000000, v10
	;; [unrolled: 2-line block ×3, first 2 shown]
	s_waitcnt lgkmcnt(3)
	v_cndmask_b32_e64 v2, 0, v2, s[18:19]
	ds_bpermute_b32 v12, v48, v4
	v_xor_b32_e32 v6, 0x80000000, v6
	s_waitcnt lgkmcnt(3)
	v_cndmask_b32_e64 v2, v2, v11, s[16:17]
	ds_bpermute_b32 v11, v48, v3
	ds_bpermute_b32 v28, v48, v6
	s_waitcnt lgkmcnt(4)
	v_cndmask_b32_e64 v8, 0, v8, s[18:19]
	ds_bpermute_b32 v13, v48, v5
	s_waitcnt lgkmcnt(4)
	v_cndmask_b32_e64 v8, v8, v10, s[16:17]
	s_waitcnt lgkmcnt(3)
	v_cndmask_b32_e64 v8, v8, v12, s[14:15]
	ds_bpermute_b32 v12, v51, v7
	s_waitcnt lgkmcnt(3)
	v_cndmask_b32_e64 v2, v2, v11, s[14:15]
	s_waitcnt lgkmcnt(2)
	v_cndmask_b32_e64 v11, v8, v28, s[12:13]
	ds_bpermute_b32 v8, v51, v9
	s_waitcnt lgkmcnt(2)
	v_cndmask_b32_e64 v10, v2, v13, s[12:13]
	ds_bpermute_b32 v2, v51, v1
	ds_bpermute_b32 v13, v51, v27
	s_waitcnt lgkmcnt(3)
	v_cndmask_b32_e64 v12, 0, v12, s[18:19]
	ds_bpermute_b32 v29, v51, v3
	ds_bpermute_b32 v28, v51, v4
	s_waitcnt lgkmcnt(4)
	v_cndmask_b32_e64 v8, v12, v8, s[16:17]
	ds_bpermute_b32 v12, v51, v5
	s_waitcnt lgkmcnt(4)
	v_cndmask_b32_e64 v2, 0, v2, s[18:19]
	s_waitcnt lgkmcnt(3)
	v_cndmask_b32_e64 v2, v2, v13, s[16:17]
	;; [unrolled: 2-line block ×4, first 2 shown]
	ds_bpermute_b32 v13, v51, v6
	s_waitcnt lgkmcnt(1)
	v_cndmask_b32_e64 v12, v8, v12, s[12:13]
	ds_bpermute_b32 v8, v52, v1
	ds_bpermute_b32 v28, v52, v7
	;; [unrolled: 1-line block ×5, first 2 shown]
	s_waitcnt lgkmcnt(5)
	v_cndmask_b32_e64 v13, v2, v13, s[12:13]
	s_waitcnt lgkmcnt(4)
	v_cndmask_b32_e64 v2, 0, v8, s[18:19]
	;; [unrolled: 2-line block ×3, first 2 shown]
	ds_bpermute_b32 v9, v50, v9
	s_waitcnt lgkmcnt(3)
	v_cndmask_b32_e64 v8, v8, v29, s[16:17]
	ds_bpermute_b32 v29, v52, v3
	ds_bpermute_b32 v3, v50, v3
	;; [unrolled: 1-line block ×4, first 2 shown]
	s_waitcnt lgkmcnt(6)
	v_cndmask_b32_e64 v7, 0, v7, s[18:19]
	s_waitcnt lgkmcnt(5)
	v_cndmask_b32_e64 v2, v2, v30, s[16:17]
	ds_bpermute_b32 v28, v52, v4
	ds_bpermute_b32 v30, v52, v5
	;; [unrolled: 1-line block ×3, first 2 shown]
	s_waitcnt lgkmcnt(7)
	v_cndmask_b32_e64 v7, v7, v9, s[16:17]
	ds_bpermute_b32 v5, v50, v5
	ds_bpermute_b32 v31, v52, v6
	s_waitcnt lgkmcnt(7)
	v_cndmask_b32_e64 v3, v7, v3, s[14:15]
	ds_bpermute_b32 v6, v50, v6
	ds_bpermute_b32 v7, v48, v18
	v_cndmask_b32_e64 v1, v8, v29, s[14:15]
	s_waitcnt lgkmcnt(8)
	v_cndmask_b32_e64 v8, 0, v32, s[18:19]
	s_waitcnt lgkmcnt(7)
	;; [unrolled: 2-line block ×4, first 2 shown]
	v_cndmask_b32_e64 v3, v3, v5, s[12:13]
	ds_bpermute_b32 v5, v48, v19
	ds_bpermute_b32 v8, v48, v21
	s_waitcnt lgkmcnt(3)
	v_cndmask_b32_e64 v4, v4, v6, s[12:13]
	s_waitcnt lgkmcnt(2)
	v_cndmask_b32_e64 v6, 0, v7, s[18:19]
	ds_bpermute_b32 v7, v48, v20
	s_waitcnt lgkmcnt(2)
	v_cndmask_b32_e64 v5, 0, v5, s[18:19]
	ds_bpermute_b32 v9, v48, v15
	;; [unrolled: 3-line block ×4, first 2 shown]
	ds_bpermute_b32 v27, v48, v16
	s_waitcnt lgkmcnt(3)
	v_cndmask_b32_e64 v5, v5, v9, s[14:15]
	s_waitcnt lgkmcnt(2)
	v_cndmask_b32_e64 v8, v6, v8, s[14:15]
	ds_bpermute_b32 v9, v51, v18
	s_waitcnt lgkmcnt(2)
	v_cndmask_b32_e64 v6, v5, v7, s[12:13]
	ds_bpermute_b32 v7, v51, v19
	;; [unrolled: 3-line block ×3, first 2 shown]
	ds_bpermute_b32 v27, v51, v20
	v_cndmask_b32_e64 v2, v2, v28, s[14:15]
	ds_bpermute_b32 v28, v51, v14
	s_waitcnt lgkmcnt(4)
	v_cndmask_b32_e64 v9, 0, v9, s[18:19]
	s_waitcnt lgkmcnt(3)
	v_cndmask_b32_e64 v7, 0, v7, s[18:19]
	;; [unrolled: 2-line block ×3, first 2 shown]
	ds_bpermute_b32 v8, v51, v15
	s_waitcnt lgkmcnt(2)
	v_cndmask_b32_e64 v9, v9, v27, s[16:17]
	s_waitcnt lgkmcnt(1)
	v_cndmask_b32_e64 v9, v9, v28, s[14:15]
	ds_bpermute_b32 v27, v51, v17
	ds_bpermute_b32 v28, v51, v16
	v_cndmask_b32_e64 v1, v1, v30, s[12:13]
	s_waitcnt lgkmcnt(2)
	v_cndmask_b32_e64 v7, v7, v8, s[14:15]
	ds_bpermute_b32 v29, v52, v18
	ds_bpermute_b32 v30, v52, v19
	s_waitcnt lgkmcnt(3)
	v_cndmask_b32_e64 v8, v7, v27, s[12:13]
	s_waitcnt lgkmcnt(2)
	v_cndmask_b32_e64 v7, v9, v28, s[12:13]
	ds_bpermute_b32 v9, v52, v21
	s_waitcnt lgkmcnt(2)
	v_cndmask_b32_e64 v27, 0, v29, s[18:19]
	s_waitcnt lgkmcnt(1)
	v_cndmask_b32_e64 v28, 0, v30, s[18:19]
	ds_bpermute_b32 v29, v52, v20
	ds_bpermute_b32 v30, v52, v14
	s_waitcnt lgkmcnt(2)
	v_cndmask_b32_e64 v9, v28, v9, s[16:17]
	ds_bpermute_b32 v28, v52, v15
	v_cndmask_b32_e64 v2, v2, v31, s[12:13]
	ds_bpermute_b32 v31, v52, v17
	s_waitcnt lgkmcnt(3)
	v_cndmask_b32_e64 v27, v27, v29, s[16:17]
	s_waitcnt lgkmcnt(2)
	v_cndmask_b32_e64 v27, v27, v30, s[14:15]
	ds_bpermute_b32 v29, v52, v16
	s_waitcnt lgkmcnt(2)
	v_cndmask_b32_e64 v9, v9, v28, s[14:15]
	ds_bpermute_b32 v28, v50, v18
	ds_bpermute_b32 v30, v50, v19
	s_waitcnt lgkmcnt(3)
	v_cndmask_b32_e64 v19, v9, v31, s[12:13]
	ds_bpermute_b32 v9, v50, v21
	ds_bpermute_b32 v20, v50, v20
	;; [unrolled: 1-line block ×6, first 2 shown]
	s_waitcnt lgkmcnt(8)
	v_cndmask_b32_e64 v18, v27, v29, s[12:13]
	s_waitcnt lgkmcnt(7)
	v_cndmask_b32_e64 v21, 0, v28, s[18:19]
	;; [unrolled: 2-line block ×7, first 2 shown]
	v_mov_b32_e32 v32, 0
	s_waitcnt lgkmcnt(1)
	v_cndmask_b32_e64 v21, v9, v17, s[12:13]
	s_waitcnt lgkmcnt(0)
	v_cndmask_b32_e64 v20, v14, v16, s[12:13]
	v_mov_b32_e32 v33, 0
	s_barrier
	s_branch .LBB333_4
.LBB333_3:                              ;   in Loop: Header=BB333_4 Depth=2
	s_andn2_b64 vcc, exec, s[38:39]
	s_cbranch_vccz .LBB333_1
.LBB333_4:                              ;   Parent Loop BB333_2 Depth=1
                                        ; =>  This Inner Loop Header: Depth=2
	v_mov_b32_e32 v41, v11
	v_mov_b32_e32 v37, v2
	;; [unrolled: 1-line block ×4, first 2 shown]
	v_lshrrev_b64 v[1:2], v32, v[40:41]
	v_mov_b32_e32 v31, v6
	v_lshlrev_b32_e32 v2, 5, v1
	v_and_b32_e32 v2, 0x1fe0, v2
	v_mov_b32_e32 v35, v4
	v_mov_b32_e32 v30, v5
	v_add_u32_e32 v5, v53, v2
	v_and_b32_e32 v2, 1, v1
	v_mov_b32_e32 v34, v3
	v_add_co_u32_e32 v3, vcc, -1, v2
	v_addc_co_u32_e64 v4, s[38:39], 0, -1, vcc
	v_cmp_ne_u32_e32 vcc, 0, v2
	v_lshlrev_b32_e32 v27, 30, v1
	v_xor_b32_e32 v2, vcc_hi, v4
	v_xor_b32_e32 v3, vcc_lo, v3
	v_cmp_gt_i64_e32 vcc, 0, v[26:27]
	v_not_b32_e32 v4, v27
	v_ashrrev_i32_e32 v4, 31, v4
	v_and_b32_e32 v3, exec_lo, v3
	v_xor_b32_e32 v6, vcc_hi, v4
	v_xor_b32_e32 v4, vcc_lo, v4
	v_lshlrev_b32_e32 v27, 29, v1
	v_and_b32_e32 v3, v3, v4
	v_cmp_gt_i64_e32 vcc, 0, v[26:27]
	v_not_b32_e32 v4, v27
	v_and_b32_e32 v2, exec_hi, v2
	v_ashrrev_i32_e32 v4, 31, v4
	v_and_b32_e32 v2, v2, v6
	v_xor_b32_e32 v6, vcc_hi, v4
	v_xor_b32_e32 v4, vcc_lo, v4
	v_lshlrev_b32_e32 v27, 28, v1
	v_and_b32_e32 v3, v3, v4
	v_cmp_gt_i64_e32 vcc, 0, v[26:27]
	v_not_b32_e32 v4, v27
	v_ashrrev_i32_e32 v4, 31, v4
	v_and_b32_e32 v2, v2, v6
	v_xor_b32_e32 v6, vcc_hi, v4
	v_xor_b32_e32 v4, vcc_lo, v4
	v_lshlrev_b32_e32 v27, 27, v1
	v_and_b32_e32 v3, v3, v4
	v_cmp_gt_i64_e32 vcc, 0, v[26:27]
	v_not_b32_e32 v4, v27
	;; [unrolled: 8-line block ×4, first 2 shown]
	v_ashrrev_i32_e32 v4, 31, v4
	v_lshlrev_b32_e32 v27, 24, v1
	v_and_b32_e32 v2, v2, v6
	v_xor_b32_e32 v6, vcc_hi, v4
	v_xor_b32_e32 v4, vcc_lo, v4
	v_cmp_gt_i64_e32 vcc, 0, v[26:27]
	v_not_b32_e32 v1, v27
	v_ashrrev_i32_e32 v1, 31, v1
	v_and_b32_e32 v3, v3, v4
	v_xor_b32_e32 v4, vcc_hi, v1
	v_xor_b32_e32 v1, vcc_lo, v1
	v_and_b32_e32 v2, v2, v6
	v_and_b32_e32 v1, v3, v1
	;; [unrolled: 1-line block ×3, first 2 shown]
	v_mbcnt_lo_u32_b32 v3, v1, 0
	v_mbcnt_hi_u32_b32 v6, v2, v3
	v_cmp_ne_u64_e32 vcc, 0, v[1:2]
	v_mov_b32_e32 v39, v13
	v_mov_b32_e32 v29, v8
	;; [unrolled: 1-line block ×4, first 2 shown]
	v_cmp_eq_u32_e64 s[38:39], 0, v6
	v_mov_b32_e32 v38, v12
	v_mov_b32_e32 v28, v7
	;; [unrolled: 1-line block ×4, first 2 shown]
	s_and_b64 s[40:41], vcc, s[38:39]
	ds_write2_b64 v42, v[22:23], v[24:25] offset0:4 offset1:5
	s_waitcnt lgkmcnt(0)
	s_barrier
	; wave barrier
	s_and_saveexec_b64 s[38:39], s[40:41]
; %bb.5:                                ;   in Loop: Header=BB333_4 Depth=2
	v_bcnt_u32_b32 v1, v1, 0
	v_bcnt_u32_b32 v1, v2, v1
	ds_write_b32 v5, v1 offset:32
; %bb.6:                                ;   in Loop: Header=BB333_4 Depth=2
	s_or_b64 exec, exec, s[38:39]
	v_lshrrev_b64 v[1:2], v32, v[38:39]
	v_lshlrev_b32_e32 v2, 5, v1
	v_and_b32_e32 v2, 0x1fe0, v2
	v_add_u32_e32 v8, v53, v2
	v_and_b32_e32 v2, 1, v1
	v_add_co_u32_e32 v3, vcc, -1, v2
	v_addc_co_u32_e64 v4, s[38:39], 0, -1, vcc
	v_cmp_ne_u32_e32 vcc, 0, v2
	v_lshlrev_b32_e32 v27, 30, v1
	v_xor_b32_e32 v2, vcc_hi, v4
	v_xor_b32_e32 v3, vcc_lo, v3
	v_cmp_gt_i64_e32 vcc, 0, v[26:27]
	v_not_b32_e32 v4, v27
	v_ashrrev_i32_e32 v4, 31, v4
	v_and_b32_e32 v3, exec_lo, v3
	v_xor_b32_e32 v9, vcc_hi, v4
	v_xor_b32_e32 v4, vcc_lo, v4
	v_lshlrev_b32_e32 v27, 29, v1
	v_and_b32_e32 v3, v3, v4
	v_cmp_gt_i64_e32 vcc, 0, v[26:27]
	v_not_b32_e32 v4, v27
	v_and_b32_e32 v2, exec_hi, v2
	v_ashrrev_i32_e32 v4, 31, v4
	v_and_b32_e32 v2, v2, v9
	v_xor_b32_e32 v9, vcc_hi, v4
	v_xor_b32_e32 v4, vcc_lo, v4
	v_lshlrev_b32_e32 v27, 28, v1
	v_and_b32_e32 v3, v3, v4
	v_cmp_gt_i64_e32 vcc, 0, v[26:27]
	v_not_b32_e32 v4, v27
	v_ashrrev_i32_e32 v4, 31, v4
	v_and_b32_e32 v2, v2, v9
	v_xor_b32_e32 v9, vcc_hi, v4
	v_xor_b32_e32 v4, vcc_lo, v4
	v_lshlrev_b32_e32 v27, 27, v1
	v_and_b32_e32 v3, v3, v4
	v_cmp_gt_i64_e32 vcc, 0, v[26:27]
	v_not_b32_e32 v4, v27
	;; [unrolled: 8-line block ×4, first 2 shown]
	v_ashrrev_i32_e32 v4, 31, v4
	v_lshlrev_b32_e32 v27, 24, v1
	v_and_b32_e32 v2, v2, v9
	v_xor_b32_e32 v9, vcc_hi, v4
	v_xor_b32_e32 v4, vcc_lo, v4
	v_cmp_gt_i64_e32 vcc, 0, v[26:27]
	v_not_b32_e32 v1, v27
	v_ashrrev_i32_e32 v1, 31, v1
	v_and_b32_e32 v3, v3, v4
	v_xor_b32_e32 v4, vcc_hi, v1
	v_xor_b32_e32 v1, vcc_lo, v1
	; wave barrier
	ds_read_b32 v7, v8 offset:32
	v_and_b32_e32 v2, v2, v9
	v_and_b32_e32 v1, v3, v1
	;; [unrolled: 1-line block ×3, first 2 shown]
	v_mbcnt_lo_u32_b32 v3, v1, 0
	v_mbcnt_hi_u32_b32 v9, v2, v3
	v_cmp_ne_u64_e32 vcc, 0, v[1:2]
	v_cmp_eq_u32_e64 s[38:39], 0, v9
	s_and_b64 s[40:41], vcc, s[38:39]
	; wave barrier
	s_and_saveexec_b64 s[38:39], s[40:41]
	s_cbranch_execz .LBB333_8
; %bb.7:                                ;   in Loop: Header=BB333_4 Depth=2
	v_bcnt_u32_b32 v1, v1, 0
	v_bcnt_u32_b32 v1, v2, v1
	s_waitcnt lgkmcnt(0)
	v_add_u32_e32 v1, v7, v1
	ds_write_b32 v8, v1 offset:32
.LBB333_8:                              ;   in Loop: Header=BB333_4 Depth=2
	s_or_b64 exec, exec, s[38:39]
	v_lshrrev_b64 v[1:2], v32, v[36:37]
	v_lshlrev_b32_e32 v2, 5, v1
	v_and_b32_e32 v2, 0x1fe0, v2
	v_add_u32_e32 v11, v53, v2
	v_and_b32_e32 v2, 1, v1
	v_add_co_u32_e32 v3, vcc, -1, v2
	v_addc_co_u32_e64 v4, s[38:39], 0, -1, vcc
	v_cmp_ne_u32_e32 vcc, 0, v2
	v_lshlrev_b32_e32 v27, 30, v1
	v_xor_b32_e32 v2, vcc_hi, v4
	v_xor_b32_e32 v3, vcc_lo, v3
	v_cmp_gt_i64_e32 vcc, 0, v[26:27]
	v_not_b32_e32 v4, v27
	v_ashrrev_i32_e32 v4, 31, v4
	v_and_b32_e32 v3, exec_lo, v3
	v_xor_b32_e32 v12, vcc_hi, v4
	v_xor_b32_e32 v4, vcc_lo, v4
	v_lshlrev_b32_e32 v27, 29, v1
	v_and_b32_e32 v3, v3, v4
	v_cmp_gt_i64_e32 vcc, 0, v[26:27]
	v_not_b32_e32 v4, v27
	v_and_b32_e32 v2, exec_hi, v2
	v_ashrrev_i32_e32 v4, 31, v4
	v_and_b32_e32 v2, v2, v12
	v_xor_b32_e32 v12, vcc_hi, v4
	v_xor_b32_e32 v4, vcc_lo, v4
	v_lshlrev_b32_e32 v27, 28, v1
	v_and_b32_e32 v3, v3, v4
	v_cmp_gt_i64_e32 vcc, 0, v[26:27]
	v_not_b32_e32 v4, v27
	v_ashrrev_i32_e32 v4, 31, v4
	v_and_b32_e32 v2, v2, v12
	v_xor_b32_e32 v12, vcc_hi, v4
	v_xor_b32_e32 v4, vcc_lo, v4
	v_lshlrev_b32_e32 v27, 27, v1
	v_and_b32_e32 v3, v3, v4
	v_cmp_gt_i64_e32 vcc, 0, v[26:27]
	v_not_b32_e32 v4, v27
	;; [unrolled: 8-line block ×4, first 2 shown]
	v_ashrrev_i32_e32 v4, 31, v4
	v_lshlrev_b32_e32 v27, 24, v1
	v_and_b32_e32 v2, v2, v12
	v_xor_b32_e32 v12, vcc_hi, v4
	v_xor_b32_e32 v4, vcc_lo, v4
	v_cmp_gt_i64_e32 vcc, 0, v[26:27]
	v_not_b32_e32 v1, v27
	v_ashrrev_i32_e32 v1, 31, v1
	v_and_b32_e32 v3, v3, v4
	v_xor_b32_e32 v4, vcc_hi, v1
	v_xor_b32_e32 v1, vcc_lo, v1
	; wave barrier
	ds_read_b32 v10, v11 offset:32
	v_and_b32_e32 v2, v2, v12
	v_and_b32_e32 v1, v3, v1
	;; [unrolled: 1-line block ×3, first 2 shown]
	v_mbcnt_lo_u32_b32 v3, v1, 0
	v_mbcnt_hi_u32_b32 v12, v2, v3
	v_cmp_ne_u64_e32 vcc, 0, v[1:2]
	v_cmp_eq_u32_e64 s[38:39], 0, v12
	s_and_b64 s[40:41], vcc, s[38:39]
	; wave barrier
	s_and_saveexec_b64 s[38:39], s[40:41]
	s_cbranch_execz .LBB333_10
; %bb.9:                                ;   in Loop: Header=BB333_4 Depth=2
	v_bcnt_u32_b32 v1, v1, 0
	v_bcnt_u32_b32 v1, v2, v1
	s_waitcnt lgkmcnt(0)
	v_add_u32_e32 v1, v10, v1
	ds_write_b32 v11, v1 offset:32
.LBB333_10:                             ;   in Loop: Header=BB333_4 Depth=2
	s_or_b64 exec, exec, s[38:39]
	v_lshrrev_b64 v[1:2], v32, v[34:35]
	v_lshlrev_b32_e32 v2, 5, v1
	v_and_b32_e32 v2, 0x1fe0, v2
	v_add_u32_e32 v18, v53, v2
	v_and_b32_e32 v2, 1, v1
	v_add_co_u32_e32 v3, vcc, -1, v2
	v_addc_co_u32_e64 v4, s[38:39], 0, -1, vcc
	v_cmp_ne_u32_e32 vcc, 0, v2
	v_lshlrev_b32_e32 v27, 30, v1
	v_xor_b32_e32 v2, vcc_hi, v4
	v_xor_b32_e32 v3, vcc_lo, v3
	v_cmp_gt_i64_e32 vcc, 0, v[26:27]
	v_not_b32_e32 v4, v27
	v_ashrrev_i32_e32 v4, 31, v4
	v_and_b32_e32 v3, exec_lo, v3
	v_xor_b32_e32 v19, vcc_hi, v4
	v_xor_b32_e32 v4, vcc_lo, v4
	v_lshlrev_b32_e32 v27, 29, v1
	v_and_b32_e32 v3, v3, v4
	v_cmp_gt_i64_e32 vcc, 0, v[26:27]
	v_not_b32_e32 v4, v27
	v_and_b32_e32 v2, exec_hi, v2
	v_ashrrev_i32_e32 v4, 31, v4
	v_and_b32_e32 v2, v2, v19
	v_xor_b32_e32 v19, vcc_hi, v4
	v_xor_b32_e32 v4, vcc_lo, v4
	v_lshlrev_b32_e32 v27, 28, v1
	v_and_b32_e32 v3, v3, v4
	v_cmp_gt_i64_e32 vcc, 0, v[26:27]
	v_not_b32_e32 v4, v27
	v_ashrrev_i32_e32 v4, 31, v4
	v_and_b32_e32 v2, v2, v19
	v_xor_b32_e32 v19, vcc_hi, v4
	v_xor_b32_e32 v4, vcc_lo, v4
	v_lshlrev_b32_e32 v27, 27, v1
	v_and_b32_e32 v3, v3, v4
	v_cmp_gt_i64_e32 vcc, 0, v[26:27]
	v_not_b32_e32 v4, v27
	;; [unrolled: 8-line block ×4, first 2 shown]
	v_ashrrev_i32_e32 v4, 31, v4
	v_lshlrev_b32_e32 v27, 24, v1
	v_and_b32_e32 v2, v2, v19
	v_xor_b32_e32 v19, vcc_hi, v4
	v_xor_b32_e32 v4, vcc_lo, v4
	v_cmp_gt_i64_e32 vcc, 0, v[26:27]
	v_not_b32_e32 v1, v27
	v_ashrrev_i32_e32 v1, 31, v1
	v_and_b32_e32 v3, v3, v4
	v_xor_b32_e32 v4, vcc_hi, v1
	v_xor_b32_e32 v1, vcc_lo, v1
	; wave barrier
	ds_read_b32 v13, v18 offset:32
	v_and_b32_e32 v2, v2, v19
	v_and_b32_e32 v1, v3, v1
	;; [unrolled: 1-line block ×3, first 2 shown]
	v_mbcnt_lo_u32_b32 v3, v1, 0
	v_mbcnt_hi_u32_b32 v19, v2, v3
	v_cmp_ne_u64_e32 vcc, 0, v[1:2]
	v_cmp_eq_u32_e64 s[38:39], 0, v19
	s_and_b64 s[40:41], vcc, s[38:39]
	; wave barrier
	s_and_saveexec_b64 s[38:39], s[40:41]
	s_cbranch_execz .LBB333_12
; %bb.11:                               ;   in Loop: Header=BB333_4 Depth=2
	v_bcnt_u32_b32 v1, v1, 0
	v_bcnt_u32_b32 v1, v2, v1
	s_waitcnt lgkmcnt(0)
	v_add_u32_e32 v1, v13, v1
	ds_write_b32 v18, v1 offset:32
.LBB333_12:                             ;   in Loop: Header=BB333_4 Depth=2
	s_or_b64 exec, exec, s[38:39]
	; wave barrier
	s_waitcnt lgkmcnt(0)
	s_barrier
	ds_read2_b64 v[1:4], v42 offset0:4 offset1:5
	s_waitcnt lgkmcnt(0)
	v_add_u32_e32 v20, v2, v1
	v_add3_u32 v4, v20, v3, v4
	s_nop 1
	v_mov_b32_dpp v20, v4 row_shr:1 row_mask:0xf bank_mask:0xf
	v_cndmask_b32_e64 v20, v20, 0, s[20:21]
	v_add_u32_e32 v4, v20, v4
	s_nop 1
	v_mov_b32_dpp v20, v4 row_shr:2 row_mask:0xf bank_mask:0xf
	v_cndmask_b32_e64 v20, 0, v20, s[22:23]
	v_add_u32_e32 v4, v4, v20
	;; [unrolled: 4-line block ×4, first 2 shown]
	s_nop 1
	v_mov_b32_dpp v20, v4 row_bcast:15 row_mask:0xf bank_mask:0xf
	v_cndmask_b32_e64 v20, v20, 0, s[28:29]
	v_add_u32_e32 v4, v4, v20
	s_nop 1
	v_mov_b32_dpp v20, v4 row_bcast:31 row_mask:0xf bank_mask:0xf
	v_cndmask_b32_e64 v20, 0, v20, s[6:7]
	v_add_u32_e32 v4, v4, v20
	s_and_saveexec_b64 s[38:39], s[8:9]
; %bb.13:                               ;   in Loop: Header=BB333_4 Depth=2
	ds_write_b32 v43, v4
; %bb.14:                               ;   in Loop: Header=BB333_4 Depth=2
	s_or_b64 exec, exec, s[38:39]
	s_waitcnt lgkmcnt(0)
	s_barrier
	s_and_saveexec_b64 s[38:39], s[0:1]
	s_cbranch_execz .LBB333_16
; %bb.15:                               ;   in Loop: Header=BB333_4 Depth=2
	ds_read_b32 v20, v44
	s_waitcnt lgkmcnt(0)
	s_nop 0
	v_mov_b32_dpp v21, v20 row_shr:1 row_mask:0xf bank_mask:0xf
	v_cndmask_b32_e64 v21, v21, 0, s[30:31]
	v_add_u32_e32 v20, v21, v20
	s_nop 1
	v_mov_b32_dpp v21, v20 row_shr:2 row_mask:0xf bank_mask:0xf
	v_cndmask_b32_e64 v21, 0, v21, s[34:35]
	v_add_u32_e32 v20, v20, v21
	;; [unrolled: 4-line block ×3, first 2 shown]
	ds_write_b32 v44, v20
.LBB333_16:                             ;   in Loop: Header=BB333_4 Depth=2
	s_or_b64 exec, exec, s[38:39]
	v_mov_b32_e32 v20, 0
	s_waitcnt lgkmcnt(0)
	s_barrier
	s_and_saveexec_b64 s[38:39], s[2:3]
; %bb.17:                               ;   in Loop: Header=BB333_4 Depth=2
	ds_read_b32 v20, v45
; %bb.18:                               ;   in Loop: Header=BB333_4 Depth=2
	s_or_b64 exec, exec, s[38:39]
	s_waitcnt lgkmcnt(0)
	v_add_u32_e32 v4, v20, v4
	ds_bpermute_b32 v4, v49, v4
	v_cmp_lt_u32_e32 vcc, 55, v32
	s_and_b64 vcc, exec, vcc
	s_mov_b64 s[38:39], -1
	s_waitcnt lgkmcnt(0)
	v_cndmask_b32_e64 v4, v4, v20, s[10:11]
	v_cndmask_b32_e64 v20, v4, 0, s[4:5]
	v_add_u32_e32 v21, v20, v1
	v_add_u32_e32 v1, v21, v2
	;; [unrolled: 1-line block ×3, first 2 shown]
	ds_write2_b64 v42, v[20:21], v[1:2] offset0:4 offset1:5
	s_waitcnt lgkmcnt(0)
	s_barrier
	ds_read_b32 v1, v5 offset:32
	ds_read_b32 v2, v8 offset:32
	ds_read_b32 v3, v11 offset:32
	ds_read_b32 v4, v18 offset:32
	s_waitcnt lgkmcnt(3)
	v_add_u32_e32 v55, v1, v6
	s_waitcnt lgkmcnt(2)
	v_add3_u32 v54, v9, v7, v2
	s_waitcnt lgkmcnt(1)
	v_add3_u32 v27, v12, v10, v3
	;; [unrolled: 2-line block ×3, first 2 shown]
                                        ; implicit-def: $vgpr3_vgpr4
                                        ; implicit-def: $vgpr12_vgpr13
                                        ; implicit-def: $vgpr5_vgpr6
                                        ; implicit-def: $vgpr18_vgpr19
	s_cbranch_vccnz .LBB333_3
; %bb.19:                               ;   in Loop: Header=BB333_4 Depth=2
	v_lshlrev_b32_e32 v5, 3, v55
	v_lshlrev_b32_e32 v6, 3, v54
	;; [unrolled: 1-line block ×4, first 2 shown]
	s_barrier
	ds_write_b64 v5, v[40:41]
	ds_write_b64 v6, v[38:39]
	;; [unrolled: 1-line block ×4, first 2 shown]
	s_waitcnt lgkmcnt(0)
	s_barrier
	ds_read2st64_b64 v[10:13], v46 offset1:1
	ds_read2st64_b64 v[1:4], v46 offset0:2 offset1:3
	s_waitcnt lgkmcnt(0)
	s_barrier
	ds_write_b64 v5, v[30:31]
	ds_write_b64 v6, v[28:29]
	ds_write_b64 v7, v[16:17]
	ds_write_b64 v8, v[14:15]
	s_waitcnt lgkmcnt(0)
	s_barrier
	ds_read2st64_b64 v[5:8], v46 offset1:1
	ds_read2st64_b64 v[18:21], v46 offset0:2 offset1:3
	v_add_co_u32_e32 v32, vcc, 8, v32
	v_addc_co_u32_e32 v33, vcc, 0, v33, vcc
	s_mov_b64 s[38:39], 0
	s_waitcnt lgkmcnt(0)
	s_barrier
	s_branch .LBB333_3
.LBB333_20:
	s_waitcnt lgkmcnt(1)
	v_add_co_u32_e32 v1, vcc, v18, v7
	v_addc_co_u32_e32 v2, vcc, v19, v8, vcc
	v_add_co_u32_e32 v7, vcc, v20, v9
	v_addc_co_u32_e32 v8, vcc, v21, v10, vcc
	s_waitcnt lgkmcnt(0)
	v_add_co_u32_e32 v3, vcc, v14, v3
	v_addc_co_u32_e32 v4, vcc, v15, v4, vcc
	v_add_co_u32_e32 v5, vcc, v16, v5
	s_add_u32 s0, s42, s44
	v_addc_co_u32_e32 v6, vcc, v17, v6, vcc
	s_addc_u32 s1, s43, s45
	v_lshlrev_b32_e32 v0, 3, v0
	v_mov_b32_e32 v9, s1
	v_add_co_u32_e32 v10, vcc, s0, v0
	v_addc_co_u32_e32 v9, vcc, 0, v9, vcc
	global_store_dwordx2 v0, v[1:2], s[0:1]
	s_movk_i32 s0, 0x1000
	v_add_co_u32_e32 v0, vcc, s0, v10
	v_addc_co_u32_e32 v1, vcc, 0, v9, vcc
	global_store_dwordx2 v[0:1], v[7:8], off
	v_add_co_u32_e32 v0, vcc, 0x2000, v10
	v_addc_co_u32_e32 v1, vcc, 0, v9, vcc
	global_store_dwordx2 v[0:1], v[3:4], off
	v_add_co_u32_e32 v0, vcc, 0x3000, v10
	v_addc_co_u32_e32 v1, vcc, 0, v9, vcc
	global_store_dwordx2 v[0:1], v[5:6], off
	s_endpgm
	.section	.rodata,"a",@progbits
	.p2align	6, 0x0
	.amdhsa_kernel _Z17sort_pairs_kernelI22helper_blocked_stripedxLj512ELj4ELj10EEvPKT0_PS1_
		.amdhsa_group_segment_fixed_size 16384
		.amdhsa_private_segment_fixed_size 0
		.amdhsa_kernarg_size 272
		.amdhsa_user_sgpr_count 6
		.amdhsa_user_sgpr_private_segment_buffer 1
		.amdhsa_user_sgpr_dispatch_ptr 0
		.amdhsa_user_sgpr_queue_ptr 0
		.amdhsa_user_sgpr_kernarg_segment_ptr 1
		.amdhsa_user_sgpr_dispatch_id 0
		.amdhsa_user_sgpr_flat_scratch_init 0
		.amdhsa_user_sgpr_private_segment_size 0
		.amdhsa_uses_dynamic_stack 0
		.amdhsa_system_sgpr_private_segment_wavefront_offset 0
		.amdhsa_system_sgpr_workgroup_id_x 1
		.amdhsa_system_sgpr_workgroup_id_y 0
		.amdhsa_system_sgpr_workgroup_id_z 0
		.amdhsa_system_sgpr_workgroup_info 0
		.amdhsa_system_vgpr_workitem_id 2
		.amdhsa_next_free_vgpr 56
		.amdhsa_next_free_sgpr 61
		.amdhsa_reserve_vcc 1
		.amdhsa_reserve_flat_scratch 0
		.amdhsa_float_round_mode_32 0
		.amdhsa_float_round_mode_16_64 0
		.amdhsa_float_denorm_mode_32 3
		.amdhsa_float_denorm_mode_16_64 3
		.amdhsa_dx10_clamp 1
		.amdhsa_ieee_mode 1
		.amdhsa_fp16_overflow 0
		.amdhsa_exception_fp_ieee_invalid_op 0
		.amdhsa_exception_fp_denorm_src 0
		.amdhsa_exception_fp_ieee_div_zero 0
		.amdhsa_exception_fp_ieee_overflow 0
		.amdhsa_exception_fp_ieee_underflow 0
		.amdhsa_exception_fp_ieee_inexact 0
		.amdhsa_exception_int_div_zero 0
	.end_amdhsa_kernel
	.section	.text._Z17sort_pairs_kernelI22helper_blocked_stripedxLj512ELj4ELj10EEvPKT0_PS1_,"axG",@progbits,_Z17sort_pairs_kernelI22helper_blocked_stripedxLj512ELj4ELj10EEvPKT0_PS1_,comdat
.Lfunc_end333:
	.size	_Z17sort_pairs_kernelI22helper_blocked_stripedxLj512ELj4ELj10EEvPKT0_PS1_, .Lfunc_end333-_Z17sort_pairs_kernelI22helper_blocked_stripedxLj512ELj4ELj10EEvPKT0_PS1_
                                        ; -- End function
	.set _Z17sort_pairs_kernelI22helper_blocked_stripedxLj512ELj4ELj10EEvPKT0_PS1_.num_vgpr, 56
	.set _Z17sort_pairs_kernelI22helper_blocked_stripedxLj512ELj4ELj10EEvPKT0_PS1_.num_agpr, 0
	.set _Z17sort_pairs_kernelI22helper_blocked_stripedxLj512ELj4ELj10EEvPKT0_PS1_.numbered_sgpr, 48
	.set _Z17sort_pairs_kernelI22helper_blocked_stripedxLj512ELj4ELj10EEvPKT0_PS1_.num_named_barrier, 0
	.set _Z17sort_pairs_kernelI22helper_blocked_stripedxLj512ELj4ELj10EEvPKT0_PS1_.private_seg_size, 0
	.set _Z17sort_pairs_kernelI22helper_blocked_stripedxLj512ELj4ELj10EEvPKT0_PS1_.uses_vcc, 1
	.set _Z17sort_pairs_kernelI22helper_blocked_stripedxLj512ELj4ELj10EEvPKT0_PS1_.uses_flat_scratch, 0
	.set _Z17sort_pairs_kernelI22helper_blocked_stripedxLj512ELj4ELj10EEvPKT0_PS1_.has_dyn_sized_stack, 0
	.set _Z17sort_pairs_kernelI22helper_blocked_stripedxLj512ELj4ELj10EEvPKT0_PS1_.has_recursion, 0
	.set _Z17sort_pairs_kernelI22helper_blocked_stripedxLj512ELj4ELj10EEvPKT0_PS1_.has_indirect_call, 0
	.section	.AMDGPU.csdata,"",@progbits
; Kernel info:
; codeLenInByte = 4284
; TotalNumSgprs: 52
; NumVgprs: 56
; ScratchSize: 0
; MemoryBound: 0
; FloatMode: 240
; IeeeMode: 1
; LDSByteSize: 16384 bytes/workgroup (compile time only)
; SGPRBlocks: 8
; VGPRBlocks: 13
; NumSGPRsForWavesPerEU: 65
; NumVGPRsForWavesPerEU: 56
; Occupancy: 4
; WaveLimiterHint : 1
; COMPUTE_PGM_RSRC2:SCRATCH_EN: 0
; COMPUTE_PGM_RSRC2:USER_SGPR: 6
; COMPUTE_PGM_RSRC2:TRAP_HANDLER: 0
; COMPUTE_PGM_RSRC2:TGID_X_EN: 1
; COMPUTE_PGM_RSRC2:TGID_Y_EN: 0
; COMPUTE_PGM_RSRC2:TGID_Z_EN: 0
; COMPUTE_PGM_RSRC2:TIDIG_COMP_CNT: 2
	.section	.text._Z16sort_keys_kernelI22helper_blocked_stripedxLj512ELj8ELj10EEvPKT0_PS1_,"axG",@progbits,_Z16sort_keys_kernelI22helper_blocked_stripedxLj512ELj8ELj10EEvPKT0_PS1_,comdat
	.protected	_Z16sort_keys_kernelI22helper_blocked_stripedxLj512ELj8ELj10EEvPKT0_PS1_ ; -- Begin function _Z16sort_keys_kernelI22helper_blocked_stripedxLj512ELj8ELj10EEvPKT0_PS1_
	.globl	_Z16sort_keys_kernelI22helper_blocked_stripedxLj512ELj8ELj10EEvPKT0_PS1_
	.p2align	8
	.type	_Z16sort_keys_kernelI22helper_blocked_stripedxLj512ELj8ELj10EEvPKT0_PS1_,@function
_Z16sort_keys_kernelI22helper_blocked_stripedxLj512ELj8ELj10EEvPKT0_PS1_: ; @_Z16sort_keys_kernelI22helper_blocked_stripedxLj512ELj8ELj10EEvPKT0_PS1_
; %bb.0:
	s_load_dwordx4 s[28:31], s[4:5], 0x0
	s_load_dword s2, s[4:5], 0x1c
	s_lshl_b32 s34, s6, 12
	s_mov_b32 s35, 0
	s_lshl_b64 s[36:37], s[34:35], 3
	s_waitcnt lgkmcnt(0)
	s_add_u32 s0, s28, s36
	s_addc_u32 s1, s29, s37
	v_lshlrev_b32_e32 v19, 6, v0
	global_load_dwordx4 v[3:6], v19, s[0:1] offset:48
	global_load_dwordx4 v[7:10], v19, s[0:1] offset:32
	;; [unrolled: 1-line block ×3, first 2 shown]
	global_load_dwordx4 v[15:18], v19, s[0:1]
	s_lshr_b32 s0, s2, 16
	v_mbcnt_lo_u32_b32 v20, -1, 0
	s_and_b32 s1, s2, 0xffff
	v_mad_u32_u24 v1, v2, s0, v1
	v_mbcnt_hi_u32_b32 v20, -1, v20
	v_mad_u64_u32 v[1:2], s[0:1], v1, s1, v[0:1]
	v_and_b32_e32 v2, 15, v20
	v_and_b32_e32 v21, 0x1c0, v0
	v_cmp_eq_u32_e64 s[0:1], 0, v2
	v_cmp_lt_u32_e64 s[2:3], 1, v2
	v_cmp_lt_u32_e64 s[4:5], 3, v2
	;; [unrolled: 1-line block ×3, first 2 shown]
	v_and_b32_e32 v2, 16, v20
	v_and_b32_e32 v19, 0x7000, v19
	v_cmp_eq_u32_e64 s[8:9], 0, v2
	v_or_b32_e32 v2, 63, v21
	v_lshl_or_b32 v42, v20, 3, v19
	v_cmp_eq_u32_e64 s[12:13], v0, v2
	v_subrev_co_u32_e64 v2, s[18:19], 1, v20
	v_and_b32_e32 v19, 64, v20
	v_cmp_lt_i32_e32 vcc, v2, v19
	v_cndmask_b32_e32 v2, v2, v20, vcc
	v_lshlrev_b32_e32 v43, 4, v0
	v_lshlrev_b32_e32 v44, 2, v2
	v_lshrrev_b32_e32 v2, 4, v0
	v_lshrrev_b32_e32 v1, 4, v1
	s_mov_b32 s34, s35
	s_mov_b32 s28, s35
	v_add_lshl_u32 v41, v20, v21, 6
	v_cmp_lt_u32_e64 s[10:11], 31, v20
	v_and_b32_e32 v45, 28, v2
	v_mad_i32_i24 v46, v0, -12, v43
	v_and_b32_e32 v2, 7, v20
	v_and_b32_e32 v48, 0xffffffc, v1
	v_lshlrev_b32_e32 v1, 2, v0
	s_mov_b32 s29, s35
	v_mov_b32_e32 v19, s34
	v_mov_b32_e32 v21, s28
	v_cmp_gt_u32_e64 s[14:15], 8, v0
	v_cmp_lt_u32_e64 s[16:17], 63, v0
	v_cmp_eq_u32_e64 s[20:21], 0, v0
	v_cmp_eq_u32_e64 s[22:23], 0, v2
	v_cmp_lt_u32_e64 s[24:25], 1, v2
	v_cmp_lt_u32_e64 s[26:27], 3, v2
	v_add_u32_e32 v47, -4, v45
	v_mov_b32_e32 v20, s35
	v_mov_b32_e32 v22, s29
	;; [unrolled: 1-line block ×3, first 2 shown]
	v_add_u32_e32 v49, v46, v1
	s_branch .LBB334_2
.LBB334_1:                              ;   in Loop: Header=BB334_2 Depth=1
	v_lshlrev_b32_e32 v1, 3, v61
	s_barrier
	ds_write_b64 v1, v[39:40]
	v_lshlrev_b32_e32 v1, 3, v60
	ds_write_b64 v1, v[37:38]
	v_lshlrev_b32_e32 v1, 3, v59
	;; [unrolled: 2-line block ×7, first 2 shown]
	ds_write_b64 v1, v[17:18]
	s_waitcnt lgkmcnt(0)
	s_barrier
	ds_read2st64_b64 v[15:18], v49 offset1:8
	ds_read2st64_b64 v[11:14], v49 offset0:16 offset1:24
	ds_read2st64_b64 v[7:10], v49 offset0:32 offset1:40
	ds_read2st64_b64 v[3:6], v49 offset0:48 offset1:56
	s_add_i32 s35, s35, 1
	s_waitcnt lgkmcnt(3)
	v_xor_b32_e32 v16, 0x80000000, v16
	v_xor_b32_e32 v18, 0x80000000, v18
	s_waitcnt lgkmcnt(2)
	v_xor_b32_e32 v12, 0x80000000, v12
	v_xor_b32_e32 v14, 0x80000000, v14
	;; [unrolled: 3-line block ×3, first 2 shown]
	s_waitcnt lgkmcnt(0)
	v_xor_b32_e32 v4, 0x80000000, v4
	s_cmp_eq_u32 s35, 10
	v_xor_b32_e32 v6, 0x80000000, v6
	s_cbranch_scc1 .LBB334_28
.LBB334_2:                              ; =>This Loop Header: Depth=1
                                        ;     Child Loop BB334_4 Depth 2
	s_waitcnt vmcnt(0)
	v_xor_b32_e32 v16, 0x80000000, v16
	v_xor_b32_e32 v18, 0x80000000, v18
	;; [unrolled: 1-line block ×8, first 2 shown]
	ds_write2_b64 v41, v[15:16], v[17:18] offset1:1
	ds_write2_b64 v41, v[11:12], v[13:14] offset0:2 offset1:3
	ds_write2_b64 v41, v[7:8], v[9:10] offset0:4 offset1:5
	;; [unrolled: 1-line block ×3, first 2 shown]
	; wave barrier
	ds_read2st64_b64 v[1:4], v42 offset1:1
	ds_read2st64_b64 v[5:8], v42 offset0:2 offset1:3
	ds_read2st64_b64 v[9:12], v42 offset0:4 offset1:5
	;; [unrolled: 1-line block ×3, first 2 shown]
	v_mov_b32_e32 v29, 0
	v_mov_b32_e32 v30, 0
	s_waitcnt lgkmcnt(0)
	s_barrier
	; wave barrier
	s_barrier
	s_branch .LBB334_4
.LBB334_3:                              ;   in Loop: Header=BB334_4 Depth=2
	s_andn2_b64 vcc, exec, s[28:29]
	s_cbranch_vccz .LBB334_1
.LBB334_4:                              ;   Parent Loop BB334_2 Depth=1
                                        ; =>  This Inner Loop Header: Depth=2
	v_mov_b32_e32 v40, v2
	v_mov_b32_e32 v39, v1
	v_lshrrev_b64 v[1:2], v29, v[39:40]
	v_mov_b32_e32 v36, v6
	v_lshlrev_b32_e32 v2, 5, v1
	v_and_b32_e32 v2, 0x1fe0, v2
	v_mov_b32_e32 v35, v5
	v_mov_b32_e32 v38, v4
	v_add_u32_e32 v5, v48, v2
	v_and_b32_e32 v2, 1, v1
	v_mov_b32_e32 v37, v3
	v_add_co_u32_e32 v3, vcc, -1, v2
	v_addc_co_u32_e64 v4, s[28:29], 0, -1, vcc
	v_cmp_ne_u32_e32 vcc, 0, v2
	v_lshlrev_b32_e32 v24, 30, v1
	v_xor_b32_e32 v2, vcc_hi, v4
	v_xor_b32_e32 v3, vcc_lo, v3
	v_cmp_gt_i64_e32 vcc, 0, v[23:24]
	v_not_b32_e32 v4, v24
	v_ashrrev_i32_e32 v4, 31, v4
	v_and_b32_e32 v3, exec_lo, v3
	v_xor_b32_e32 v6, vcc_hi, v4
	v_xor_b32_e32 v4, vcc_lo, v4
	v_lshlrev_b32_e32 v24, 29, v1
	v_and_b32_e32 v3, v3, v4
	v_cmp_gt_i64_e32 vcc, 0, v[23:24]
	v_not_b32_e32 v4, v24
	v_and_b32_e32 v2, exec_hi, v2
	v_ashrrev_i32_e32 v4, 31, v4
	v_and_b32_e32 v2, v2, v6
	v_xor_b32_e32 v6, vcc_hi, v4
	v_xor_b32_e32 v4, vcc_lo, v4
	v_lshlrev_b32_e32 v24, 28, v1
	v_and_b32_e32 v3, v3, v4
	v_cmp_gt_i64_e32 vcc, 0, v[23:24]
	v_not_b32_e32 v4, v24
	v_ashrrev_i32_e32 v4, 31, v4
	v_and_b32_e32 v2, v2, v6
	v_xor_b32_e32 v6, vcc_hi, v4
	v_xor_b32_e32 v4, vcc_lo, v4
	v_lshlrev_b32_e32 v24, 27, v1
	v_and_b32_e32 v3, v3, v4
	v_cmp_gt_i64_e32 vcc, 0, v[23:24]
	v_not_b32_e32 v4, v24
	;; [unrolled: 8-line block ×4, first 2 shown]
	v_ashrrev_i32_e32 v4, 31, v4
	v_lshlrev_b32_e32 v24, 24, v1
	v_and_b32_e32 v2, v2, v6
	v_xor_b32_e32 v6, vcc_hi, v4
	v_xor_b32_e32 v4, vcc_lo, v4
	v_cmp_gt_i64_e32 vcc, 0, v[23:24]
	v_not_b32_e32 v1, v24
	v_ashrrev_i32_e32 v1, 31, v1
	v_and_b32_e32 v3, v3, v4
	v_xor_b32_e32 v4, vcc_hi, v1
	v_xor_b32_e32 v1, vcc_lo, v1
	v_and_b32_e32 v2, v2, v6
	v_and_b32_e32 v1, v3, v1
	;; [unrolled: 1-line block ×3, first 2 shown]
	v_mbcnt_lo_u32_b32 v3, v1, 0
	v_mbcnt_hi_u32_b32 v6, v2, v3
	v_cmp_ne_u64_e32 vcc, 0, v[1:2]
	v_mov_b32_e32 v18, v16
	v_mov_b32_e32 v26, v14
	;; [unrolled: 1-line block ×5, first 2 shown]
	v_cmp_eq_u32_e64 s[28:29], 0, v6
	v_mov_b32_e32 v17, v15
	v_mov_b32_e32 v25, v13
	;; [unrolled: 1-line block ×5, first 2 shown]
	s_and_b64 s[38:39], vcc, s[28:29]
	ds_write2_b64 v43, v[19:20], v[21:22] offset0:4 offset1:5
	s_waitcnt lgkmcnt(0)
	s_barrier
	; wave barrier
	s_and_saveexec_b64 s[28:29], s[38:39]
; %bb.5:                                ;   in Loop: Header=BB334_4 Depth=2
	v_bcnt_u32_b32 v1, v1, 0
	v_bcnt_u32_b32 v1, v2, v1
	ds_write_b32 v5, v1 offset:32
; %bb.6:                                ;   in Loop: Header=BB334_4 Depth=2
	s_or_b64 exec, exec, s[28:29]
	v_lshrrev_b64 v[1:2], v29, v[37:38]
	v_lshlrev_b32_e32 v2, 5, v1
	v_and_b32_e32 v2, 0x1fe0, v2
	v_add_u32_e32 v8, v48, v2
	v_and_b32_e32 v2, 1, v1
	v_add_co_u32_e32 v3, vcc, -1, v2
	v_addc_co_u32_e64 v4, s[28:29], 0, -1, vcc
	v_cmp_ne_u32_e32 vcc, 0, v2
	v_lshlrev_b32_e32 v24, 30, v1
	v_xor_b32_e32 v2, vcc_hi, v4
	v_xor_b32_e32 v3, vcc_lo, v3
	v_cmp_gt_i64_e32 vcc, 0, v[23:24]
	v_not_b32_e32 v4, v24
	v_ashrrev_i32_e32 v4, 31, v4
	v_and_b32_e32 v3, exec_lo, v3
	v_xor_b32_e32 v9, vcc_hi, v4
	v_xor_b32_e32 v4, vcc_lo, v4
	v_lshlrev_b32_e32 v24, 29, v1
	v_and_b32_e32 v3, v3, v4
	v_cmp_gt_i64_e32 vcc, 0, v[23:24]
	v_not_b32_e32 v4, v24
	v_and_b32_e32 v2, exec_hi, v2
	v_ashrrev_i32_e32 v4, 31, v4
	v_and_b32_e32 v2, v2, v9
	v_xor_b32_e32 v9, vcc_hi, v4
	v_xor_b32_e32 v4, vcc_lo, v4
	v_lshlrev_b32_e32 v24, 28, v1
	v_and_b32_e32 v3, v3, v4
	v_cmp_gt_i64_e32 vcc, 0, v[23:24]
	v_not_b32_e32 v4, v24
	v_ashrrev_i32_e32 v4, 31, v4
	v_and_b32_e32 v2, v2, v9
	v_xor_b32_e32 v9, vcc_hi, v4
	v_xor_b32_e32 v4, vcc_lo, v4
	v_lshlrev_b32_e32 v24, 27, v1
	v_and_b32_e32 v3, v3, v4
	v_cmp_gt_i64_e32 vcc, 0, v[23:24]
	v_not_b32_e32 v4, v24
	;; [unrolled: 8-line block ×4, first 2 shown]
	v_ashrrev_i32_e32 v4, 31, v4
	v_lshlrev_b32_e32 v24, 24, v1
	v_and_b32_e32 v2, v2, v9
	v_xor_b32_e32 v9, vcc_hi, v4
	v_xor_b32_e32 v4, vcc_lo, v4
	v_cmp_gt_i64_e32 vcc, 0, v[23:24]
	v_not_b32_e32 v1, v24
	v_ashrrev_i32_e32 v1, 31, v1
	v_and_b32_e32 v3, v3, v4
	v_xor_b32_e32 v4, vcc_hi, v1
	v_xor_b32_e32 v1, vcc_lo, v1
	; wave barrier
	ds_read_b32 v7, v8 offset:32
	v_and_b32_e32 v2, v2, v9
	v_and_b32_e32 v1, v3, v1
	;; [unrolled: 1-line block ×3, first 2 shown]
	v_mbcnt_lo_u32_b32 v3, v1, 0
	v_mbcnt_hi_u32_b32 v9, v2, v3
	v_cmp_ne_u64_e32 vcc, 0, v[1:2]
	v_cmp_eq_u32_e64 s[28:29], 0, v9
	s_and_b64 s[38:39], vcc, s[28:29]
	; wave barrier
	s_and_saveexec_b64 s[28:29], s[38:39]
	s_cbranch_execz .LBB334_8
; %bb.7:                                ;   in Loop: Header=BB334_4 Depth=2
	v_bcnt_u32_b32 v1, v1, 0
	v_bcnt_u32_b32 v1, v2, v1
	s_waitcnt lgkmcnt(0)
	v_add_u32_e32 v1, v7, v1
	ds_write_b32 v8, v1 offset:32
.LBB334_8:                              ;   in Loop: Header=BB334_4 Depth=2
	s_or_b64 exec, exec, s[28:29]
	v_lshrrev_b64 v[1:2], v29, v[35:36]
	v_lshlrev_b32_e32 v2, 5, v1
	v_and_b32_e32 v2, 0x1fe0, v2
	v_add_u32_e32 v11, v48, v2
	v_and_b32_e32 v2, 1, v1
	v_add_co_u32_e32 v3, vcc, -1, v2
	v_addc_co_u32_e64 v4, s[28:29], 0, -1, vcc
	v_cmp_ne_u32_e32 vcc, 0, v2
	v_lshlrev_b32_e32 v24, 30, v1
	v_xor_b32_e32 v2, vcc_hi, v4
	v_xor_b32_e32 v3, vcc_lo, v3
	v_cmp_gt_i64_e32 vcc, 0, v[23:24]
	v_not_b32_e32 v4, v24
	v_ashrrev_i32_e32 v4, 31, v4
	v_and_b32_e32 v3, exec_lo, v3
	v_xor_b32_e32 v12, vcc_hi, v4
	v_xor_b32_e32 v4, vcc_lo, v4
	v_lshlrev_b32_e32 v24, 29, v1
	v_and_b32_e32 v3, v3, v4
	v_cmp_gt_i64_e32 vcc, 0, v[23:24]
	v_not_b32_e32 v4, v24
	v_and_b32_e32 v2, exec_hi, v2
	v_ashrrev_i32_e32 v4, 31, v4
	v_and_b32_e32 v2, v2, v12
	v_xor_b32_e32 v12, vcc_hi, v4
	v_xor_b32_e32 v4, vcc_lo, v4
	v_lshlrev_b32_e32 v24, 28, v1
	v_and_b32_e32 v3, v3, v4
	v_cmp_gt_i64_e32 vcc, 0, v[23:24]
	v_not_b32_e32 v4, v24
	v_ashrrev_i32_e32 v4, 31, v4
	v_and_b32_e32 v2, v2, v12
	v_xor_b32_e32 v12, vcc_hi, v4
	v_xor_b32_e32 v4, vcc_lo, v4
	v_lshlrev_b32_e32 v24, 27, v1
	v_and_b32_e32 v3, v3, v4
	v_cmp_gt_i64_e32 vcc, 0, v[23:24]
	v_not_b32_e32 v4, v24
	;; [unrolled: 8-line block ×4, first 2 shown]
	v_ashrrev_i32_e32 v4, 31, v4
	v_lshlrev_b32_e32 v24, 24, v1
	v_and_b32_e32 v2, v2, v12
	v_xor_b32_e32 v12, vcc_hi, v4
	v_xor_b32_e32 v4, vcc_lo, v4
	v_cmp_gt_i64_e32 vcc, 0, v[23:24]
	v_not_b32_e32 v1, v24
	v_ashrrev_i32_e32 v1, 31, v1
	v_and_b32_e32 v3, v3, v4
	v_xor_b32_e32 v4, vcc_hi, v1
	v_xor_b32_e32 v1, vcc_lo, v1
	; wave barrier
	ds_read_b32 v10, v11 offset:32
	v_and_b32_e32 v2, v2, v12
	v_and_b32_e32 v1, v3, v1
	;; [unrolled: 1-line block ×3, first 2 shown]
	v_mbcnt_lo_u32_b32 v3, v1, 0
	v_mbcnt_hi_u32_b32 v12, v2, v3
	v_cmp_ne_u64_e32 vcc, 0, v[1:2]
	v_cmp_eq_u32_e64 s[28:29], 0, v12
	s_and_b64 s[38:39], vcc, s[28:29]
	; wave barrier
	s_and_saveexec_b64 s[28:29], s[38:39]
	s_cbranch_execz .LBB334_10
; %bb.9:                                ;   in Loop: Header=BB334_4 Depth=2
	v_bcnt_u32_b32 v1, v1, 0
	v_bcnt_u32_b32 v1, v2, v1
	s_waitcnt lgkmcnt(0)
	v_add_u32_e32 v1, v10, v1
	ds_write_b32 v11, v1 offset:32
.LBB334_10:                             ;   in Loop: Header=BB334_4 Depth=2
	s_or_b64 exec, exec, s[28:29]
	v_lshrrev_b64 v[1:2], v29, v[33:34]
	v_lshlrev_b32_e32 v2, 5, v1
	v_and_b32_e32 v2, 0x1fe0, v2
	v_add_u32_e32 v14, v48, v2
	v_and_b32_e32 v2, 1, v1
	v_add_co_u32_e32 v3, vcc, -1, v2
	v_addc_co_u32_e64 v4, s[28:29], 0, -1, vcc
	v_cmp_ne_u32_e32 vcc, 0, v2
	v_lshlrev_b32_e32 v24, 30, v1
	v_xor_b32_e32 v2, vcc_hi, v4
	v_xor_b32_e32 v3, vcc_lo, v3
	v_cmp_gt_i64_e32 vcc, 0, v[23:24]
	v_not_b32_e32 v4, v24
	v_ashrrev_i32_e32 v4, 31, v4
	v_and_b32_e32 v3, exec_lo, v3
	v_xor_b32_e32 v15, vcc_hi, v4
	v_xor_b32_e32 v4, vcc_lo, v4
	v_lshlrev_b32_e32 v24, 29, v1
	v_and_b32_e32 v3, v3, v4
	v_cmp_gt_i64_e32 vcc, 0, v[23:24]
	v_not_b32_e32 v4, v24
	v_and_b32_e32 v2, exec_hi, v2
	v_ashrrev_i32_e32 v4, 31, v4
	v_and_b32_e32 v2, v2, v15
	v_xor_b32_e32 v15, vcc_hi, v4
	v_xor_b32_e32 v4, vcc_lo, v4
	v_lshlrev_b32_e32 v24, 28, v1
	v_and_b32_e32 v3, v3, v4
	v_cmp_gt_i64_e32 vcc, 0, v[23:24]
	v_not_b32_e32 v4, v24
	v_ashrrev_i32_e32 v4, 31, v4
	v_and_b32_e32 v2, v2, v15
	v_xor_b32_e32 v15, vcc_hi, v4
	v_xor_b32_e32 v4, vcc_lo, v4
	v_lshlrev_b32_e32 v24, 27, v1
	v_and_b32_e32 v3, v3, v4
	v_cmp_gt_i64_e32 vcc, 0, v[23:24]
	v_not_b32_e32 v4, v24
	;; [unrolled: 8-line block ×4, first 2 shown]
	v_ashrrev_i32_e32 v4, 31, v4
	v_lshlrev_b32_e32 v24, 24, v1
	v_and_b32_e32 v2, v2, v15
	v_xor_b32_e32 v15, vcc_hi, v4
	v_xor_b32_e32 v4, vcc_lo, v4
	v_cmp_gt_i64_e32 vcc, 0, v[23:24]
	v_not_b32_e32 v1, v24
	v_ashrrev_i32_e32 v1, 31, v1
	v_and_b32_e32 v3, v3, v4
	v_xor_b32_e32 v4, vcc_hi, v1
	v_xor_b32_e32 v1, vcc_lo, v1
	; wave barrier
	ds_read_b32 v13, v14 offset:32
	v_and_b32_e32 v2, v2, v15
	v_and_b32_e32 v1, v3, v1
	;; [unrolled: 1-line block ×3, first 2 shown]
	v_mbcnt_lo_u32_b32 v3, v1, 0
	v_mbcnt_hi_u32_b32 v15, v2, v3
	v_cmp_ne_u64_e32 vcc, 0, v[1:2]
	v_cmp_eq_u32_e64 s[28:29], 0, v15
	s_and_b64 s[38:39], vcc, s[28:29]
	; wave barrier
	s_and_saveexec_b64 s[28:29], s[38:39]
	s_cbranch_execz .LBB334_12
; %bb.11:                               ;   in Loop: Header=BB334_4 Depth=2
	v_bcnt_u32_b32 v1, v1, 0
	v_bcnt_u32_b32 v1, v2, v1
	s_waitcnt lgkmcnt(0)
	v_add_u32_e32 v1, v13, v1
	ds_write_b32 v14, v1 offset:32
.LBB334_12:                             ;   in Loop: Header=BB334_4 Depth=2
	s_or_b64 exec, exec, s[28:29]
	v_lshrrev_b64 v[1:2], v29, v[31:32]
	v_lshlrev_b32_e32 v2, 5, v1
	v_and_b32_e32 v2, 0x1fe0, v2
	v_add_u32_e32 v50, v48, v2
	v_and_b32_e32 v2, 1, v1
	v_add_co_u32_e32 v3, vcc, -1, v2
	v_addc_co_u32_e64 v4, s[28:29], 0, -1, vcc
	v_cmp_ne_u32_e32 vcc, 0, v2
	v_lshlrev_b32_e32 v24, 30, v1
	v_xor_b32_e32 v2, vcc_hi, v4
	v_xor_b32_e32 v3, vcc_lo, v3
	v_cmp_gt_i64_e32 vcc, 0, v[23:24]
	v_not_b32_e32 v4, v24
	v_ashrrev_i32_e32 v4, 31, v4
	v_and_b32_e32 v2, exec_hi, v2
	v_xor_b32_e32 v24, vcc_hi, v4
	v_and_b32_e32 v3, exec_lo, v3
	v_xor_b32_e32 v4, vcc_lo, v4
	v_and_b32_e32 v2, v2, v24
	v_lshlrev_b32_e32 v24, 29, v1
	v_and_b32_e32 v3, v3, v4
	v_cmp_gt_i64_e32 vcc, 0, v[23:24]
	v_not_b32_e32 v4, v24
	v_ashrrev_i32_e32 v4, 31, v4
	v_xor_b32_e32 v24, vcc_hi, v4
	v_xor_b32_e32 v4, vcc_lo, v4
	v_and_b32_e32 v2, v2, v24
	v_lshlrev_b32_e32 v24, 28, v1
	v_and_b32_e32 v3, v3, v4
	v_cmp_gt_i64_e32 vcc, 0, v[23:24]
	v_not_b32_e32 v4, v24
	v_ashrrev_i32_e32 v4, 31, v4
	v_xor_b32_e32 v24, vcc_hi, v4
	;; [unrolled: 8-line block ×5, first 2 shown]
	v_and_b32_e32 v2, v2, v24
	v_lshlrev_b32_e32 v24, 24, v1
	v_xor_b32_e32 v4, vcc_lo, v4
	v_cmp_gt_i64_e32 vcc, 0, v[23:24]
	v_not_b32_e32 v1, v24
	v_ashrrev_i32_e32 v1, 31, v1
	v_and_b32_e32 v3, v3, v4
	v_xor_b32_e32 v4, vcc_hi, v1
	v_xor_b32_e32 v1, vcc_lo, v1
	; wave barrier
	ds_read_b32 v16, v50 offset:32
	v_and_b32_e32 v1, v3, v1
	v_and_b32_e32 v2, v2, v4
	v_mbcnt_lo_u32_b32 v3, v1, 0
	v_mbcnt_hi_u32_b32 v51, v2, v3
	v_cmp_ne_u64_e32 vcc, 0, v[1:2]
	v_cmp_eq_u32_e64 s[28:29], 0, v51
	s_and_b64 s[38:39], vcc, s[28:29]
	; wave barrier
	s_and_saveexec_b64 s[28:29], s[38:39]
	s_cbranch_execz .LBB334_14
; %bb.13:                               ;   in Loop: Header=BB334_4 Depth=2
	v_bcnt_u32_b32 v1, v1, 0
	v_bcnt_u32_b32 v1, v2, v1
	s_waitcnt lgkmcnt(0)
	v_add_u32_e32 v1, v16, v1
	ds_write_b32 v50, v1 offset:32
.LBB334_14:                             ;   in Loop: Header=BB334_4 Depth=2
	s_or_b64 exec, exec, s[28:29]
	v_lshrrev_b64 v[1:2], v29, v[27:28]
	v_lshlrev_b32_e32 v2, 5, v1
	v_and_b32_e32 v2, 0x1fe0, v2
	v_add_u32_e32 v53, v48, v2
	v_and_b32_e32 v2, 1, v1
	v_add_co_u32_e32 v3, vcc, -1, v2
	v_addc_co_u32_e64 v4, s[28:29], 0, -1, vcc
	v_cmp_ne_u32_e32 vcc, 0, v2
	v_lshlrev_b32_e32 v24, 30, v1
	v_xor_b32_e32 v2, vcc_hi, v4
	v_xor_b32_e32 v3, vcc_lo, v3
	v_cmp_gt_i64_e32 vcc, 0, v[23:24]
	v_not_b32_e32 v4, v24
	v_ashrrev_i32_e32 v4, 31, v4
	v_and_b32_e32 v2, exec_hi, v2
	v_xor_b32_e32 v24, vcc_hi, v4
	v_and_b32_e32 v3, exec_lo, v3
	v_xor_b32_e32 v4, vcc_lo, v4
	v_and_b32_e32 v2, v2, v24
	v_lshlrev_b32_e32 v24, 29, v1
	v_and_b32_e32 v3, v3, v4
	v_cmp_gt_i64_e32 vcc, 0, v[23:24]
	v_not_b32_e32 v4, v24
	v_ashrrev_i32_e32 v4, 31, v4
	v_xor_b32_e32 v24, vcc_hi, v4
	v_xor_b32_e32 v4, vcc_lo, v4
	v_and_b32_e32 v2, v2, v24
	v_lshlrev_b32_e32 v24, 28, v1
	v_and_b32_e32 v3, v3, v4
	v_cmp_gt_i64_e32 vcc, 0, v[23:24]
	v_not_b32_e32 v4, v24
	v_ashrrev_i32_e32 v4, 31, v4
	v_xor_b32_e32 v24, vcc_hi, v4
	;; [unrolled: 8-line block ×5, first 2 shown]
	v_and_b32_e32 v2, v2, v24
	v_lshlrev_b32_e32 v24, 24, v1
	v_xor_b32_e32 v4, vcc_lo, v4
	v_cmp_gt_i64_e32 vcc, 0, v[23:24]
	v_not_b32_e32 v1, v24
	v_ashrrev_i32_e32 v1, 31, v1
	v_and_b32_e32 v3, v3, v4
	v_xor_b32_e32 v4, vcc_hi, v1
	v_xor_b32_e32 v1, vcc_lo, v1
	; wave barrier
	ds_read_b32 v52, v53 offset:32
	v_and_b32_e32 v1, v3, v1
	v_and_b32_e32 v2, v2, v4
	v_mbcnt_lo_u32_b32 v3, v1, 0
	v_mbcnt_hi_u32_b32 v54, v2, v3
	v_cmp_ne_u64_e32 vcc, 0, v[1:2]
	v_cmp_eq_u32_e64 s[28:29], 0, v54
	s_and_b64 s[38:39], vcc, s[28:29]
	; wave barrier
	s_and_saveexec_b64 s[28:29], s[38:39]
	s_cbranch_execz .LBB334_16
; %bb.15:                               ;   in Loop: Header=BB334_4 Depth=2
	v_bcnt_u32_b32 v1, v1, 0
	v_bcnt_u32_b32 v1, v2, v1
	s_waitcnt lgkmcnt(0)
	v_add_u32_e32 v1, v52, v1
	ds_write_b32 v53, v1 offset:32
.LBB334_16:                             ;   in Loop: Header=BB334_4 Depth=2
	s_or_b64 exec, exec, s[28:29]
	v_lshrrev_b64 v[1:2], v29, v[25:26]
	v_lshlrev_b32_e32 v2, 5, v1
	v_and_b32_e32 v2, 0x1fe0, v2
	v_add_u32_e32 v56, v48, v2
	v_and_b32_e32 v2, 1, v1
	v_add_co_u32_e32 v3, vcc, -1, v2
	v_addc_co_u32_e64 v4, s[28:29], 0, -1, vcc
	v_cmp_ne_u32_e32 vcc, 0, v2
	v_lshlrev_b32_e32 v24, 30, v1
	v_xor_b32_e32 v2, vcc_hi, v4
	v_xor_b32_e32 v3, vcc_lo, v3
	v_cmp_gt_i64_e32 vcc, 0, v[23:24]
	v_not_b32_e32 v4, v24
	v_ashrrev_i32_e32 v4, 31, v4
	v_and_b32_e32 v2, exec_hi, v2
	v_xor_b32_e32 v24, vcc_hi, v4
	v_and_b32_e32 v3, exec_lo, v3
	v_xor_b32_e32 v4, vcc_lo, v4
	v_and_b32_e32 v2, v2, v24
	v_lshlrev_b32_e32 v24, 29, v1
	v_and_b32_e32 v3, v3, v4
	v_cmp_gt_i64_e32 vcc, 0, v[23:24]
	v_not_b32_e32 v4, v24
	v_ashrrev_i32_e32 v4, 31, v4
	v_xor_b32_e32 v24, vcc_hi, v4
	v_xor_b32_e32 v4, vcc_lo, v4
	v_and_b32_e32 v2, v2, v24
	v_lshlrev_b32_e32 v24, 28, v1
	v_and_b32_e32 v3, v3, v4
	v_cmp_gt_i64_e32 vcc, 0, v[23:24]
	v_not_b32_e32 v4, v24
	v_ashrrev_i32_e32 v4, 31, v4
	v_xor_b32_e32 v24, vcc_hi, v4
	;; [unrolled: 8-line block ×5, first 2 shown]
	v_and_b32_e32 v2, v2, v24
	v_lshlrev_b32_e32 v24, 24, v1
	v_xor_b32_e32 v4, vcc_lo, v4
	v_cmp_gt_i64_e32 vcc, 0, v[23:24]
	v_not_b32_e32 v1, v24
	v_ashrrev_i32_e32 v1, 31, v1
	v_and_b32_e32 v3, v3, v4
	v_xor_b32_e32 v4, vcc_hi, v1
	v_xor_b32_e32 v1, vcc_lo, v1
	; wave barrier
	ds_read_b32 v55, v56 offset:32
	v_and_b32_e32 v1, v3, v1
	v_and_b32_e32 v2, v2, v4
	v_mbcnt_lo_u32_b32 v3, v1, 0
	v_mbcnt_hi_u32_b32 v57, v2, v3
	v_cmp_ne_u64_e32 vcc, 0, v[1:2]
	v_cmp_eq_u32_e64 s[28:29], 0, v57
	s_and_b64 s[38:39], vcc, s[28:29]
	; wave barrier
	s_and_saveexec_b64 s[28:29], s[38:39]
	s_cbranch_execz .LBB334_18
; %bb.17:                               ;   in Loop: Header=BB334_4 Depth=2
	v_bcnt_u32_b32 v1, v1, 0
	v_bcnt_u32_b32 v1, v2, v1
	s_waitcnt lgkmcnt(0)
	v_add_u32_e32 v1, v55, v1
	ds_write_b32 v56, v1 offset:32
.LBB334_18:                             ;   in Loop: Header=BB334_4 Depth=2
	s_or_b64 exec, exec, s[28:29]
	v_lshrrev_b64 v[1:2], v29, v[17:18]
	v_lshlrev_b32_e32 v2, 5, v1
	v_and_b32_e32 v2, 0x1fe0, v2
	v_add_u32_e32 v59, v48, v2
	v_and_b32_e32 v2, 1, v1
	v_add_co_u32_e32 v3, vcc, -1, v2
	v_addc_co_u32_e64 v4, s[28:29], 0, -1, vcc
	v_cmp_ne_u32_e32 vcc, 0, v2
	v_lshlrev_b32_e32 v24, 30, v1
	v_xor_b32_e32 v2, vcc_hi, v4
	v_xor_b32_e32 v3, vcc_lo, v3
	v_cmp_gt_i64_e32 vcc, 0, v[23:24]
	v_not_b32_e32 v4, v24
	v_ashrrev_i32_e32 v4, 31, v4
	v_and_b32_e32 v2, exec_hi, v2
	v_xor_b32_e32 v24, vcc_hi, v4
	v_and_b32_e32 v3, exec_lo, v3
	v_xor_b32_e32 v4, vcc_lo, v4
	v_and_b32_e32 v2, v2, v24
	v_lshlrev_b32_e32 v24, 29, v1
	v_and_b32_e32 v3, v3, v4
	v_cmp_gt_i64_e32 vcc, 0, v[23:24]
	v_not_b32_e32 v4, v24
	v_ashrrev_i32_e32 v4, 31, v4
	v_xor_b32_e32 v24, vcc_hi, v4
	v_xor_b32_e32 v4, vcc_lo, v4
	v_and_b32_e32 v2, v2, v24
	v_lshlrev_b32_e32 v24, 28, v1
	v_and_b32_e32 v3, v3, v4
	v_cmp_gt_i64_e32 vcc, 0, v[23:24]
	v_not_b32_e32 v4, v24
	v_ashrrev_i32_e32 v4, 31, v4
	v_xor_b32_e32 v24, vcc_hi, v4
	;; [unrolled: 8-line block ×5, first 2 shown]
	v_and_b32_e32 v2, v2, v24
	v_lshlrev_b32_e32 v24, 24, v1
	v_xor_b32_e32 v4, vcc_lo, v4
	v_cmp_gt_i64_e32 vcc, 0, v[23:24]
	v_not_b32_e32 v1, v24
	v_ashrrev_i32_e32 v1, 31, v1
	v_and_b32_e32 v3, v3, v4
	v_xor_b32_e32 v4, vcc_hi, v1
	v_xor_b32_e32 v1, vcc_lo, v1
	; wave barrier
	ds_read_b32 v58, v59 offset:32
	v_and_b32_e32 v1, v3, v1
	v_and_b32_e32 v2, v2, v4
	v_mbcnt_lo_u32_b32 v3, v1, 0
	v_mbcnt_hi_u32_b32 v24, v2, v3
	v_cmp_ne_u64_e32 vcc, 0, v[1:2]
	v_cmp_eq_u32_e64 s[28:29], 0, v24
	s_and_b64 s[38:39], vcc, s[28:29]
	; wave barrier
	s_and_saveexec_b64 s[28:29], s[38:39]
	s_cbranch_execz .LBB334_20
; %bb.19:                               ;   in Loop: Header=BB334_4 Depth=2
	v_bcnt_u32_b32 v1, v1, 0
	v_bcnt_u32_b32 v1, v2, v1
	s_waitcnt lgkmcnt(0)
	v_add_u32_e32 v1, v58, v1
	ds_write_b32 v59, v1 offset:32
.LBB334_20:                             ;   in Loop: Header=BB334_4 Depth=2
	s_or_b64 exec, exec, s[28:29]
	; wave barrier
	s_waitcnt lgkmcnt(0)
	s_barrier
	ds_read2_b64 v[1:4], v43 offset0:4 offset1:5
	s_waitcnt lgkmcnt(0)
	v_add_u32_e32 v60, v2, v1
	v_add3_u32 v4, v60, v3, v4
	s_nop 1
	v_mov_b32_dpp v60, v4 row_shr:1 row_mask:0xf bank_mask:0xf
	v_cndmask_b32_e64 v60, v60, 0, s[0:1]
	v_add_u32_e32 v4, v60, v4
	s_nop 1
	v_mov_b32_dpp v60, v4 row_shr:2 row_mask:0xf bank_mask:0xf
	v_cndmask_b32_e64 v60, 0, v60, s[2:3]
	v_add_u32_e32 v4, v4, v60
	;; [unrolled: 4-line block ×4, first 2 shown]
	s_nop 1
	v_mov_b32_dpp v60, v4 row_bcast:15 row_mask:0xf bank_mask:0xf
	v_cndmask_b32_e64 v60, v60, 0, s[8:9]
	v_add_u32_e32 v4, v4, v60
	s_nop 1
	v_mov_b32_dpp v60, v4 row_bcast:31 row_mask:0xf bank_mask:0xf
	v_cndmask_b32_e64 v60, 0, v60, s[10:11]
	v_add_u32_e32 v4, v4, v60
	s_and_saveexec_b64 s[28:29], s[12:13]
; %bb.21:                               ;   in Loop: Header=BB334_4 Depth=2
	ds_write_b32 v45, v4
; %bb.22:                               ;   in Loop: Header=BB334_4 Depth=2
	s_or_b64 exec, exec, s[28:29]
	s_waitcnt lgkmcnt(0)
	s_barrier
	s_and_saveexec_b64 s[28:29], s[14:15]
	s_cbranch_execz .LBB334_24
; %bb.23:                               ;   in Loop: Header=BB334_4 Depth=2
	ds_read_b32 v60, v46
	s_waitcnt lgkmcnt(0)
	s_nop 0
	v_mov_b32_dpp v61, v60 row_shr:1 row_mask:0xf bank_mask:0xf
	v_cndmask_b32_e64 v61, v61, 0, s[22:23]
	v_add_u32_e32 v60, v61, v60
	s_nop 1
	v_mov_b32_dpp v61, v60 row_shr:2 row_mask:0xf bank_mask:0xf
	v_cndmask_b32_e64 v61, 0, v61, s[24:25]
	v_add_u32_e32 v60, v60, v61
	;; [unrolled: 4-line block ×3, first 2 shown]
	ds_write_b32 v46, v60
.LBB334_24:                             ;   in Loop: Header=BB334_4 Depth=2
	s_or_b64 exec, exec, s[28:29]
	v_mov_b32_e32 v60, 0
	s_waitcnt lgkmcnt(0)
	s_barrier
	s_and_saveexec_b64 s[28:29], s[16:17]
; %bb.25:                               ;   in Loop: Header=BB334_4 Depth=2
	ds_read_b32 v60, v47
; %bb.26:                               ;   in Loop: Header=BB334_4 Depth=2
	s_or_b64 exec, exec, s[28:29]
	s_waitcnt lgkmcnt(0)
	v_add_u32_e32 v4, v60, v4
	ds_bpermute_b32 v4, v44, v4
	v_cmp_lt_u32_e32 vcc, 55, v29
	s_and_b64 vcc, exec, vcc
	s_mov_b64 s[28:29], -1
	s_waitcnt lgkmcnt(0)
	v_cndmask_b32_e64 v4, v4, v60, s[18:19]
	v_cndmask_b32_e64 v60, v4, 0, s[20:21]
	v_add_u32_e32 v61, v60, v1
	v_add_u32_e32 v1, v61, v2
	;; [unrolled: 1-line block ×3, first 2 shown]
	ds_write2_b64 v43, v[60:61], v[1:2] offset0:4 offset1:5
	s_waitcnt lgkmcnt(0)
	s_barrier
	ds_read_b32 v1, v5 offset:32
	ds_read_b32 v2, v8 offset:32
	;; [unrolled: 1-line block ×8, first 2 shown]
	s_waitcnt lgkmcnt(7)
	v_add_u32_e32 v61, v1, v6
	s_waitcnt lgkmcnt(6)
	v_add3_u32 v60, v9, v7, v2
	s_waitcnt lgkmcnt(5)
	v_add3_u32 v59, v12, v10, v3
	;; [unrolled: 2-line block ×7, first 2 shown]
                                        ; implicit-def: $vgpr15_vgpr16
                                        ; implicit-def: $vgpr11_vgpr12
                                        ; implicit-def: $vgpr7_vgpr8
                                        ; implicit-def: $vgpr3_vgpr4
	s_cbranch_vccnz .LBB334_3
; %bb.27:                               ;   in Loop: Header=BB334_4 Depth=2
	v_lshlrev_b32_e32 v1, 3, v61
	s_barrier
	ds_write_b64 v1, v[39:40]
	v_lshlrev_b32_e32 v1, 3, v60
	ds_write_b64 v1, v[37:38]
	v_lshlrev_b32_e32 v1, 3, v59
	;; [unrolled: 2-line block ×7, first 2 shown]
	ds_write_b64 v1, v[17:18]
	s_waitcnt lgkmcnt(0)
	s_barrier
	ds_read2st64_b64 v[1:4], v42 offset1:1
	ds_read2st64_b64 v[5:8], v42 offset0:2 offset1:3
	ds_read2st64_b64 v[9:12], v42 offset0:4 offset1:5
	ds_read2st64_b64 v[13:16], v42 offset0:6 offset1:7
	v_add_co_u32_e32 v29, vcc, 8, v29
	v_addc_co_u32_e32 v30, vcc, 0, v30, vcc
	s_mov_b64 s[28:29], 0
	s_waitcnt lgkmcnt(0)
	s_barrier
	s_branch .LBB334_3
.LBB334_28:
	s_add_u32 s0, s30, s36
	s_addc_u32 s1, s31, s37
	v_lshlrev_b32_e32 v0, 3, v0
	v_mov_b32_e32 v1, s1
	v_add_co_u32_e32 v2, vcc, s0, v0
	v_addc_co_u32_e32 v19, vcc, 0, v1, vcc
	global_store_dwordx2 v0, v[15:16], s[0:1]
	v_add_co_u32_e32 v0, vcc, 0x1000, v2
	v_addc_co_u32_e32 v1, vcc, 0, v19, vcc
	global_store_dwordx2 v[0:1], v[17:18], off
	v_add_co_u32_e32 v0, vcc, 0x2000, v2
	v_addc_co_u32_e32 v1, vcc, 0, v19, vcc
	global_store_dwordx2 v[0:1], v[11:12], off
	;; [unrolled: 3-line block ×7, first 2 shown]
	s_endpgm
	.section	.rodata,"a",@progbits
	.p2align	6, 0x0
	.amdhsa_kernel _Z16sort_keys_kernelI22helper_blocked_stripedxLj512ELj8ELj10EEvPKT0_PS1_
		.amdhsa_group_segment_fixed_size 32768
		.amdhsa_private_segment_fixed_size 0
		.amdhsa_kernarg_size 272
		.amdhsa_user_sgpr_count 6
		.amdhsa_user_sgpr_private_segment_buffer 1
		.amdhsa_user_sgpr_dispatch_ptr 0
		.amdhsa_user_sgpr_queue_ptr 0
		.amdhsa_user_sgpr_kernarg_segment_ptr 1
		.amdhsa_user_sgpr_dispatch_id 0
		.amdhsa_user_sgpr_flat_scratch_init 0
		.amdhsa_user_sgpr_private_segment_size 0
		.amdhsa_uses_dynamic_stack 0
		.amdhsa_system_sgpr_private_segment_wavefront_offset 0
		.amdhsa_system_sgpr_workgroup_id_x 1
		.amdhsa_system_sgpr_workgroup_id_y 0
		.amdhsa_system_sgpr_workgroup_id_z 0
		.amdhsa_system_sgpr_workgroup_info 0
		.amdhsa_system_vgpr_workitem_id 2
		.amdhsa_next_free_vgpr 62
		.amdhsa_next_free_sgpr 98
		.amdhsa_reserve_vcc 1
		.amdhsa_reserve_flat_scratch 0
		.amdhsa_float_round_mode_32 0
		.amdhsa_float_round_mode_16_64 0
		.amdhsa_float_denorm_mode_32 3
		.amdhsa_float_denorm_mode_16_64 3
		.amdhsa_dx10_clamp 1
		.amdhsa_ieee_mode 1
		.amdhsa_fp16_overflow 0
		.amdhsa_exception_fp_ieee_invalid_op 0
		.amdhsa_exception_fp_denorm_src 0
		.amdhsa_exception_fp_ieee_div_zero 0
		.amdhsa_exception_fp_ieee_overflow 0
		.amdhsa_exception_fp_ieee_underflow 0
		.amdhsa_exception_fp_ieee_inexact 0
		.amdhsa_exception_int_div_zero 0
	.end_amdhsa_kernel
	.section	.text._Z16sort_keys_kernelI22helper_blocked_stripedxLj512ELj8ELj10EEvPKT0_PS1_,"axG",@progbits,_Z16sort_keys_kernelI22helper_blocked_stripedxLj512ELj8ELj10EEvPKT0_PS1_,comdat
.Lfunc_end334:
	.size	_Z16sort_keys_kernelI22helper_blocked_stripedxLj512ELj8ELj10EEvPKT0_PS1_, .Lfunc_end334-_Z16sort_keys_kernelI22helper_blocked_stripedxLj512ELj8ELj10EEvPKT0_PS1_
                                        ; -- End function
	.set _Z16sort_keys_kernelI22helper_blocked_stripedxLj512ELj8ELj10EEvPKT0_PS1_.num_vgpr, 62
	.set _Z16sort_keys_kernelI22helper_blocked_stripedxLj512ELj8ELj10EEvPKT0_PS1_.num_agpr, 0
	.set _Z16sort_keys_kernelI22helper_blocked_stripedxLj512ELj8ELj10EEvPKT0_PS1_.numbered_sgpr, 40
	.set _Z16sort_keys_kernelI22helper_blocked_stripedxLj512ELj8ELj10EEvPKT0_PS1_.num_named_barrier, 0
	.set _Z16sort_keys_kernelI22helper_blocked_stripedxLj512ELj8ELj10EEvPKT0_PS1_.private_seg_size, 0
	.set _Z16sort_keys_kernelI22helper_blocked_stripedxLj512ELj8ELj10EEvPKT0_PS1_.uses_vcc, 1
	.set _Z16sort_keys_kernelI22helper_blocked_stripedxLj512ELj8ELj10EEvPKT0_PS1_.uses_flat_scratch, 0
	.set _Z16sort_keys_kernelI22helper_blocked_stripedxLj512ELj8ELj10EEvPKT0_PS1_.has_dyn_sized_stack, 0
	.set _Z16sort_keys_kernelI22helper_blocked_stripedxLj512ELj8ELj10EEvPKT0_PS1_.has_recursion, 0
	.set _Z16sort_keys_kernelI22helper_blocked_stripedxLj512ELj8ELj10EEvPKT0_PS1_.has_indirect_call, 0
	.section	.AMDGPU.csdata,"",@progbits
; Kernel info:
; codeLenInByte = 4684
; TotalNumSgprs: 44
; NumVgprs: 62
; ScratchSize: 0
; MemoryBound: 0
; FloatMode: 240
; IeeeMode: 1
; LDSByteSize: 32768 bytes/workgroup (compile time only)
; SGPRBlocks: 12
; VGPRBlocks: 15
; NumSGPRsForWavesPerEU: 102
; NumVGPRsForWavesPerEU: 62
; Occupancy: 4
; WaveLimiterHint : 1
; COMPUTE_PGM_RSRC2:SCRATCH_EN: 0
; COMPUTE_PGM_RSRC2:USER_SGPR: 6
; COMPUTE_PGM_RSRC2:TRAP_HANDLER: 0
; COMPUTE_PGM_RSRC2:TGID_X_EN: 1
; COMPUTE_PGM_RSRC2:TGID_Y_EN: 0
; COMPUTE_PGM_RSRC2:TGID_Z_EN: 0
; COMPUTE_PGM_RSRC2:TIDIG_COMP_CNT: 2
	.section	.text._Z17sort_pairs_kernelI22helper_blocked_stripedxLj512ELj8ELj10EEvPKT0_PS1_,"axG",@progbits,_Z17sort_pairs_kernelI22helper_blocked_stripedxLj512ELj8ELj10EEvPKT0_PS1_,comdat
	.protected	_Z17sort_pairs_kernelI22helper_blocked_stripedxLj512ELj8ELj10EEvPKT0_PS1_ ; -- Begin function _Z17sort_pairs_kernelI22helper_blocked_stripedxLj512ELj8ELj10EEvPKT0_PS1_
	.globl	_Z17sort_pairs_kernelI22helper_blocked_stripedxLj512ELj8ELj10EEvPKT0_PS1_
	.p2align	8
	.type	_Z17sort_pairs_kernelI22helper_blocked_stripedxLj512ELj8ELj10EEvPKT0_PS1_,@function
_Z17sort_pairs_kernelI22helper_blocked_stripedxLj512ELj8ELj10EEvPKT0_PS1_: ; @_Z17sort_pairs_kernelI22helper_blocked_stripedxLj512ELj8ELj10EEvPKT0_PS1_
; %bb.0:
	s_load_dwordx4 s[28:31], s[4:5], 0x0
	s_load_dword s26, s[4:5], 0x1c
	s_lshl_b32 s36, s6, 12
	s_mov_b32 s37, 0
	s_lshl_b64 s[34:35], s[36:37], 3
	s_waitcnt lgkmcnt(0)
	s_add_u32 s0, s28, s34
	s_addc_u32 s1, s29, s35
	v_lshlrev_b32_e32 v19, 6, v0
	global_load_dwordx4 v[15:18], v19, s[0:1]
	global_load_dwordx4 v[11:14], v19, s[0:1] offset:16
	global_load_dwordx4 v[7:10], v19, s[0:1] offset:32
	;; [unrolled: 1-line block ×3, first 2 shown]
	v_mbcnt_lo_u32_b32 v20, -1, 0
	v_mbcnt_hi_u32_b32 v20, -1, v20
	v_subrev_co_u32_e64 v25, s[8:9], 1, v20
	v_and_b32_e32 v26, 64, v20
	v_and_b32_e32 v19, 0x7000, v19
	v_cmp_lt_i32_e32 vcc, v25, v26
	v_lshl_or_b32 v73, v20, 3, v19
	v_cndmask_b32_e32 v19, v25, v20, vcc
	v_and_b32_e32 v23, 15, v20
	s_lshr_b32 s27, s26, 16
	v_and_b32_e32 v24, 16, v20
	v_cmp_eq_u32_e64 s[10:11], 0, v23
	v_cmp_lt_u32_e64 s[12:13], 1, v23
	v_cmp_lt_u32_e64 s[14:15], 3, v23
	;; [unrolled: 1-line block ×3, first 2 shown]
	s_and_b32 s26, s26, 0xffff
	v_mad_u32_u24 v1, v2, s27, v1
	v_cmp_eq_u32_e64 s[18:19], 0, v24
	v_mad_u64_u32 v[1:2], s[26:27], v1, s26, v[0:1]
	v_and_b32_e32 v21, 0x1c0, v0
	v_lshrrev_b32_e32 v22, 4, v0
	v_lshlrev_b32_e32 v75, 2, v19
	v_lshlrev_b32_e32 v69, 4, v0
	v_add_lshl_u32 v70, v20, v21, 6
	v_cmp_lt_u32_e64 s[6:7], 31, v20
	v_or_b32_e32 v21, 63, v21
	v_and_b32_e32 v71, 28, v22
	v_and_b32_e32 v22, 7, v20
	v_lshrrev_b32_e32 v1, 4, v1
	v_mad_i32_i24 v72, v0, -12, v69
	v_cmp_eq_u32_e64 s[20:21], v0, v21
	v_and_b32_e32 v76, 0xffffffc, v1
	v_lshlrev_b32_e32 v1, 2, v0
	v_cmp_gt_u32_e64 s[0:1], 8, v0
	v_cmp_lt_u32_e64 s[2:3], 63, v0
	v_cmp_eq_u32_e64 s[4:5], 0, v0
	v_cmp_eq_u32_e64 s[22:23], 0, v22
	v_cmp_lt_u32_e64 s[24:25], 1, v22
	v_cmp_lt_u32_e64 s[26:27], 3, v22
	v_add_u32_e32 v74, -4, v71
	s_mov_b32 s36, s37
	s_mov_b32 s38, s37
	s_mov_b32 s39, s37
	v_mov_b32_e32 v35, 0
	v_add_u32_e32 v77, v72, v1
	s_mov_b32 s33, s37
	s_waitcnt vmcnt(3)
	v_add_co_u32_e32 v31, vcc, 1, v15
	v_addc_co_u32_e32 v32, vcc, 0, v16, vcc
	v_add_co_u32_e32 v33, vcc, 1, v17
	v_addc_co_u32_e32 v34, vcc, 0, v18, vcc
	s_waitcnt vmcnt(2)
	v_add_co_u32_e32 v27, vcc, 1, v11
	v_addc_co_u32_e32 v28, vcc, 0, v12, vcc
	v_add_co_u32_e32 v29, vcc, 1, v13
	v_addc_co_u32_e32 v30, vcc, 0, v14, vcc
	;; [unrolled: 5-line block ×4, first 2 shown]
	s_branch .LBB335_2
.LBB335_1:                              ;   in Loop: Header=BB335_2 Depth=1
	v_lshlrev_b32_e32 v1, 3, v84
	v_lshlrev_b32_e32 v2, 3, v83
	;; [unrolled: 1-line block ×8, first 2 shown]
	s_barrier
	ds_write_b64 v1, v[67:68]
	ds_write_b64 v2, v[65:66]
	;; [unrolled: 1-line block ×8, first 2 shown]
	s_waitcnt lgkmcnt(0)
	s_barrier
	ds_read2st64_b64 v[15:18], v77 offset1:8
	ds_read2st64_b64 v[11:14], v77 offset0:16 offset1:24
	ds_read2st64_b64 v[7:10], v77 offset0:32 offset1:40
	ds_read2st64_b64 v[3:6], v77 offset0:48 offset1:56
	s_waitcnt lgkmcnt(0)
	s_barrier
	ds_write_b64 v1, v[49:50]
	ds_write_b64 v2, v[47:48]
	ds_write_b64 v19, v[45:46]
	ds_write_b64 v20, v[43:44]
	ds_write_b64 v21, v[41:42]
	ds_write_b64 v22, v[39:40]
	ds_write_b64 v23, v[37:38]
	ds_write_b64 v24, v[33:34]
	s_waitcnt lgkmcnt(0)
	s_barrier
	ds_read2st64_b64 v[31:34], v77 offset1:8
	ds_read2st64_b64 v[27:30], v77 offset0:16 offset1:24
	ds_read2st64_b64 v[23:26], v77 offset0:32 offset1:40
	ds_read2st64_b64 v[19:22], v77 offset0:48 offset1:56
	s_add_i32 s33, s33, 1
	v_xor_b32_e32 v16, 0x80000000, v16
	v_xor_b32_e32 v18, 0x80000000, v18
	;; [unrolled: 1-line block ×7, first 2 shown]
	s_cmp_eq_u32 s33, 10
	v_xor_b32_e32 v6, 0x80000000, v6
	s_cbranch_scc1 .LBB335_28
.LBB335_2:                              ; =>This Loop Header: Depth=1
                                        ;     Child Loop BB335_4 Depth 2
	v_xor_b32_e32 v16, 0x80000000, v16
	v_xor_b32_e32 v18, 0x80000000, v18
	;; [unrolled: 1-line block ×8, first 2 shown]
	ds_write2_b64 v70, v[15:16], v[17:18] offset1:1
	ds_write2_b64 v70, v[11:12], v[13:14] offset0:2 offset1:3
	ds_write2_b64 v70, v[7:8], v[9:10] offset0:4 offset1:5
	ds_write2_b64 v70, v[3:4], v[5:6] offset0:6 offset1:7
	; wave barrier
	ds_read2st64_b64 v[1:4], v73 offset1:1
	ds_read2st64_b64 v[5:8], v73 offset0:2 offset1:3
	ds_read2st64_b64 v[9:12], v73 offset0:4 offset1:5
	;; [unrolled: 1-line block ×3, first 2 shown]
	; wave barrier
	s_waitcnt lgkmcnt(11)
	ds_write2_b64 v70, v[31:32], v[33:34] offset1:1
	s_waitcnt lgkmcnt(11)
	ds_write2_b64 v70, v[27:28], v[29:30] offset0:2 offset1:3
	s_waitcnt lgkmcnt(11)
	ds_write2_b64 v70, v[23:24], v[25:26] offset0:4 offset1:5
	;; [unrolled: 2-line block ×3, first 2 shown]
	; wave barrier
	ds_read2st64_b64 v[17:20], v73 offset1:1
	ds_read2st64_b64 v[21:24], v73 offset0:2 offset1:3
	ds_read2st64_b64 v[25:28], v73 offset0:4 offset1:5
	;; [unrolled: 1-line block ×3, first 2 shown]
	v_mov_b32_e32 v51, 0
	v_mov_b32_e32 v52, 0
	s_waitcnt lgkmcnt(0)
	s_barrier
	s_branch .LBB335_4
.LBB335_3:                              ;   in Loop: Header=BB335_4 Depth=2
	s_andn2_b64 vcc, exec, s[28:29]
	s_cbranch_vccz .LBB335_1
.LBB335_4:                              ;   Parent Loop BB335_2 Depth=1
                                        ; =>  This Inner Loop Header: Depth=2
	v_mov_b32_e32 v66, v4
	v_mov_b32_e32 v68, v2
	;; [unrolled: 1-line block ×8, first 2 shown]
	ds_write2_b64 v69, v[1:2], v[3:4] offset0:4 offset1:5
	v_lshrrev_b64 v[1:2], v51, v[67:68]
	v_mov_b32_e32 v64, v6
	v_lshlrev_b32_e32 v2, 5, v1
	v_and_b32_e32 v2, 0x1fe0, v2
	v_mov_b32_e32 v63, v5
	v_add_u32_e32 v5, v76, v2
	v_and_b32_e32 v2, 1, v1
	v_add_co_u32_e32 v3, vcc, -1, v2
	v_addc_co_u32_e64 v4, s[28:29], 0, -1, vcc
	v_cmp_ne_u32_e32 vcc, 0, v2
	v_lshlrev_b32_e32 v36, 30, v1
	v_xor_b32_e32 v2, vcc_hi, v4
	v_xor_b32_e32 v3, vcc_lo, v3
	v_cmp_gt_i64_e32 vcc, 0, v[35:36]
	v_not_b32_e32 v4, v36
	v_ashrrev_i32_e32 v4, 31, v4
	v_and_b32_e32 v3, exec_lo, v3
	v_xor_b32_e32 v6, vcc_hi, v4
	v_xor_b32_e32 v4, vcc_lo, v4
	v_lshlrev_b32_e32 v36, 29, v1
	v_and_b32_e32 v3, v3, v4
	v_cmp_gt_i64_e32 vcc, 0, v[35:36]
	v_not_b32_e32 v4, v36
	v_and_b32_e32 v2, exec_hi, v2
	v_ashrrev_i32_e32 v4, 31, v4
	v_and_b32_e32 v2, v2, v6
	v_xor_b32_e32 v6, vcc_hi, v4
	v_xor_b32_e32 v4, vcc_lo, v4
	v_lshlrev_b32_e32 v36, 28, v1
	v_and_b32_e32 v3, v3, v4
	v_cmp_gt_i64_e32 vcc, 0, v[35:36]
	v_not_b32_e32 v4, v36
	v_ashrrev_i32_e32 v4, 31, v4
	v_and_b32_e32 v2, v2, v6
	v_xor_b32_e32 v6, vcc_hi, v4
	v_xor_b32_e32 v4, vcc_lo, v4
	v_lshlrev_b32_e32 v36, 27, v1
	v_and_b32_e32 v3, v3, v4
	v_cmp_gt_i64_e32 vcc, 0, v[35:36]
	v_not_b32_e32 v4, v36
	v_ashrrev_i32_e32 v4, 31, v4
	v_and_b32_e32 v2, v2, v6
	v_xor_b32_e32 v6, vcc_hi, v4
	v_xor_b32_e32 v4, vcc_lo, v4
	v_lshlrev_b32_e32 v36, 26, v1
	v_and_b32_e32 v3, v3, v4
	v_cmp_gt_i64_e32 vcc, 0, v[35:36]
	v_not_b32_e32 v4, v36
	v_ashrrev_i32_e32 v4, 31, v4
	v_and_b32_e32 v2, v2, v6
	v_xor_b32_e32 v6, vcc_hi, v4
	v_xor_b32_e32 v4, vcc_lo, v4
	v_lshlrev_b32_e32 v36, 25, v1
	v_and_b32_e32 v3, v3, v4
	v_cmp_gt_i64_e32 vcc, 0, v[35:36]
	v_not_b32_e32 v4, v36
	v_ashrrev_i32_e32 v4, 31, v4
	v_lshlrev_b32_e32 v36, 24, v1
	v_and_b32_e32 v2, v2, v6
	v_xor_b32_e32 v6, vcc_hi, v4
	v_xor_b32_e32 v4, vcc_lo, v4
	v_cmp_gt_i64_e32 vcc, 0, v[35:36]
	v_not_b32_e32 v1, v36
	v_ashrrev_i32_e32 v1, 31, v1
	v_and_b32_e32 v3, v3, v4
	v_xor_b32_e32 v4, vcc_hi, v1
	v_xor_b32_e32 v1, vcc_lo, v1
	v_and_b32_e32 v2, v2, v6
	v_and_b32_e32 v1, v3, v1
	;; [unrolled: 1-line block ×3, first 2 shown]
	v_mbcnt_lo_u32_b32 v3, v1, 0
	v_mbcnt_hi_u32_b32 v6, v2, v3
	v_cmp_ne_u64_e32 vcc, 0, v[1:2]
	v_mov_b32_e32 v54, v16
	v_mov_b32_e32 v56, v14
	;; [unrolled: 1-line block ×13, first 2 shown]
	v_cmp_eq_u32_e64 s[28:29], 0, v6
	v_mov_b32_e32 v53, v15
	v_mov_b32_e32 v55, v13
	;; [unrolled: 1-line block ×13, first 2 shown]
	s_and_b64 s[40:41], vcc, s[28:29]
	s_waitcnt lgkmcnt(0)
	s_barrier
	; wave barrier
	s_and_saveexec_b64 s[28:29], s[40:41]
; %bb.5:                                ;   in Loop: Header=BB335_4 Depth=2
	v_bcnt_u32_b32 v1, v1, 0
	v_bcnt_u32_b32 v1, v2, v1
	ds_write_b32 v5, v1 offset:32
; %bb.6:                                ;   in Loop: Header=BB335_4 Depth=2
	s_or_b64 exec, exec, s[28:29]
	v_lshrrev_b64 v[1:2], v51, v[65:66]
	v_lshlrev_b32_e32 v2, 5, v1
	v_and_b32_e32 v2, 0x1fe0, v2
	v_add_u32_e32 v8, v76, v2
	v_and_b32_e32 v2, 1, v1
	v_add_co_u32_e32 v3, vcc, -1, v2
	v_addc_co_u32_e64 v4, s[28:29], 0, -1, vcc
	v_cmp_ne_u32_e32 vcc, 0, v2
	v_lshlrev_b32_e32 v36, 30, v1
	v_xor_b32_e32 v2, vcc_hi, v4
	v_xor_b32_e32 v3, vcc_lo, v3
	v_cmp_gt_i64_e32 vcc, 0, v[35:36]
	v_not_b32_e32 v4, v36
	v_ashrrev_i32_e32 v4, 31, v4
	v_and_b32_e32 v3, exec_lo, v3
	v_xor_b32_e32 v9, vcc_hi, v4
	v_xor_b32_e32 v4, vcc_lo, v4
	v_lshlrev_b32_e32 v36, 29, v1
	v_and_b32_e32 v3, v3, v4
	v_cmp_gt_i64_e32 vcc, 0, v[35:36]
	v_not_b32_e32 v4, v36
	v_and_b32_e32 v2, exec_hi, v2
	v_ashrrev_i32_e32 v4, 31, v4
	v_and_b32_e32 v2, v2, v9
	v_xor_b32_e32 v9, vcc_hi, v4
	v_xor_b32_e32 v4, vcc_lo, v4
	v_lshlrev_b32_e32 v36, 28, v1
	v_and_b32_e32 v3, v3, v4
	v_cmp_gt_i64_e32 vcc, 0, v[35:36]
	v_not_b32_e32 v4, v36
	v_ashrrev_i32_e32 v4, 31, v4
	v_and_b32_e32 v2, v2, v9
	v_xor_b32_e32 v9, vcc_hi, v4
	v_xor_b32_e32 v4, vcc_lo, v4
	v_lshlrev_b32_e32 v36, 27, v1
	v_and_b32_e32 v3, v3, v4
	v_cmp_gt_i64_e32 vcc, 0, v[35:36]
	v_not_b32_e32 v4, v36
	;; [unrolled: 8-line block ×4, first 2 shown]
	v_ashrrev_i32_e32 v4, 31, v4
	v_lshlrev_b32_e32 v36, 24, v1
	v_and_b32_e32 v2, v2, v9
	v_xor_b32_e32 v9, vcc_hi, v4
	v_xor_b32_e32 v4, vcc_lo, v4
	v_cmp_gt_i64_e32 vcc, 0, v[35:36]
	v_not_b32_e32 v1, v36
	v_ashrrev_i32_e32 v1, 31, v1
	v_and_b32_e32 v3, v3, v4
	v_xor_b32_e32 v4, vcc_hi, v1
	v_xor_b32_e32 v1, vcc_lo, v1
	; wave barrier
	ds_read_b32 v7, v8 offset:32
	v_and_b32_e32 v2, v2, v9
	v_and_b32_e32 v1, v3, v1
	;; [unrolled: 1-line block ×3, first 2 shown]
	v_mbcnt_lo_u32_b32 v3, v1, 0
	v_mbcnt_hi_u32_b32 v9, v2, v3
	v_cmp_ne_u64_e32 vcc, 0, v[1:2]
	v_cmp_eq_u32_e64 s[28:29], 0, v9
	s_and_b64 s[40:41], vcc, s[28:29]
	; wave barrier
	s_and_saveexec_b64 s[28:29], s[40:41]
	s_cbranch_execz .LBB335_8
; %bb.7:                                ;   in Loop: Header=BB335_4 Depth=2
	v_bcnt_u32_b32 v1, v1, 0
	v_bcnt_u32_b32 v1, v2, v1
	s_waitcnt lgkmcnt(0)
	v_add_u32_e32 v1, v7, v1
	ds_write_b32 v8, v1 offset:32
.LBB335_8:                              ;   in Loop: Header=BB335_4 Depth=2
	s_or_b64 exec, exec, s[28:29]
	v_lshrrev_b64 v[1:2], v51, v[63:64]
	v_lshlrev_b32_e32 v2, 5, v1
	v_and_b32_e32 v2, 0x1fe0, v2
	v_add_u32_e32 v11, v76, v2
	v_and_b32_e32 v2, 1, v1
	v_add_co_u32_e32 v3, vcc, -1, v2
	v_addc_co_u32_e64 v4, s[28:29], 0, -1, vcc
	v_cmp_ne_u32_e32 vcc, 0, v2
	v_lshlrev_b32_e32 v36, 30, v1
	v_xor_b32_e32 v2, vcc_hi, v4
	v_xor_b32_e32 v3, vcc_lo, v3
	v_cmp_gt_i64_e32 vcc, 0, v[35:36]
	v_not_b32_e32 v4, v36
	v_ashrrev_i32_e32 v4, 31, v4
	v_and_b32_e32 v3, exec_lo, v3
	v_xor_b32_e32 v12, vcc_hi, v4
	v_xor_b32_e32 v4, vcc_lo, v4
	v_lshlrev_b32_e32 v36, 29, v1
	v_and_b32_e32 v3, v3, v4
	v_cmp_gt_i64_e32 vcc, 0, v[35:36]
	v_not_b32_e32 v4, v36
	v_and_b32_e32 v2, exec_hi, v2
	v_ashrrev_i32_e32 v4, 31, v4
	v_and_b32_e32 v2, v2, v12
	v_xor_b32_e32 v12, vcc_hi, v4
	v_xor_b32_e32 v4, vcc_lo, v4
	v_lshlrev_b32_e32 v36, 28, v1
	v_and_b32_e32 v3, v3, v4
	v_cmp_gt_i64_e32 vcc, 0, v[35:36]
	v_not_b32_e32 v4, v36
	v_ashrrev_i32_e32 v4, 31, v4
	v_and_b32_e32 v2, v2, v12
	v_xor_b32_e32 v12, vcc_hi, v4
	v_xor_b32_e32 v4, vcc_lo, v4
	v_lshlrev_b32_e32 v36, 27, v1
	v_and_b32_e32 v3, v3, v4
	v_cmp_gt_i64_e32 vcc, 0, v[35:36]
	v_not_b32_e32 v4, v36
	;; [unrolled: 8-line block ×4, first 2 shown]
	v_ashrrev_i32_e32 v4, 31, v4
	v_lshlrev_b32_e32 v36, 24, v1
	v_and_b32_e32 v2, v2, v12
	v_xor_b32_e32 v12, vcc_hi, v4
	v_xor_b32_e32 v4, vcc_lo, v4
	v_cmp_gt_i64_e32 vcc, 0, v[35:36]
	v_not_b32_e32 v1, v36
	v_ashrrev_i32_e32 v1, 31, v1
	v_and_b32_e32 v3, v3, v4
	v_xor_b32_e32 v4, vcc_hi, v1
	v_xor_b32_e32 v1, vcc_lo, v1
	; wave barrier
	ds_read_b32 v10, v11 offset:32
	v_and_b32_e32 v2, v2, v12
	v_and_b32_e32 v1, v3, v1
	;; [unrolled: 1-line block ×3, first 2 shown]
	v_mbcnt_lo_u32_b32 v3, v1, 0
	v_mbcnt_hi_u32_b32 v12, v2, v3
	v_cmp_ne_u64_e32 vcc, 0, v[1:2]
	v_cmp_eq_u32_e64 s[28:29], 0, v12
	s_and_b64 s[40:41], vcc, s[28:29]
	; wave barrier
	s_and_saveexec_b64 s[28:29], s[40:41]
	s_cbranch_execz .LBB335_10
; %bb.9:                                ;   in Loop: Header=BB335_4 Depth=2
	v_bcnt_u32_b32 v1, v1, 0
	v_bcnt_u32_b32 v1, v2, v1
	s_waitcnt lgkmcnt(0)
	v_add_u32_e32 v1, v10, v1
	ds_write_b32 v11, v1 offset:32
.LBB335_10:                             ;   in Loop: Header=BB335_4 Depth=2
	s_or_b64 exec, exec, s[28:29]
	v_lshrrev_b64 v[1:2], v51, v[61:62]
	v_lshlrev_b32_e32 v2, 5, v1
	v_and_b32_e32 v2, 0x1fe0, v2
	v_add_u32_e32 v14, v76, v2
	v_and_b32_e32 v2, 1, v1
	v_add_co_u32_e32 v3, vcc, -1, v2
	v_addc_co_u32_e64 v4, s[28:29], 0, -1, vcc
	v_cmp_ne_u32_e32 vcc, 0, v2
	v_lshlrev_b32_e32 v36, 30, v1
	v_xor_b32_e32 v2, vcc_hi, v4
	v_xor_b32_e32 v3, vcc_lo, v3
	v_cmp_gt_i64_e32 vcc, 0, v[35:36]
	v_not_b32_e32 v4, v36
	v_ashrrev_i32_e32 v4, 31, v4
	v_and_b32_e32 v3, exec_lo, v3
	v_xor_b32_e32 v15, vcc_hi, v4
	v_xor_b32_e32 v4, vcc_lo, v4
	v_lshlrev_b32_e32 v36, 29, v1
	v_and_b32_e32 v3, v3, v4
	v_cmp_gt_i64_e32 vcc, 0, v[35:36]
	v_not_b32_e32 v4, v36
	v_and_b32_e32 v2, exec_hi, v2
	v_ashrrev_i32_e32 v4, 31, v4
	v_and_b32_e32 v2, v2, v15
	v_xor_b32_e32 v15, vcc_hi, v4
	v_xor_b32_e32 v4, vcc_lo, v4
	v_lshlrev_b32_e32 v36, 28, v1
	v_and_b32_e32 v3, v3, v4
	v_cmp_gt_i64_e32 vcc, 0, v[35:36]
	v_not_b32_e32 v4, v36
	v_ashrrev_i32_e32 v4, 31, v4
	v_and_b32_e32 v2, v2, v15
	v_xor_b32_e32 v15, vcc_hi, v4
	v_xor_b32_e32 v4, vcc_lo, v4
	v_lshlrev_b32_e32 v36, 27, v1
	v_and_b32_e32 v3, v3, v4
	v_cmp_gt_i64_e32 vcc, 0, v[35:36]
	v_not_b32_e32 v4, v36
	;; [unrolled: 8-line block ×4, first 2 shown]
	v_ashrrev_i32_e32 v4, 31, v4
	v_lshlrev_b32_e32 v36, 24, v1
	v_and_b32_e32 v2, v2, v15
	v_xor_b32_e32 v15, vcc_hi, v4
	v_xor_b32_e32 v4, vcc_lo, v4
	v_cmp_gt_i64_e32 vcc, 0, v[35:36]
	v_not_b32_e32 v1, v36
	v_ashrrev_i32_e32 v1, 31, v1
	v_and_b32_e32 v3, v3, v4
	v_xor_b32_e32 v4, vcc_hi, v1
	v_xor_b32_e32 v1, vcc_lo, v1
	; wave barrier
	ds_read_b32 v13, v14 offset:32
	v_and_b32_e32 v2, v2, v15
	v_and_b32_e32 v1, v3, v1
	;; [unrolled: 1-line block ×3, first 2 shown]
	v_mbcnt_lo_u32_b32 v3, v1, 0
	v_mbcnt_hi_u32_b32 v15, v2, v3
	v_cmp_ne_u64_e32 vcc, 0, v[1:2]
	v_cmp_eq_u32_e64 s[28:29], 0, v15
	s_and_b64 s[40:41], vcc, s[28:29]
	; wave barrier
	s_and_saveexec_b64 s[28:29], s[40:41]
	s_cbranch_execz .LBB335_12
; %bb.11:                               ;   in Loop: Header=BB335_4 Depth=2
	v_bcnt_u32_b32 v1, v1, 0
	v_bcnt_u32_b32 v1, v2, v1
	s_waitcnt lgkmcnt(0)
	v_add_u32_e32 v1, v13, v1
	ds_write_b32 v14, v1 offset:32
.LBB335_12:                             ;   in Loop: Header=BB335_4 Depth=2
	s_or_b64 exec, exec, s[28:29]
	v_lshrrev_b64 v[1:2], v51, v[59:60]
	v_lshlrev_b32_e32 v2, 5, v1
	v_and_b32_e32 v2, 0x1fe0, v2
	v_add_u32_e32 v17, v76, v2
	v_and_b32_e32 v2, 1, v1
	v_add_co_u32_e32 v3, vcc, -1, v2
	v_addc_co_u32_e64 v4, s[28:29], 0, -1, vcc
	v_cmp_ne_u32_e32 vcc, 0, v2
	v_lshlrev_b32_e32 v36, 30, v1
	v_xor_b32_e32 v2, vcc_hi, v4
	v_xor_b32_e32 v3, vcc_lo, v3
	v_cmp_gt_i64_e32 vcc, 0, v[35:36]
	v_not_b32_e32 v4, v36
	v_ashrrev_i32_e32 v4, 31, v4
	v_and_b32_e32 v3, exec_lo, v3
	v_xor_b32_e32 v18, vcc_hi, v4
	v_xor_b32_e32 v4, vcc_lo, v4
	v_lshlrev_b32_e32 v36, 29, v1
	v_and_b32_e32 v3, v3, v4
	v_cmp_gt_i64_e32 vcc, 0, v[35:36]
	v_not_b32_e32 v4, v36
	v_and_b32_e32 v2, exec_hi, v2
	v_ashrrev_i32_e32 v4, 31, v4
	v_and_b32_e32 v2, v2, v18
	v_xor_b32_e32 v18, vcc_hi, v4
	v_xor_b32_e32 v4, vcc_lo, v4
	v_lshlrev_b32_e32 v36, 28, v1
	v_and_b32_e32 v3, v3, v4
	v_cmp_gt_i64_e32 vcc, 0, v[35:36]
	v_not_b32_e32 v4, v36
	v_ashrrev_i32_e32 v4, 31, v4
	v_and_b32_e32 v2, v2, v18
	v_xor_b32_e32 v18, vcc_hi, v4
	v_xor_b32_e32 v4, vcc_lo, v4
	v_lshlrev_b32_e32 v36, 27, v1
	v_and_b32_e32 v3, v3, v4
	v_cmp_gt_i64_e32 vcc, 0, v[35:36]
	v_not_b32_e32 v4, v36
	v_ashrrev_i32_e32 v4, 31, v4
	v_and_b32_e32 v2, v2, v18
	v_xor_b32_e32 v18, vcc_hi, v4
	v_xor_b32_e32 v4, vcc_lo, v4
	v_lshlrev_b32_e32 v36, 26, v1
	v_and_b32_e32 v3, v3, v4
	v_cmp_gt_i64_e32 vcc, 0, v[35:36]
	v_not_b32_e32 v4, v36
	v_ashrrev_i32_e32 v4, 31, v4
	v_and_b32_e32 v2, v2, v18
	v_xor_b32_e32 v18, vcc_hi, v4
	v_xor_b32_e32 v4, vcc_lo, v4
	v_lshlrev_b32_e32 v36, 25, v1
	v_and_b32_e32 v3, v3, v4
	v_cmp_gt_i64_e32 vcc, 0, v[35:36]
	v_not_b32_e32 v4, v36
	v_ashrrev_i32_e32 v4, 31, v4
	v_lshlrev_b32_e32 v36, 24, v1
	v_and_b32_e32 v2, v2, v18
	v_xor_b32_e32 v18, vcc_hi, v4
	v_xor_b32_e32 v4, vcc_lo, v4
	v_cmp_gt_i64_e32 vcc, 0, v[35:36]
	v_not_b32_e32 v1, v36
	v_ashrrev_i32_e32 v1, 31, v1
	v_and_b32_e32 v3, v3, v4
	v_xor_b32_e32 v4, vcc_hi, v1
	v_xor_b32_e32 v1, vcc_lo, v1
	; wave barrier
	ds_read_b32 v16, v17 offset:32
	v_and_b32_e32 v2, v2, v18
	v_and_b32_e32 v1, v3, v1
	;; [unrolled: 1-line block ×3, first 2 shown]
	v_mbcnt_lo_u32_b32 v3, v1, 0
	v_mbcnt_hi_u32_b32 v18, v2, v3
	v_cmp_ne_u64_e32 vcc, 0, v[1:2]
	v_cmp_eq_u32_e64 s[28:29], 0, v18
	s_and_b64 s[40:41], vcc, s[28:29]
	; wave barrier
	s_and_saveexec_b64 s[28:29], s[40:41]
	s_cbranch_execz .LBB335_14
; %bb.13:                               ;   in Loop: Header=BB335_4 Depth=2
	v_bcnt_u32_b32 v1, v1, 0
	v_bcnt_u32_b32 v1, v2, v1
	s_waitcnt lgkmcnt(0)
	v_add_u32_e32 v1, v16, v1
	ds_write_b32 v17, v1 offset:32
.LBB335_14:                             ;   in Loop: Header=BB335_4 Depth=2
	s_or_b64 exec, exec, s[28:29]
	v_lshrrev_b64 v[1:2], v51, v[57:58]
	v_lshlrev_b32_e32 v2, 5, v1
	v_and_b32_e32 v2, 0x1fe0, v2
	v_add_u32_e32 v20, v76, v2
	v_and_b32_e32 v2, 1, v1
	v_add_co_u32_e32 v3, vcc, -1, v2
	v_addc_co_u32_e64 v4, s[28:29], 0, -1, vcc
	v_cmp_ne_u32_e32 vcc, 0, v2
	v_lshlrev_b32_e32 v36, 30, v1
	v_xor_b32_e32 v2, vcc_hi, v4
	v_xor_b32_e32 v3, vcc_lo, v3
	v_cmp_gt_i64_e32 vcc, 0, v[35:36]
	v_not_b32_e32 v4, v36
	v_ashrrev_i32_e32 v4, 31, v4
	v_and_b32_e32 v3, exec_lo, v3
	v_xor_b32_e32 v21, vcc_hi, v4
	v_xor_b32_e32 v4, vcc_lo, v4
	v_lshlrev_b32_e32 v36, 29, v1
	v_and_b32_e32 v3, v3, v4
	v_cmp_gt_i64_e32 vcc, 0, v[35:36]
	v_not_b32_e32 v4, v36
	v_and_b32_e32 v2, exec_hi, v2
	v_ashrrev_i32_e32 v4, 31, v4
	v_and_b32_e32 v2, v2, v21
	v_xor_b32_e32 v21, vcc_hi, v4
	v_xor_b32_e32 v4, vcc_lo, v4
	v_lshlrev_b32_e32 v36, 28, v1
	v_and_b32_e32 v3, v3, v4
	v_cmp_gt_i64_e32 vcc, 0, v[35:36]
	v_not_b32_e32 v4, v36
	v_ashrrev_i32_e32 v4, 31, v4
	v_and_b32_e32 v2, v2, v21
	v_xor_b32_e32 v21, vcc_hi, v4
	v_xor_b32_e32 v4, vcc_lo, v4
	v_lshlrev_b32_e32 v36, 27, v1
	v_and_b32_e32 v3, v3, v4
	v_cmp_gt_i64_e32 vcc, 0, v[35:36]
	v_not_b32_e32 v4, v36
	;; [unrolled: 8-line block ×4, first 2 shown]
	v_ashrrev_i32_e32 v4, 31, v4
	v_lshlrev_b32_e32 v36, 24, v1
	v_and_b32_e32 v2, v2, v21
	v_xor_b32_e32 v21, vcc_hi, v4
	v_xor_b32_e32 v4, vcc_lo, v4
	v_cmp_gt_i64_e32 vcc, 0, v[35:36]
	v_not_b32_e32 v1, v36
	v_ashrrev_i32_e32 v1, 31, v1
	v_and_b32_e32 v3, v3, v4
	v_xor_b32_e32 v4, vcc_hi, v1
	v_xor_b32_e32 v1, vcc_lo, v1
	; wave barrier
	ds_read_b32 v19, v20 offset:32
	v_and_b32_e32 v2, v2, v21
	v_and_b32_e32 v1, v3, v1
	;; [unrolled: 1-line block ×3, first 2 shown]
	v_mbcnt_lo_u32_b32 v3, v1, 0
	v_mbcnt_hi_u32_b32 v21, v2, v3
	v_cmp_ne_u64_e32 vcc, 0, v[1:2]
	v_cmp_eq_u32_e64 s[28:29], 0, v21
	s_and_b64 s[40:41], vcc, s[28:29]
	; wave barrier
	s_and_saveexec_b64 s[28:29], s[40:41]
	s_cbranch_execz .LBB335_16
; %bb.15:                               ;   in Loop: Header=BB335_4 Depth=2
	v_bcnt_u32_b32 v1, v1, 0
	v_bcnt_u32_b32 v1, v2, v1
	s_waitcnt lgkmcnt(0)
	v_add_u32_e32 v1, v19, v1
	ds_write_b32 v20, v1 offset:32
.LBB335_16:                             ;   in Loop: Header=BB335_4 Depth=2
	s_or_b64 exec, exec, s[28:29]
	v_lshrrev_b64 v[1:2], v51, v[55:56]
	v_lshlrev_b32_e32 v2, 5, v1
	v_and_b32_e32 v2, 0x1fe0, v2
	v_add_u32_e32 v23, v76, v2
	v_and_b32_e32 v2, 1, v1
	v_add_co_u32_e32 v3, vcc, -1, v2
	v_addc_co_u32_e64 v4, s[28:29], 0, -1, vcc
	v_cmp_ne_u32_e32 vcc, 0, v2
	v_lshlrev_b32_e32 v36, 30, v1
	v_xor_b32_e32 v2, vcc_hi, v4
	v_xor_b32_e32 v3, vcc_lo, v3
	v_cmp_gt_i64_e32 vcc, 0, v[35:36]
	v_not_b32_e32 v4, v36
	v_ashrrev_i32_e32 v4, 31, v4
	v_and_b32_e32 v3, exec_lo, v3
	v_xor_b32_e32 v24, vcc_hi, v4
	v_xor_b32_e32 v4, vcc_lo, v4
	v_lshlrev_b32_e32 v36, 29, v1
	v_and_b32_e32 v3, v3, v4
	v_cmp_gt_i64_e32 vcc, 0, v[35:36]
	v_not_b32_e32 v4, v36
	v_and_b32_e32 v2, exec_hi, v2
	v_ashrrev_i32_e32 v4, 31, v4
	v_and_b32_e32 v2, v2, v24
	v_xor_b32_e32 v24, vcc_hi, v4
	v_xor_b32_e32 v4, vcc_lo, v4
	v_lshlrev_b32_e32 v36, 28, v1
	v_and_b32_e32 v3, v3, v4
	v_cmp_gt_i64_e32 vcc, 0, v[35:36]
	v_not_b32_e32 v4, v36
	v_ashrrev_i32_e32 v4, 31, v4
	v_and_b32_e32 v2, v2, v24
	v_xor_b32_e32 v24, vcc_hi, v4
	v_xor_b32_e32 v4, vcc_lo, v4
	v_lshlrev_b32_e32 v36, 27, v1
	v_and_b32_e32 v3, v3, v4
	v_cmp_gt_i64_e32 vcc, 0, v[35:36]
	v_not_b32_e32 v4, v36
	;; [unrolled: 8-line block ×4, first 2 shown]
	v_ashrrev_i32_e32 v4, 31, v4
	v_lshlrev_b32_e32 v36, 24, v1
	v_and_b32_e32 v2, v2, v24
	v_xor_b32_e32 v24, vcc_hi, v4
	v_xor_b32_e32 v4, vcc_lo, v4
	v_cmp_gt_i64_e32 vcc, 0, v[35:36]
	v_not_b32_e32 v1, v36
	v_ashrrev_i32_e32 v1, 31, v1
	v_and_b32_e32 v3, v3, v4
	v_xor_b32_e32 v4, vcc_hi, v1
	v_xor_b32_e32 v1, vcc_lo, v1
	; wave barrier
	ds_read_b32 v22, v23 offset:32
	v_and_b32_e32 v2, v2, v24
	v_and_b32_e32 v1, v3, v1
	;; [unrolled: 1-line block ×3, first 2 shown]
	v_mbcnt_lo_u32_b32 v3, v1, 0
	v_mbcnt_hi_u32_b32 v24, v2, v3
	v_cmp_ne_u64_e32 vcc, 0, v[1:2]
	v_cmp_eq_u32_e64 s[28:29], 0, v24
	s_and_b64 s[40:41], vcc, s[28:29]
	; wave barrier
	s_and_saveexec_b64 s[28:29], s[40:41]
	s_cbranch_execz .LBB335_18
; %bb.17:                               ;   in Loop: Header=BB335_4 Depth=2
	v_bcnt_u32_b32 v1, v1, 0
	v_bcnt_u32_b32 v1, v2, v1
	s_waitcnt lgkmcnt(0)
	v_add_u32_e32 v1, v22, v1
	ds_write_b32 v23, v1 offset:32
.LBB335_18:                             ;   in Loop: Header=BB335_4 Depth=2
	s_or_b64 exec, exec, s[28:29]
	v_lshrrev_b64 v[1:2], v51, v[53:54]
	v_lshlrev_b32_e32 v2, 5, v1
	v_and_b32_e32 v2, 0x1fe0, v2
	v_add_u32_e32 v26, v76, v2
	v_and_b32_e32 v2, 1, v1
	v_add_co_u32_e32 v3, vcc, -1, v2
	v_addc_co_u32_e64 v4, s[28:29], 0, -1, vcc
	v_cmp_ne_u32_e32 vcc, 0, v2
	v_lshlrev_b32_e32 v36, 30, v1
	v_xor_b32_e32 v2, vcc_hi, v4
	v_xor_b32_e32 v3, vcc_lo, v3
	v_cmp_gt_i64_e32 vcc, 0, v[35:36]
	v_not_b32_e32 v4, v36
	v_ashrrev_i32_e32 v4, 31, v4
	v_and_b32_e32 v3, exec_lo, v3
	v_xor_b32_e32 v27, vcc_hi, v4
	v_xor_b32_e32 v4, vcc_lo, v4
	v_lshlrev_b32_e32 v36, 29, v1
	v_and_b32_e32 v3, v3, v4
	v_cmp_gt_i64_e32 vcc, 0, v[35:36]
	v_not_b32_e32 v4, v36
	v_and_b32_e32 v2, exec_hi, v2
	v_ashrrev_i32_e32 v4, 31, v4
	v_and_b32_e32 v2, v2, v27
	v_xor_b32_e32 v27, vcc_hi, v4
	v_xor_b32_e32 v4, vcc_lo, v4
	v_lshlrev_b32_e32 v36, 28, v1
	v_and_b32_e32 v3, v3, v4
	v_cmp_gt_i64_e32 vcc, 0, v[35:36]
	v_not_b32_e32 v4, v36
	v_ashrrev_i32_e32 v4, 31, v4
	v_and_b32_e32 v2, v2, v27
	v_xor_b32_e32 v27, vcc_hi, v4
	v_xor_b32_e32 v4, vcc_lo, v4
	v_lshlrev_b32_e32 v36, 27, v1
	v_and_b32_e32 v3, v3, v4
	v_cmp_gt_i64_e32 vcc, 0, v[35:36]
	v_not_b32_e32 v4, v36
	;; [unrolled: 8-line block ×4, first 2 shown]
	v_ashrrev_i32_e32 v4, 31, v4
	v_lshlrev_b32_e32 v36, 24, v1
	v_and_b32_e32 v2, v2, v27
	v_xor_b32_e32 v27, vcc_hi, v4
	v_xor_b32_e32 v4, vcc_lo, v4
	v_cmp_gt_i64_e32 vcc, 0, v[35:36]
	v_not_b32_e32 v1, v36
	v_ashrrev_i32_e32 v1, 31, v1
	v_and_b32_e32 v3, v3, v4
	v_xor_b32_e32 v4, vcc_hi, v1
	v_xor_b32_e32 v1, vcc_lo, v1
	; wave barrier
	ds_read_b32 v25, v26 offset:32
	v_and_b32_e32 v2, v2, v27
	v_and_b32_e32 v1, v3, v1
	v_and_b32_e32 v2, v2, v4
	v_mbcnt_lo_u32_b32 v3, v1, 0
	v_mbcnt_hi_u32_b32 v27, v2, v3
	v_cmp_ne_u64_e32 vcc, 0, v[1:2]
	v_cmp_eq_u32_e64 s[28:29], 0, v27
	s_and_b64 s[40:41], vcc, s[28:29]
	; wave barrier
	s_and_saveexec_b64 s[28:29], s[40:41]
	s_cbranch_execz .LBB335_20
; %bb.19:                               ;   in Loop: Header=BB335_4 Depth=2
	v_bcnt_u32_b32 v1, v1, 0
	v_bcnt_u32_b32 v1, v2, v1
	s_waitcnt lgkmcnt(0)
	v_add_u32_e32 v1, v25, v1
	ds_write_b32 v26, v1 offset:32
.LBB335_20:                             ;   in Loop: Header=BB335_4 Depth=2
	s_or_b64 exec, exec, s[28:29]
	; wave barrier
	s_waitcnt lgkmcnt(0)
	s_barrier
	ds_read2_b64 v[1:4], v69 offset0:4 offset1:5
	s_waitcnt lgkmcnt(0)
	v_add_u32_e32 v28, v2, v1
	v_add3_u32 v4, v28, v3, v4
	s_nop 1
	v_mov_b32_dpp v28, v4 row_shr:1 row_mask:0xf bank_mask:0xf
	v_cndmask_b32_e64 v28, v28, 0, s[10:11]
	v_add_u32_e32 v4, v28, v4
	s_nop 1
	v_mov_b32_dpp v28, v4 row_shr:2 row_mask:0xf bank_mask:0xf
	v_cndmask_b32_e64 v28, 0, v28, s[12:13]
	v_add_u32_e32 v4, v4, v28
	;; [unrolled: 4-line block ×4, first 2 shown]
	s_nop 1
	v_mov_b32_dpp v28, v4 row_bcast:15 row_mask:0xf bank_mask:0xf
	v_cndmask_b32_e64 v28, v28, 0, s[18:19]
	v_add_u32_e32 v4, v4, v28
	s_nop 1
	v_mov_b32_dpp v28, v4 row_bcast:31 row_mask:0xf bank_mask:0xf
	v_cndmask_b32_e64 v28, 0, v28, s[6:7]
	v_add_u32_e32 v4, v4, v28
	s_and_saveexec_b64 s[28:29], s[20:21]
; %bb.21:                               ;   in Loop: Header=BB335_4 Depth=2
	ds_write_b32 v71, v4
; %bb.22:                               ;   in Loop: Header=BB335_4 Depth=2
	s_or_b64 exec, exec, s[28:29]
	s_waitcnt lgkmcnt(0)
	s_barrier
	s_and_saveexec_b64 s[28:29], s[0:1]
	s_cbranch_execz .LBB335_24
; %bb.23:                               ;   in Loop: Header=BB335_4 Depth=2
	ds_read_b32 v28, v72
	s_waitcnt lgkmcnt(0)
	s_nop 0
	v_mov_b32_dpp v29, v28 row_shr:1 row_mask:0xf bank_mask:0xf
	v_cndmask_b32_e64 v29, v29, 0, s[22:23]
	v_add_u32_e32 v28, v29, v28
	s_nop 1
	v_mov_b32_dpp v29, v28 row_shr:2 row_mask:0xf bank_mask:0xf
	v_cndmask_b32_e64 v29, 0, v29, s[24:25]
	v_add_u32_e32 v28, v28, v29
	;; [unrolled: 4-line block ×3, first 2 shown]
	ds_write_b32 v72, v28
.LBB335_24:                             ;   in Loop: Header=BB335_4 Depth=2
	s_or_b64 exec, exec, s[28:29]
	v_mov_b32_e32 v28, 0
	s_waitcnt lgkmcnt(0)
	s_barrier
	s_and_saveexec_b64 s[28:29], s[2:3]
; %bb.25:                               ;   in Loop: Header=BB335_4 Depth=2
	ds_read_b32 v28, v74
; %bb.26:                               ;   in Loop: Header=BB335_4 Depth=2
	s_or_b64 exec, exec, s[28:29]
	s_waitcnt lgkmcnt(0)
	v_add_u32_e32 v4, v28, v4
	ds_bpermute_b32 v4, v75, v4
	v_cmp_lt_u32_e32 vcc, 55, v51
	s_and_b64 vcc, exec, vcc
	s_mov_b64 s[28:29], -1
	s_waitcnt lgkmcnt(0)
	v_cndmask_b32_e64 v4, v4, v28, s[8:9]
	v_cndmask_b32_e64 v28, v4, 0, s[4:5]
	v_add_u32_e32 v29, v28, v1
	v_add_u32_e32 v1, v29, v2
	;; [unrolled: 1-line block ×3, first 2 shown]
	ds_write2_b64 v69, v[28:29], v[1:2] offset0:4 offset1:5
	s_waitcnt lgkmcnt(0)
	s_barrier
	ds_read_b32 v1, v5 offset:32
	ds_read_b32 v2, v8 offset:32
	;; [unrolled: 1-line block ×8, first 2 shown]
	s_waitcnt lgkmcnt(7)
	v_add_u32_e32 v84, v1, v6
	s_waitcnt lgkmcnt(6)
	v_add3_u32 v83, v9, v7, v2
	s_waitcnt lgkmcnt(5)
	v_add3_u32 v82, v12, v10, v3
	s_waitcnt lgkmcnt(4)
	v_add3_u32 v81, v15, v13, v4
	s_waitcnt lgkmcnt(3)
	v_add3_u32 v80, v18, v16, v5
	s_waitcnt lgkmcnt(2)
	v_add3_u32 v79, v21, v19, v8
	s_waitcnt lgkmcnt(1)
	v_add3_u32 v78, v24, v22, v11
	s_waitcnt lgkmcnt(0)
	v_add3_u32 v36, v27, v25, v14
                                        ; implicit-def: $vgpr15_vgpr16
                                        ; implicit-def: $vgpr11_vgpr12
                                        ; implicit-def: $vgpr7_vgpr8
                                        ; implicit-def: $vgpr3_vgpr4
                                        ; implicit-def: $vgpr31_vgpr32
                                        ; implicit-def: $vgpr27_vgpr28
                                        ; implicit-def: $vgpr23_vgpr24
                                        ; implicit-def: $vgpr19_vgpr20
	s_cbranch_vccnz .LBB335_3
; %bb.27:                               ;   in Loop: Header=BB335_4 Depth=2
	v_lshlrev_b32_e32 v17, 3, v84
	v_lshlrev_b32_e32 v18, 3, v83
	;; [unrolled: 1-line block ×8, first 2 shown]
	s_barrier
	ds_write_b64 v17, v[67:68]
	ds_write_b64 v18, v[65:66]
	;; [unrolled: 1-line block ×8, first 2 shown]
	s_waitcnt lgkmcnt(0)
	s_barrier
	ds_read2st64_b64 v[1:4], v73 offset1:1
	ds_read2st64_b64 v[5:8], v73 offset0:2 offset1:3
	ds_read2st64_b64 v[9:12], v73 offset0:4 offset1:5
	;; [unrolled: 1-line block ×3, first 2 shown]
	s_waitcnt lgkmcnt(0)
	s_barrier
	ds_write_b64 v17, v[49:50]
	ds_write_b64 v18, v[47:48]
	;; [unrolled: 1-line block ×8, first 2 shown]
	s_waitcnt lgkmcnt(0)
	s_barrier
	ds_read2st64_b64 v[17:20], v73 offset1:1
	ds_read2st64_b64 v[21:24], v73 offset0:2 offset1:3
	ds_read2st64_b64 v[25:28], v73 offset0:4 offset1:5
	;; [unrolled: 1-line block ×3, first 2 shown]
	v_add_co_u32_e32 v51, vcc, 8, v51
	v_addc_co_u32_e32 v52, vcc, 0, v52, vcc
	s_mov_b64 s[28:29], 0
	s_waitcnt lgkmcnt(0)
	s_barrier
	s_branch .LBB335_3
.LBB335_28:
	s_waitcnt lgkmcnt(3)
	v_add_co_u32_e32 v1, vcc, v15, v31
	v_addc_co_u32_e32 v2, vcc, v16, v32, vcc
	v_add_co_u32_e32 v15, vcc, v17, v33
	v_addc_co_u32_e32 v16, vcc, v18, v34, vcc
	s_waitcnt lgkmcnt(2)
	v_add_co_u32_e32 v11, vcc, v11, v27
	v_addc_co_u32_e32 v12, vcc, v12, v28, vcc
	v_add_co_u32_e32 v13, vcc, v13, v29
	v_addc_co_u32_e32 v14, vcc, v14, v30, vcc
	;; [unrolled: 5-line block ×3, first 2 shown]
	s_waitcnt lgkmcnt(0)
	v_add_co_u32_e32 v3, vcc, v3, v19
	v_addc_co_u32_e32 v4, vcc, v4, v20, vcc
	v_add_co_u32_e32 v5, vcc, v5, v21
	s_add_u32 s0, s30, s34
	v_addc_co_u32_e32 v6, vcc, v6, v22, vcc
	s_addc_u32 s1, s31, s35
	v_lshlrev_b32_e32 v0, 3, v0
	v_mov_b32_e32 v17, s1
	v_add_co_u32_e32 v18, vcc, s0, v0
	v_addc_co_u32_e32 v17, vcc, 0, v17, vcc
	global_store_dwordx2 v0, v[1:2], s[0:1]
	s_movk_i32 s0, 0x2000
	v_add_co_u32_e32 v0, vcc, s0, v18
	v_addc_co_u32_e32 v1, vcc, 0, v17, vcc
	s_movk_i32 s0, 0x4000
	global_store_dwordx2 v[0:1], v[15:16], off offset:-4096
	global_store_dwordx2 v[0:1], v[11:12], off
	v_add_co_u32_e32 v0, vcc, s0, v18
	v_addc_co_u32_e32 v1, vcc, 0, v17, vcc
	s_movk_i32 s0, 0x5000
	global_store_dwordx2 v[0:1], v[13:14], off offset:-4096
	global_store_dwordx2 v[0:1], v[7:8], off
	v_add_co_u32_e32 v0, vcc, s0, v18
	v_addc_co_u32_e32 v1, vcc, 0, v17, vcc
	global_store_dwordx2 v[0:1], v[9:10], off
	v_add_co_u32_e32 v0, vcc, 0x6000, v18
	v_addc_co_u32_e32 v1, vcc, 0, v17, vcc
	;; [unrolled: 3-line block ×3, first 2 shown]
	global_store_dwordx2 v[0:1], v[5:6], off
	s_endpgm
	.section	.rodata,"a",@progbits
	.p2align	6, 0x0
	.amdhsa_kernel _Z17sort_pairs_kernelI22helper_blocked_stripedxLj512ELj8ELj10EEvPKT0_PS1_
		.amdhsa_group_segment_fixed_size 32768
		.amdhsa_private_segment_fixed_size 0
		.amdhsa_kernarg_size 272
		.amdhsa_user_sgpr_count 6
		.amdhsa_user_sgpr_private_segment_buffer 1
		.amdhsa_user_sgpr_dispatch_ptr 0
		.amdhsa_user_sgpr_queue_ptr 0
		.amdhsa_user_sgpr_kernarg_segment_ptr 1
		.amdhsa_user_sgpr_dispatch_id 0
		.amdhsa_user_sgpr_flat_scratch_init 0
		.amdhsa_user_sgpr_private_segment_size 0
		.amdhsa_uses_dynamic_stack 0
		.amdhsa_system_sgpr_private_segment_wavefront_offset 0
		.amdhsa_system_sgpr_workgroup_id_x 1
		.amdhsa_system_sgpr_workgroup_id_y 0
		.amdhsa_system_sgpr_workgroup_id_z 0
		.amdhsa_system_sgpr_workgroup_info 0
		.amdhsa_system_vgpr_workitem_id 2
		.amdhsa_next_free_vgpr 85
		.amdhsa_next_free_sgpr 98
		.amdhsa_reserve_vcc 1
		.amdhsa_reserve_flat_scratch 0
		.amdhsa_float_round_mode_32 0
		.amdhsa_float_round_mode_16_64 0
		.amdhsa_float_denorm_mode_32 3
		.amdhsa_float_denorm_mode_16_64 3
		.amdhsa_dx10_clamp 1
		.amdhsa_ieee_mode 1
		.amdhsa_fp16_overflow 0
		.amdhsa_exception_fp_ieee_invalid_op 0
		.amdhsa_exception_fp_denorm_src 0
		.amdhsa_exception_fp_ieee_div_zero 0
		.amdhsa_exception_fp_ieee_overflow 0
		.amdhsa_exception_fp_ieee_underflow 0
		.amdhsa_exception_fp_ieee_inexact 0
		.amdhsa_exception_int_div_zero 0
	.end_amdhsa_kernel
	.section	.text._Z17sort_pairs_kernelI22helper_blocked_stripedxLj512ELj8ELj10EEvPKT0_PS1_,"axG",@progbits,_Z17sort_pairs_kernelI22helper_blocked_stripedxLj512ELj8ELj10EEvPKT0_PS1_,comdat
.Lfunc_end335:
	.size	_Z17sort_pairs_kernelI22helper_blocked_stripedxLj512ELj8ELj10EEvPKT0_PS1_, .Lfunc_end335-_Z17sort_pairs_kernelI22helper_blocked_stripedxLj512ELj8ELj10EEvPKT0_PS1_
                                        ; -- End function
	.set _Z17sort_pairs_kernelI22helper_blocked_stripedxLj512ELj8ELj10EEvPKT0_PS1_.num_vgpr, 85
	.set _Z17sort_pairs_kernelI22helper_blocked_stripedxLj512ELj8ELj10EEvPKT0_PS1_.num_agpr, 0
	.set _Z17sort_pairs_kernelI22helper_blocked_stripedxLj512ELj8ELj10EEvPKT0_PS1_.numbered_sgpr, 42
	.set _Z17sort_pairs_kernelI22helper_blocked_stripedxLj512ELj8ELj10EEvPKT0_PS1_.num_named_barrier, 0
	.set _Z17sort_pairs_kernelI22helper_blocked_stripedxLj512ELj8ELj10EEvPKT0_PS1_.private_seg_size, 0
	.set _Z17sort_pairs_kernelI22helper_blocked_stripedxLj512ELj8ELj10EEvPKT0_PS1_.uses_vcc, 1
	.set _Z17sort_pairs_kernelI22helper_blocked_stripedxLj512ELj8ELj10EEvPKT0_PS1_.uses_flat_scratch, 0
	.set _Z17sort_pairs_kernelI22helper_blocked_stripedxLj512ELj8ELj10EEvPKT0_PS1_.has_dyn_sized_stack, 0
	.set _Z17sort_pairs_kernelI22helper_blocked_stripedxLj512ELj8ELj10EEvPKT0_PS1_.has_recursion, 0
	.set _Z17sort_pairs_kernelI22helper_blocked_stripedxLj512ELj8ELj10EEvPKT0_PS1_.has_indirect_call, 0
	.section	.AMDGPU.csdata,"",@progbits
; Kernel info:
; codeLenInByte = 5168
; TotalNumSgprs: 46
; NumVgprs: 85
; ScratchSize: 0
; MemoryBound: 0
; FloatMode: 240
; IeeeMode: 1
; LDSByteSize: 32768 bytes/workgroup (compile time only)
; SGPRBlocks: 12
; VGPRBlocks: 21
; NumSGPRsForWavesPerEU: 102
; NumVGPRsForWavesPerEU: 85
; Occupancy: 2
; WaveLimiterHint : 1
; COMPUTE_PGM_RSRC2:SCRATCH_EN: 0
; COMPUTE_PGM_RSRC2:USER_SGPR: 6
; COMPUTE_PGM_RSRC2:TRAP_HANDLER: 0
; COMPUTE_PGM_RSRC2:TGID_X_EN: 1
; COMPUTE_PGM_RSRC2:TGID_Y_EN: 0
; COMPUTE_PGM_RSRC2:TGID_Z_EN: 0
; COMPUTE_PGM_RSRC2:TIDIG_COMP_CNT: 2
	.section	.text._Z16sort_keys_kernelI22helper_blocked_stripedN15benchmark_utils11custom_typeIiiEELj64ELj1ELj10EEvPKT0_PS4_,"axG",@progbits,_Z16sort_keys_kernelI22helper_blocked_stripedN15benchmark_utils11custom_typeIiiEELj64ELj1ELj10EEvPKT0_PS4_,comdat
	.protected	_Z16sort_keys_kernelI22helper_blocked_stripedN15benchmark_utils11custom_typeIiiEELj64ELj1ELj10EEvPKT0_PS4_ ; -- Begin function _Z16sort_keys_kernelI22helper_blocked_stripedN15benchmark_utils11custom_typeIiiEELj64ELj1ELj10EEvPKT0_PS4_
	.globl	_Z16sort_keys_kernelI22helper_blocked_stripedN15benchmark_utils11custom_typeIiiEELj64ELj1ELj10EEvPKT0_PS4_
	.p2align	8
	.type	_Z16sort_keys_kernelI22helper_blocked_stripedN15benchmark_utils11custom_typeIiiEELj64ELj1ELj10EEvPKT0_PS4_,@function
_Z16sort_keys_kernelI22helper_blocked_stripedN15benchmark_utils11custom_typeIiiEELj64ELj1ELj10EEvPKT0_PS4_: ; @_Z16sort_keys_kernelI22helper_blocked_stripedN15benchmark_utils11custom_typeIiiEELj64ELj1ELj10EEvPKT0_PS4_
; %bb.0:
	s_load_dwordx4 s[16:19], s[4:5], 0x0
	s_load_dword s24, s[4:5], 0x1c
	s_lshl_b32 s0, s6, 6
	s_mov_b32 s1, 0
	s_lshl_b64 s[20:21], s[0:1], 3
	s_waitcnt lgkmcnt(0)
	s_add_u32 s0, s16, s20
	s_addc_u32 s1, s17, s21
	v_lshlrev_b32_e32 v6, 3, v0
	global_load_dwordx2 v[4:5], v6, s[0:1]
	v_mbcnt_lo_u32_b32 v7, -1, 0
	v_mbcnt_hi_u32_b32 v7, -1, v7
	s_lshr_b32 s25, s24, 16
	v_subrev_co_u32_e64 v19, s[14:15], 1, v7
	v_and_b32_e32 v20, 64, v7
	s_and_b32 s24, s24, 0xffff
	v_mad_u32_u24 v1, v2, s25, v1
	v_cmp_lt_i32_e64 s[16:17], v19, v20
	v_mad_u32_u24 v1, v1, s24, v0
	v_lshlrev_b32_e32 v15, 4, v0
	v_cmp_eq_u32_e64 s[12:13], 0, v0
	v_and_b32_e32 v17, 15, v7
	v_and_b32_e32 v18, 16, v7
	v_cmp_lt_u32_e64 s[0:1], 31, v7
	v_lshlrev_b32_e32 v16, 3, v7
	v_sub_u32_e32 v6, 0, v6
	v_cndmask_b32_e64 v7, v19, v7, s[16:17]
	v_lshrrev_b32_e32 v1, 4, v1
	v_mov_b32_e32 v3, 0
	s_mov_b32 s22, 10
	s_movk_i32 s23, 0xff
	v_mov_b32_e32 v8, 1
	v_mov_b32_e32 v9, 30
	;; [unrolled: 1-line block ×7, first 2 shown]
	v_cmp_eq_u32_e32 vcc, 63, v0
	v_cmp_eq_u32_e64 s[2:3], 0, v17
	v_cmp_lt_u32_e64 s[4:5], 1, v17
	v_cmp_lt_u32_e64 s[6:7], 3, v17
	;; [unrolled: 1-line block ×3, first 2 shown]
	v_cmp_eq_u32_e64 s[10:11], 0, v18
	v_add_u32_e32 v17, v15, v6
	v_lshlrev_b32_e32 v18, 2, v7
	s_or_b64 s[16:17], s[12:13], s[14:15]
	v_and_b32_e32 v19, 0xffffffc, v1
	v_mov_b32_e32 v20, 24
	s_waitcnt vmcnt(0)
	v_xor_b32_e32 v1, 0x80000000, v4
	v_xor_b32_e32 v2, 0x80000000, v5
	s_branch .LBB336_2
.LBB336_1:                              ;   in Loop: Header=BB336_2 Depth=1
	s_or_b64 exec, exec, s[12:13]
	ds_bpermute_b32 v5, v18, v5
	s_waitcnt lgkmcnt(0)
	; wave barrier
	s_add_i32 s22, s22, -1
	s_cmp_eq_u32 s22, 0
	v_cndmask_b32_e64 v5, v5, 0, s[16:17]
	v_add_u32_e32 v6, v5, v6
	v_add_u32_e32 v7, v6, v7
	;; [unrolled: 1-line block ×3, first 2 shown]
	ds_write2_b32 v15, v5, v6 offset0:1 offset1:2
	ds_write2_b32 v15, v7, v4 offset0:3 offset1:4
	s_waitcnt lgkmcnt(0)
	; wave barrier
	ds_read_b32 v4, v21 offset:4
	v_lshlrev_b32_e32 v5, 3, v22
	s_waitcnt lgkmcnt(0)
	; wave barrier
	v_lshl_add_u32 v4, v4, 3, v5
	ds_write_b64 v4, v[1:2]
	s_waitcnt lgkmcnt(0)
	; wave barrier
	ds_read_b64 v[1:2], v17
	s_cbranch_scc1 .LBB336_34
.LBB336_2:                              ; =>This Inner Loop Header: Depth=1
	s_waitcnt lgkmcnt(0)
	v_and_b32_e32 v4, 0xff, v2
	v_lshl_add_u32 v21, v4, 2, v19
	v_and_b32_e32 v4, 1, v2
	v_add_co_u32_e64 v5, s[12:13], -1, v4
	v_addc_co_u32_e64 v6, s[12:13], 0, -1, s[12:13]
	v_cmp_ne_u32_e64 s[12:13], 0, v4
	v_xor_b32_e32 v4, s13, v6
	v_and_b32_e32 v6, exec_hi, v4
	v_lshlrev_b32_e32 v4, 30, v2
	v_xor_b32_e32 v5, s12, v5
	v_cmp_gt_i64_e64 s[12:13], 0, v[3:4]
	v_not_b32_e32 v4, v4
	v_ashrrev_i32_e32 v4, 31, v4
	v_and_b32_e32 v5, exec_lo, v5
	v_xor_b32_e32 v7, s13, v4
	v_xor_b32_e32 v4, s12, v4
	v_and_b32_e32 v5, v5, v4
	v_lshlrev_b32_e32 v4, 29, v2
	v_cmp_gt_i64_e64 s[12:13], 0, v[3:4]
	v_not_b32_e32 v4, v4
	v_ashrrev_i32_e32 v4, 31, v4
	v_and_b32_e32 v6, v6, v7
	v_xor_b32_e32 v7, s13, v4
	v_xor_b32_e32 v4, s12, v4
	v_and_b32_e32 v5, v5, v4
	v_lshlrev_b32_e32 v4, 28, v2
	v_cmp_gt_i64_e64 s[12:13], 0, v[3:4]
	v_not_b32_e32 v4, v4
	v_ashrrev_i32_e32 v4, 31, v4
	v_and_b32_e32 v6, v6, v7
	;; [unrolled: 8-line block ×5, first 2 shown]
	v_xor_b32_e32 v7, s13, v4
	v_xor_b32_e32 v4, s12, v4
	v_and_b32_e32 v6, v6, v7
	v_and_b32_e32 v7, v5, v4
	v_lshlrev_b32_e32 v4, 24, v2
	v_cmp_gt_i64_e64 s[12:13], 0, v[3:4]
	v_not_b32_e32 v4, v4
	v_ashrrev_i32_e32 v4, 31, v4
	v_xor_b32_e32 v5, s13, v4
	v_xor_b32_e32 v4, s12, v4
	v_and_b32_e32 v4, v7, v4
	v_and_b32_e32 v5, v6, v5
	v_mbcnt_lo_u32_b32 v6, v4, 0
	v_mbcnt_hi_u32_b32 v22, v5, v6
	v_cmp_ne_u64_e64 s[12:13], 0, v[4:5]
	v_cmp_eq_u32_e64 s[14:15], 0, v22
	s_and_b64 s[14:15], s[14:15], s[12:13]
	ds_write2_b32 v15, v3, v3 offset0:1 offset1:2
	ds_write2_b32 v15, v3, v3 offset0:3 offset1:4
	s_waitcnt lgkmcnt(0)
	; wave barrier
	; wave barrier
	s_and_saveexec_b64 s[12:13], s[14:15]
; %bb.3:                                ;   in Loop: Header=BB336_2 Depth=1
	v_bcnt_u32_b32 v4, v4, 0
	v_bcnt_u32_b32 v4, v5, v4
	ds_write_b32 v21, v4 offset:4
; %bb.4:                                ;   in Loop: Header=BB336_2 Depth=1
	s_or_b64 exec, exec, s[12:13]
	; wave barrier
	s_waitcnt lgkmcnt(0)
	; wave barrier
	ds_read2_b32 v[6:7], v15 offset0:1 offset1:2
	ds_read2_b32 v[4:5], v15 offset0:3 offset1:4
	s_waitcnt lgkmcnt(1)
	v_add_u32_e32 v23, v7, v6
	s_waitcnt lgkmcnt(0)
	v_add3_u32 v5, v23, v4, v5
	s_nop 1
	v_mov_b32_dpp v23, v5 row_shr:1 row_mask:0xf bank_mask:0xf
	v_cndmask_b32_e64 v23, v23, 0, s[2:3]
	v_add_u32_e32 v5, v23, v5
	s_nop 1
	v_mov_b32_dpp v23, v5 row_shr:2 row_mask:0xf bank_mask:0xf
	v_cndmask_b32_e64 v23, 0, v23, s[4:5]
	v_add_u32_e32 v5, v5, v23
	;; [unrolled: 4-line block ×4, first 2 shown]
	s_nop 1
	v_mov_b32_dpp v23, v5 row_bcast:15 row_mask:0xf bank_mask:0xf
	v_cndmask_b32_e64 v23, v23, 0, s[10:11]
	v_add_u32_e32 v5, v5, v23
	s_nop 1
	v_mov_b32_dpp v23, v5 row_bcast:31 row_mask:0xf bank_mask:0xf
	v_cndmask_b32_e64 v23, 0, v23, s[0:1]
	v_add_u32_e32 v5, v5, v23
	s_and_saveexec_b64 s[12:13], vcc
; %bb.5:                                ;   in Loop: Header=BB336_2 Depth=1
	ds_write_b32 v3, v5
; %bb.6:                                ;   in Loop: Header=BB336_2 Depth=1
	s_or_b64 exec, exec, s[12:13]
	ds_bpermute_b32 v5, v18, v5
	s_waitcnt lgkmcnt(0)
	; wave barrier
	v_cndmask_b32_e64 v5, v5, 0, s[16:17]
	v_add_u32_e32 v6, v5, v6
	v_add_u32_e32 v7, v6, v7
	;; [unrolled: 1-line block ×3, first 2 shown]
	ds_write2_b32 v15, v5, v6 offset0:1 offset1:2
	ds_write2_b32 v15, v7, v4 offset0:3 offset1:4
	s_waitcnt lgkmcnt(0)
	; wave barrier
	ds_read_b32 v4, v21 offset:4
	v_lshlrev_b32_e32 v5, 3, v22
	s_waitcnt lgkmcnt(0)
	; wave barrier
	v_lshl_add_u32 v4, v4, 3, v5
	ds_write_b64 v4, v[1:2]
	s_waitcnt lgkmcnt(0)
	; wave barrier
	ds_read_b64 v[1:2], v16
	s_waitcnt lgkmcnt(0)
	; wave barrier
	ds_write2_b32 v15, v3, v3 offset0:1 offset1:2
	ds_write2_b32 v15, v3, v3 offset0:3 offset1:4
	s_waitcnt lgkmcnt(0)
	v_lshrrev_b32_e32 v5, 8, v2
	v_and_b32_e32 v4, 0xff, v5
	v_lshl_add_u32 v21, v4, 2, v19
	v_and_b32_e32 v4, 1, v5
	v_add_co_u32_e64 v6, s[12:13], -1, v4
	v_addc_co_u32_e64 v7, s[12:13], 0, -1, s[12:13]
	v_cmp_ne_u32_e64 s[12:13], 0, v4
	v_xor_b32_e32 v4, s13, v7
	v_and_b32_e32 v7, exec_hi, v4
	v_lshlrev_b32_e32 v4, 30, v5
	v_xor_b32_e32 v6, s12, v6
	v_cmp_gt_i64_e64 s[12:13], 0, v[3:4]
	v_not_b32_e32 v4, v4
	v_ashrrev_i32_e32 v4, 31, v4
	v_and_b32_e32 v6, exec_lo, v6
	v_xor_b32_e32 v22, s13, v4
	v_xor_b32_e32 v4, s12, v4
	v_and_b32_e32 v6, v6, v4
	v_lshlrev_b32_e32 v4, 29, v5
	v_cmp_gt_i64_e64 s[12:13], 0, v[3:4]
	v_not_b32_e32 v4, v4
	v_ashrrev_i32_e32 v4, 31, v4
	v_and_b32_e32 v7, v7, v22
	v_xor_b32_e32 v22, s13, v4
	v_xor_b32_e32 v4, s12, v4
	v_and_b32_e32 v6, v6, v4
	v_lshlrev_b32_e32 v4, 28, v5
	v_cmp_gt_i64_e64 s[12:13], 0, v[3:4]
	v_not_b32_e32 v4, v4
	v_ashrrev_i32_e32 v4, 31, v4
	v_and_b32_e32 v7, v7, v22
	;; [unrolled: 8-line block ×5, first 2 shown]
	v_xor_b32_e32 v22, s13, v4
	v_xor_b32_e32 v4, s12, v4
	v_and_b32_e32 v6, v6, v4
	v_lshlrev_b32_e32 v4, 24, v5
	v_cmp_gt_i64_e64 s[12:13], 0, v[3:4]
	v_not_b32_e32 v4, v4
	v_ashrrev_i32_e32 v4, 31, v4
	v_xor_b32_e32 v5, s13, v4
	v_xor_b32_e32 v4, s12, v4
	v_and_b32_e32 v7, v7, v22
	v_and_b32_e32 v4, v6, v4
	;; [unrolled: 1-line block ×3, first 2 shown]
	v_mbcnt_lo_u32_b32 v6, v4, 0
	v_mbcnt_hi_u32_b32 v22, v5, v6
	v_cmp_ne_u64_e64 s[12:13], 0, v[4:5]
	v_cmp_eq_u32_e64 s[14:15], 0, v22
	s_and_b64 s[14:15], s[14:15], s[12:13]
	; wave barrier
	; wave barrier
	s_and_saveexec_b64 s[12:13], s[14:15]
; %bb.7:                                ;   in Loop: Header=BB336_2 Depth=1
	v_bcnt_u32_b32 v4, v4, 0
	v_bcnt_u32_b32 v4, v5, v4
	ds_write_b32 v21, v4 offset:4
; %bb.8:                                ;   in Loop: Header=BB336_2 Depth=1
	s_or_b64 exec, exec, s[12:13]
	; wave barrier
	s_waitcnt lgkmcnt(0)
	; wave barrier
	ds_read2_b32 v[6:7], v15 offset0:1 offset1:2
	ds_read2_b32 v[4:5], v15 offset0:3 offset1:4
	s_waitcnt lgkmcnt(1)
	v_add_u32_e32 v23, v7, v6
	s_waitcnt lgkmcnt(0)
	v_add3_u32 v5, v23, v4, v5
	s_nop 1
	v_mov_b32_dpp v23, v5 row_shr:1 row_mask:0xf bank_mask:0xf
	v_cndmask_b32_e64 v23, v23, 0, s[2:3]
	v_add_u32_e32 v5, v23, v5
	s_nop 1
	v_mov_b32_dpp v23, v5 row_shr:2 row_mask:0xf bank_mask:0xf
	v_cndmask_b32_e64 v23, 0, v23, s[4:5]
	v_add_u32_e32 v5, v5, v23
	;; [unrolled: 4-line block ×4, first 2 shown]
	s_nop 1
	v_mov_b32_dpp v23, v5 row_bcast:15 row_mask:0xf bank_mask:0xf
	v_cndmask_b32_e64 v23, v23, 0, s[10:11]
	v_add_u32_e32 v5, v5, v23
	s_nop 1
	v_mov_b32_dpp v23, v5 row_bcast:31 row_mask:0xf bank_mask:0xf
	v_cndmask_b32_e64 v23, 0, v23, s[0:1]
	v_add_u32_e32 v5, v5, v23
	s_and_saveexec_b64 s[12:13], vcc
; %bb.9:                                ;   in Loop: Header=BB336_2 Depth=1
	ds_write_b32 v3, v5
; %bb.10:                               ;   in Loop: Header=BB336_2 Depth=1
	s_or_b64 exec, exec, s[12:13]
	ds_bpermute_b32 v5, v18, v5
	s_waitcnt lgkmcnt(0)
	; wave barrier
	v_cndmask_b32_e64 v5, v5, 0, s[16:17]
	v_add_u32_e32 v6, v5, v6
	v_add_u32_e32 v7, v6, v7
	;; [unrolled: 1-line block ×3, first 2 shown]
	ds_write2_b32 v15, v5, v6 offset0:1 offset1:2
	ds_write2_b32 v15, v7, v4 offset0:3 offset1:4
	s_waitcnt lgkmcnt(0)
	; wave barrier
	ds_read_b32 v4, v21 offset:4
	v_lshlrev_b32_e32 v5, 3, v22
	s_waitcnt lgkmcnt(0)
	; wave barrier
	v_lshl_add_u32 v4, v4, 3, v5
	ds_write_b64 v4, v[1:2]
	s_waitcnt lgkmcnt(0)
	; wave barrier
	ds_read_b64 v[1:2], v16
	s_waitcnt lgkmcnt(0)
	; wave barrier
	ds_write2_b32 v15, v3, v3 offset0:1 offset1:2
	ds_write2_b32 v15, v3, v3 offset0:3 offset1:4
	s_waitcnt lgkmcnt(0)
	v_and_b32_sdwa v4, v2, s23 dst_sel:DWORD dst_unused:UNUSED_PAD src0_sel:WORD_1 src1_sel:DWORD
	v_lshl_add_u32 v21, v4, 2, v19
	v_and_b32_sdwa v4, v2, v8 dst_sel:DWORD dst_unused:UNUSED_PAD src0_sel:WORD_1 src1_sel:DWORD
	v_add_co_u32_e64 v5, s[12:13], -1, v4
	v_addc_co_u32_e64 v6, s[12:13], 0, -1, s[12:13]
	v_cmp_ne_u32_e64 s[12:13], 0, v4
	v_xor_b32_e32 v4, s13, v6
	v_and_b32_e32 v6, exec_hi, v4
	v_lshlrev_b32_sdwa v4, v9, v2 dst_sel:DWORD dst_unused:UNUSED_PAD src0_sel:DWORD src1_sel:WORD_1
	v_xor_b32_e32 v5, s12, v5
	v_cmp_gt_i64_e64 s[12:13], 0, v[3:4]
	v_not_b32_e32 v4, v4
	v_ashrrev_i32_e32 v4, 31, v4
	v_and_b32_e32 v5, exec_lo, v5
	v_xor_b32_e32 v7, s13, v4
	v_xor_b32_e32 v4, s12, v4
	v_and_b32_e32 v5, v5, v4
	v_lshlrev_b32_sdwa v4, v10, v2 dst_sel:DWORD dst_unused:UNUSED_PAD src0_sel:DWORD src1_sel:WORD_1
	v_cmp_gt_i64_e64 s[12:13], 0, v[3:4]
	v_not_b32_e32 v4, v4
	v_ashrrev_i32_e32 v4, 31, v4
	v_and_b32_e32 v6, v6, v7
	v_xor_b32_e32 v7, s13, v4
	v_xor_b32_e32 v4, s12, v4
	v_and_b32_e32 v5, v5, v4
	v_lshlrev_b32_sdwa v4, v11, v2 dst_sel:DWORD dst_unused:UNUSED_PAD src0_sel:DWORD src1_sel:WORD_1
	v_cmp_gt_i64_e64 s[12:13], 0, v[3:4]
	v_not_b32_e32 v4, v4
	v_ashrrev_i32_e32 v4, 31, v4
	v_and_b32_e32 v6, v6, v7
	;; [unrolled: 8-line block ×5, first 2 shown]
	v_xor_b32_e32 v7, s13, v4
	v_xor_b32_e32 v4, s12, v4
	v_and_b32_e32 v6, v6, v7
	v_and_b32_e32 v7, v5, v4
	v_lshlrev_b32_sdwa v4, v20, v2 dst_sel:DWORD dst_unused:UNUSED_PAD src0_sel:DWORD src1_sel:WORD_1
	v_cmp_gt_i64_e64 s[12:13], 0, v[3:4]
	v_not_b32_e32 v4, v4
	v_ashrrev_i32_e32 v4, 31, v4
	v_xor_b32_e32 v5, s13, v4
	v_xor_b32_e32 v4, s12, v4
	v_and_b32_e32 v4, v7, v4
	v_and_b32_e32 v5, v6, v5
	v_mbcnt_lo_u32_b32 v6, v4, 0
	v_mbcnt_hi_u32_b32 v22, v5, v6
	v_cmp_ne_u64_e64 s[12:13], 0, v[4:5]
	v_cmp_eq_u32_e64 s[14:15], 0, v22
	s_and_b64 s[14:15], s[14:15], s[12:13]
	; wave barrier
	; wave barrier
	s_and_saveexec_b64 s[12:13], s[14:15]
; %bb.11:                               ;   in Loop: Header=BB336_2 Depth=1
	v_bcnt_u32_b32 v4, v4, 0
	v_bcnt_u32_b32 v4, v5, v4
	ds_write_b32 v21, v4 offset:4
; %bb.12:                               ;   in Loop: Header=BB336_2 Depth=1
	s_or_b64 exec, exec, s[12:13]
	; wave barrier
	s_waitcnt lgkmcnt(0)
	; wave barrier
	ds_read2_b32 v[6:7], v15 offset0:1 offset1:2
	ds_read2_b32 v[4:5], v15 offset0:3 offset1:4
	s_waitcnt lgkmcnt(1)
	v_add_u32_e32 v23, v7, v6
	s_waitcnt lgkmcnt(0)
	v_add3_u32 v5, v23, v4, v5
	s_nop 1
	v_mov_b32_dpp v23, v5 row_shr:1 row_mask:0xf bank_mask:0xf
	v_cndmask_b32_e64 v23, v23, 0, s[2:3]
	v_add_u32_e32 v5, v23, v5
	s_nop 1
	v_mov_b32_dpp v23, v5 row_shr:2 row_mask:0xf bank_mask:0xf
	v_cndmask_b32_e64 v23, 0, v23, s[4:5]
	v_add_u32_e32 v5, v5, v23
	;; [unrolled: 4-line block ×4, first 2 shown]
	s_nop 1
	v_mov_b32_dpp v23, v5 row_bcast:15 row_mask:0xf bank_mask:0xf
	v_cndmask_b32_e64 v23, v23, 0, s[10:11]
	v_add_u32_e32 v5, v5, v23
	s_nop 1
	v_mov_b32_dpp v23, v5 row_bcast:31 row_mask:0xf bank_mask:0xf
	v_cndmask_b32_e64 v23, 0, v23, s[0:1]
	v_add_u32_e32 v5, v5, v23
	s_and_saveexec_b64 s[12:13], vcc
; %bb.13:                               ;   in Loop: Header=BB336_2 Depth=1
	ds_write_b32 v3, v5
; %bb.14:                               ;   in Loop: Header=BB336_2 Depth=1
	s_or_b64 exec, exec, s[12:13]
	ds_bpermute_b32 v5, v18, v5
	s_waitcnt lgkmcnt(0)
	; wave barrier
	v_cndmask_b32_e64 v5, v5, 0, s[16:17]
	v_add_u32_e32 v6, v5, v6
	v_add_u32_e32 v7, v6, v7
	;; [unrolled: 1-line block ×3, first 2 shown]
	ds_write2_b32 v15, v5, v6 offset0:1 offset1:2
	ds_write2_b32 v15, v7, v4 offset0:3 offset1:4
	s_waitcnt lgkmcnt(0)
	; wave barrier
	ds_read_b32 v4, v21 offset:4
	v_lshlrev_b32_e32 v5, 3, v22
	s_waitcnt lgkmcnt(0)
	; wave barrier
	v_lshl_add_u32 v4, v4, 3, v5
	ds_write_b64 v4, v[1:2]
	s_waitcnt lgkmcnt(0)
	; wave barrier
	ds_read_b64 v[1:2], v16
	s_waitcnt lgkmcnt(0)
	; wave barrier
	ds_write2_b32 v15, v3, v3 offset0:1 offset1:2
	ds_write2_b32 v15, v3, v3 offset0:3 offset1:4
	s_waitcnt lgkmcnt(0)
	v_lshrrev_b32_e32 v5, 24, v2
	v_and_b32_e32 v4, 1, v5
	v_add_co_u32_e64 v6, s[12:13], -1, v4
	v_addc_co_u32_e64 v7, s[12:13], 0, -1, s[12:13]
	v_cmp_ne_u32_e64 s[12:13], 0, v4
	v_xor_b32_e32 v4, s13, v7
	v_and_b32_e32 v7, exec_hi, v4
	v_lshlrev_b32_e32 v4, 30, v5
	v_xor_b32_e32 v6, s12, v6
	v_cmp_gt_i64_e64 s[12:13], 0, v[3:4]
	v_not_b32_e32 v4, v4
	v_ashrrev_i32_e32 v4, 31, v4
	v_and_b32_e32 v6, exec_lo, v6
	v_xor_b32_e32 v22, s13, v4
	v_xor_b32_e32 v4, s12, v4
	v_and_b32_e32 v6, v6, v4
	v_lshlrev_b32_e32 v4, 29, v5
	v_cmp_gt_i64_e64 s[12:13], 0, v[3:4]
	v_not_b32_e32 v4, v4
	v_ashrrev_i32_e32 v4, 31, v4
	v_and_b32_e32 v7, v7, v22
	v_xor_b32_e32 v22, s13, v4
	v_xor_b32_e32 v4, s12, v4
	v_and_b32_e32 v6, v6, v4
	v_lshlrev_b32_e32 v4, 28, v5
	v_cmp_gt_i64_e64 s[12:13], 0, v[3:4]
	v_not_b32_e32 v4, v4
	v_ashrrev_i32_e32 v4, 31, v4
	v_and_b32_e32 v7, v7, v22
	;; [unrolled: 8-line block ×5, first 2 shown]
	v_xor_b32_e32 v22, s13, v4
	v_xor_b32_e32 v4, s12, v4
	v_and_b32_e32 v6, v6, v4
	v_lshlrev_b32_e32 v4, 24, v5
	v_cmp_gt_i64_e64 s[12:13], 0, v[3:4]
	v_not_b32_e32 v4, v4
	v_ashrrev_i32_e32 v4, 31, v4
	v_lshl_add_u32 v21, v5, 2, v19
	v_xor_b32_e32 v5, s13, v4
	v_xor_b32_e32 v4, s12, v4
	v_and_b32_e32 v7, v7, v22
	v_and_b32_e32 v4, v6, v4
	;; [unrolled: 1-line block ×3, first 2 shown]
	v_mbcnt_lo_u32_b32 v6, v4, 0
	v_mbcnt_hi_u32_b32 v22, v5, v6
	v_cmp_ne_u64_e64 s[12:13], 0, v[4:5]
	v_cmp_eq_u32_e64 s[14:15], 0, v22
	s_and_b64 s[14:15], s[14:15], s[12:13]
	; wave barrier
	; wave barrier
	s_and_saveexec_b64 s[12:13], s[14:15]
; %bb.15:                               ;   in Loop: Header=BB336_2 Depth=1
	v_bcnt_u32_b32 v4, v4, 0
	v_bcnt_u32_b32 v4, v5, v4
	ds_write_b32 v21, v4 offset:4
; %bb.16:                               ;   in Loop: Header=BB336_2 Depth=1
	s_or_b64 exec, exec, s[12:13]
	; wave barrier
	s_waitcnt lgkmcnt(0)
	; wave barrier
	ds_read2_b32 v[6:7], v15 offset0:1 offset1:2
	ds_read2_b32 v[4:5], v15 offset0:3 offset1:4
	s_waitcnt lgkmcnt(1)
	v_add_u32_e32 v23, v7, v6
	s_waitcnt lgkmcnt(0)
	v_add3_u32 v5, v23, v4, v5
	s_nop 1
	v_mov_b32_dpp v23, v5 row_shr:1 row_mask:0xf bank_mask:0xf
	v_cndmask_b32_e64 v23, v23, 0, s[2:3]
	v_add_u32_e32 v5, v23, v5
	s_nop 1
	v_mov_b32_dpp v23, v5 row_shr:2 row_mask:0xf bank_mask:0xf
	v_cndmask_b32_e64 v23, 0, v23, s[4:5]
	v_add_u32_e32 v5, v5, v23
	s_nop 1
	v_mov_b32_dpp v23, v5 row_shr:4 row_mask:0xf bank_mask:0xf
	v_cndmask_b32_e64 v23, 0, v23, s[6:7]
	v_add_u32_e32 v5, v5, v23
	s_nop 1
	v_mov_b32_dpp v23, v5 row_shr:8 row_mask:0xf bank_mask:0xf
	v_cndmask_b32_e64 v23, 0, v23, s[8:9]
	v_add_u32_e32 v5, v5, v23
	s_nop 1
	v_mov_b32_dpp v23, v5 row_bcast:15 row_mask:0xf bank_mask:0xf
	v_cndmask_b32_e64 v23, v23, 0, s[10:11]
	v_add_u32_e32 v5, v5, v23
	s_nop 1
	v_mov_b32_dpp v23, v5 row_bcast:31 row_mask:0xf bank_mask:0xf
	v_cndmask_b32_e64 v23, 0, v23, s[0:1]
	v_add_u32_e32 v5, v5, v23
	s_and_saveexec_b64 s[12:13], vcc
; %bb.17:                               ;   in Loop: Header=BB336_2 Depth=1
	ds_write_b32 v3, v5
; %bb.18:                               ;   in Loop: Header=BB336_2 Depth=1
	s_or_b64 exec, exec, s[12:13]
	ds_bpermute_b32 v5, v18, v5
	s_waitcnt lgkmcnt(0)
	; wave barrier
	v_cndmask_b32_e64 v5, v5, 0, s[16:17]
	v_add_u32_e32 v6, v5, v6
	v_add_u32_e32 v7, v6, v7
	;; [unrolled: 1-line block ×3, first 2 shown]
	ds_write2_b32 v15, v5, v6 offset0:1 offset1:2
	ds_write2_b32 v15, v7, v4 offset0:3 offset1:4
	s_waitcnt lgkmcnt(0)
	; wave barrier
	ds_read_b32 v4, v21 offset:4
	v_lshlrev_b32_e32 v5, 3, v22
	s_waitcnt lgkmcnt(0)
	; wave barrier
	v_lshl_add_u32 v4, v4, 3, v5
	ds_write_b64 v4, v[1:2]
	s_waitcnt lgkmcnt(0)
	; wave barrier
	ds_read_b64 v[1:2], v16
	s_waitcnt lgkmcnt(0)
	; wave barrier
	ds_write2_b32 v15, v3, v3 offset0:1 offset1:2
	ds_write2_b32 v15, v3, v3 offset0:3 offset1:4
	s_waitcnt lgkmcnt(0)
	v_and_b32_e32 v4, 0xff, v1
	v_lshl_add_u32 v21, v4, 2, v19
	v_and_b32_e32 v4, 1, v1
	v_add_co_u32_e64 v5, s[12:13], -1, v4
	v_addc_co_u32_e64 v6, s[12:13], 0, -1, s[12:13]
	v_cmp_ne_u32_e64 s[12:13], 0, v4
	v_xor_b32_e32 v4, s13, v6
	v_and_b32_e32 v6, exec_hi, v4
	v_lshlrev_b32_e32 v4, 30, v1
	v_xor_b32_e32 v5, s12, v5
	v_cmp_gt_i64_e64 s[12:13], 0, v[3:4]
	v_not_b32_e32 v4, v4
	v_ashrrev_i32_e32 v4, 31, v4
	v_and_b32_e32 v5, exec_lo, v5
	v_xor_b32_e32 v7, s13, v4
	v_xor_b32_e32 v4, s12, v4
	v_and_b32_e32 v5, v5, v4
	v_lshlrev_b32_e32 v4, 29, v1
	v_cmp_gt_i64_e64 s[12:13], 0, v[3:4]
	v_not_b32_e32 v4, v4
	v_ashrrev_i32_e32 v4, 31, v4
	v_and_b32_e32 v6, v6, v7
	v_xor_b32_e32 v7, s13, v4
	v_xor_b32_e32 v4, s12, v4
	v_and_b32_e32 v5, v5, v4
	v_lshlrev_b32_e32 v4, 28, v1
	v_cmp_gt_i64_e64 s[12:13], 0, v[3:4]
	v_not_b32_e32 v4, v4
	v_ashrrev_i32_e32 v4, 31, v4
	v_and_b32_e32 v6, v6, v7
	;; [unrolled: 8-line block ×5, first 2 shown]
	v_xor_b32_e32 v7, s13, v4
	v_xor_b32_e32 v4, s12, v4
	v_and_b32_e32 v6, v6, v7
	v_and_b32_e32 v7, v5, v4
	v_lshlrev_b32_e32 v4, 24, v1
	v_cmp_gt_i64_e64 s[12:13], 0, v[3:4]
	v_not_b32_e32 v4, v4
	v_ashrrev_i32_e32 v4, 31, v4
	v_xor_b32_e32 v5, s13, v4
	v_xor_b32_e32 v4, s12, v4
	v_and_b32_e32 v4, v7, v4
	v_and_b32_e32 v5, v6, v5
	v_mbcnt_lo_u32_b32 v6, v4, 0
	v_mbcnt_hi_u32_b32 v22, v5, v6
	v_cmp_ne_u64_e64 s[12:13], 0, v[4:5]
	v_cmp_eq_u32_e64 s[14:15], 0, v22
	s_and_b64 s[14:15], s[14:15], s[12:13]
	; wave barrier
	; wave barrier
	s_and_saveexec_b64 s[12:13], s[14:15]
; %bb.19:                               ;   in Loop: Header=BB336_2 Depth=1
	v_bcnt_u32_b32 v4, v4, 0
	v_bcnt_u32_b32 v4, v5, v4
	ds_write_b32 v21, v4 offset:4
; %bb.20:                               ;   in Loop: Header=BB336_2 Depth=1
	s_or_b64 exec, exec, s[12:13]
	; wave barrier
	s_waitcnt lgkmcnt(0)
	; wave barrier
	ds_read2_b32 v[6:7], v15 offset0:1 offset1:2
	ds_read2_b32 v[4:5], v15 offset0:3 offset1:4
	s_waitcnt lgkmcnt(1)
	v_add_u32_e32 v23, v7, v6
	s_waitcnt lgkmcnt(0)
	v_add3_u32 v5, v23, v4, v5
	s_nop 1
	v_mov_b32_dpp v23, v5 row_shr:1 row_mask:0xf bank_mask:0xf
	v_cndmask_b32_e64 v23, v23, 0, s[2:3]
	v_add_u32_e32 v5, v23, v5
	s_nop 1
	v_mov_b32_dpp v23, v5 row_shr:2 row_mask:0xf bank_mask:0xf
	v_cndmask_b32_e64 v23, 0, v23, s[4:5]
	v_add_u32_e32 v5, v5, v23
	;; [unrolled: 4-line block ×4, first 2 shown]
	s_nop 1
	v_mov_b32_dpp v23, v5 row_bcast:15 row_mask:0xf bank_mask:0xf
	v_cndmask_b32_e64 v23, v23, 0, s[10:11]
	v_add_u32_e32 v5, v5, v23
	s_nop 1
	v_mov_b32_dpp v23, v5 row_bcast:31 row_mask:0xf bank_mask:0xf
	v_cndmask_b32_e64 v23, 0, v23, s[0:1]
	v_add_u32_e32 v5, v5, v23
	s_and_saveexec_b64 s[12:13], vcc
; %bb.21:                               ;   in Loop: Header=BB336_2 Depth=1
	ds_write_b32 v3, v5
; %bb.22:                               ;   in Loop: Header=BB336_2 Depth=1
	s_or_b64 exec, exec, s[12:13]
	ds_bpermute_b32 v5, v18, v5
	s_waitcnt lgkmcnt(0)
	; wave barrier
	v_cndmask_b32_e64 v5, v5, 0, s[16:17]
	v_add_u32_e32 v6, v5, v6
	v_add_u32_e32 v7, v6, v7
	;; [unrolled: 1-line block ×3, first 2 shown]
	ds_write2_b32 v15, v5, v6 offset0:1 offset1:2
	ds_write2_b32 v15, v7, v4 offset0:3 offset1:4
	s_waitcnt lgkmcnt(0)
	; wave barrier
	ds_read_b32 v4, v21 offset:4
	v_lshlrev_b32_e32 v5, 3, v22
	s_waitcnt lgkmcnt(0)
	; wave barrier
	v_lshl_add_u32 v4, v4, 3, v5
	ds_write_b64 v4, v[1:2]
	s_waitcnt lgkmcnt(0)
	; wave barrier
	ds_read_b64 v[1:2], v16
	s_waitcnt lgkmcnt(0)
	; wave barrier
	ds_write2_b32 v15, v3, v3 offset0:1 offset1:2
	ds_write2_b32 v15, v3, v3 offset0:3 offset1:4
	s_waitcnt lgkmcnt(0)
	v_lshrrev_b32_e32 v5, 8, v1
	v_and_b32_e32 v4, 0xff, v5
	v_lshl_add_u32 v21, v4, 2, v19
	v_and_b32_e32 v4, 1, v5
	v_add_co_u32_e64 v6, s[12:13], -1, v4
	v_addc_co_u32_e64 v7, s[12:13], 0, -1, s[12:13]
	v_cmp_ne_u32_e64 s[12:13], 0, v4
	v_xor_b32_e32 v4, s13, v7
	v_and_b32_e32 v7, exec_hi, v4
	v_lshlrev_b32_e32 v4, 30, v5
	v_xor_b32_e32 v6, s12, v6
	v_cmp_gt_i64_e64 s[12:13], 0, v[3:4]
	v_not_b32_e32 v4, v4
	v_ashrrev_i32_e32 v4, 31, v4
	v_and_b32_e32 v6, exec_lo, v6
	v_xor_b32_e32 v22, s13, v4
	v_xor_b32_e32 v4, s12, v4
	v_and_b32_e32 v6, v6, v4
	v_lshlrev_b32_e32 v4, 29, v5
	v_cmp_gt_i64_e64 s[12:13], 0, v[3:4]
	v_not_b32_e32 v4, v4
	v_ashrrev_i32_e32 v4, 31, v4
	v_and_b32_e32 v7, v7, v22
	v_xor_b32_e32 v22, s13, v4
	v_xor_b32_e32 v4, s12, v4
	v_and_b32_e32 v6, v6, v4
	v_lshlrev_b32_e32 v4, 28, v5
	v_cmp_gt_i64_e64 s[12:13], 0, v[3:4]
	v_not_b32_e32 v4, v4
	v_ashrrev_i32_e32 v4, 31, v4
	v_and_b32_e32 v7, v7, v22
	;; [unrolled: 8-line block ×5, first 2 shown]
	v_xor_b32_e32 v22, s13, v4
	v_xor_b32_e32 v4, s12, v4
	v_and_b32_e32 v6, v6, v4
	v_lshlrev_b32_e32 v4, 24, v5
	v_cmp_gt_i64_e64 s[12:13], 0, v[3:4]
	v_not_b32_e32 v4, v4
	v_ashrrev_i32_e32 v4, 31, v4
	v_xor_b32_e32 v5, s13, v4
	v_xor_b32_e32 v4, s12, v4
	v_and_b32_e32 v7, v7, v22
	v_and_b32_e32 v4, v6, v4
	;; [unrolled: 1-line block ×3, first 2 shown]
	v_mbcnt_lo_u32_b32 v6, v4, 0
	v_mbcnt_hi_u32_b32 v22, v5, v6
	v_cmp_ne_u64_e64 s[12:13], 0, v[4:5]
	v_cmp_eq_u32_e64 s[14:15], 0, v22
	s_and_b64 s[14:15], s[14:15], s[12:13]
	; wave barrier
	; wave barrier
	s_and_saveexec_b64 s[12:13], s[14:15]
; %bb.23:                               ;   in Loop: Header=BB336_2 Depth=1
	v_bcnt_u32_b32 v4, v4, 0
	v_bcnt_u32_b32 v4, v5, v4
	ds_write_b32 v21, v4 offset:4
; %bb.24:                               ;   in Loop: Header=BB336_2 Depth=1
	s_or_b64 exec, exec, s[12:13]
	; wave barrier
	s_waitcnt lgkmcnt(0)
	; wave barrier
	ds_read2_b32 v[6:7], v15 offset0:1 offset1:2
	ds_read2_b32 v[4:5], v15 offset0:3 offset1:4
	s_waitcnt lgkmcnt(1)
	v_add_u32_e32 v23, v7, v6
	s_waitcnt lgkmcnt(0)
	v_add3_u32 v5, v23, v4, v5
	s_nop 1
	v_mov_b32_dpp v23, v5 row_shr:1 row_mask:0xf bank_mask:0xf
	v_cndmask_b32_e64 v23, v23, 0, s[2:3]
	v_add_u32_e32 v5, v23, v5
	s_nop 1
	v_mov_b32_dpp v23, v5 row_shr:2 row_mask:0xf bank_mask:0xf
	v_cndmask_b32_e64 v23, 0, v23, s[4:5]
	v_add_u32_e32 v5, v5, v23
	s_nop 1
	v_mov_b32_dpp v23, v5 row_shr:4 row_mask:0xf bank_mask:0xf
	v_cndmask_b32_e64 v23, 0, v23, s[6:7]
	v_add_u32_e32 v5, v5, v23
	s_nop 1
	v_mov_b32_dpp v23, v5 row_shr:8 row_mask:0xf bank_mask:0xf
	v_cndmask_b32_e64 v23, 0, v23, s[8:9]
	v_add_u32_e32 v5, v5, v23
	s_nop 1
	v_mov_b32_dpp v23, v5 row_bcast:15 row_mask:0xf bank_mask:0xf
	v_cndmask_b32_e64 v23, v23, 0, s[10:11]
	v_add_u32_e32 v5, v5, v23
	s_nop 1
	v_mov_b32_dpp v23, v5 row_bcast:31 row_mask:0xf bank_mask:0xf
	v_cndmask_b32_e64 v23, 0, v23, s[0:1]
	v_add_u32_e32 v5, v5, v23
	s_and_saveexec_b64 s[12:13], vcc
; %bb.25:                               ;   in Loop: Header=BB336_2 Depth=1
	ds_write_b32 v3, v5
; %bb.26:                               ;   in Loop: Header=BB336_2 Depth=1
	s_or_b64 exec, exec, s[12:13]
	ds_bpermute_b32 v5, v18, v5
	s_waitcnt lgkmcnt(0)
	; wave barrier
	v_cndmask_b32_e64 v5, v5, 0, s[16:17]
	v_add_u32_e32 v6, v5, v6
	v_add_u32_e32 v7, v6, v7
	;; [unrolled: 1-line block ×3, first 2 shown]
	ds_write2_b32 v15, v5, v6 offset0:1 offset1:2
	ds_write2_b32 v15, v7, v4 offset0:3 offset1:4
	s_waitcnt lgkmcnt(0)
	; wave barrier
	ds_read_b32 v4, v21 offset:4
	v_lshlrev_b32_e32 v5, 3, v22
	s_waitcnt lgkmcnt(0)
	; wave barrier
	v_lshl_add_u32 v4, v4, 3, v5
	ds_write_b64 v4, v[1:2]
	s_waitcnt lgkmcnt(0)
	; wave barrier
	ds_read_b64 v[1:2], v16
	s_waitcnt lgkmcnt(0)
	; wave barrier
	ds_write2_b32 v15, v3, v3 offset0:1 offset1:2
	ds_write2_b32 v15, v3, v3 offset0:3 offset1:4
	s_waitcnt lgkmcnt(0)
	v_and_b32_sdwa v4, v1, s23 dst_sel:DWORD dst_unused:UNUSED_PAD src0_sel:WORD_1 src1_sel:DWORD
	v_lshl_add_u32 v21, v4, 2, v19
	v_and_b32_sdwa v4, v1, v8 dst_sel:DWORD dst_unused:UNUSED_PAD src0_sel:WORD_1 src1_sel:DWORD
	v_add_co_u32_e64 v5, s[12:13], -1, v4
	v_addc_co_u32_e64 v6, s[12:13], 0, -1, s[12:13]
	v_cmp_ne_u32_e64 s[12:13], 0, v4
	v_xor_b32_e32 v4, s13, v6
	v_and_b32_e32 v6, exec_hi, v4
	v_lshlrev_b32_sdwa v4, v9, v1 dst_sel:DWORD dst_unused:UNUSED_PAD src0_sel:DWORD src1_sel:WORD_1
	v_xor_b32_e32 v5, s12, v5
	v_cmp_gt_i64_e64 s[12:13], 0, v[3:4]
	v_not_b32_e32 v4, v4
	v_ashrrev_i32_e32 v4, 31, v4
	v_and_b32_e32 v5, exec_lo, v5
	v_xor_b32_e32 v7, s13, v4
	v_xor_b32_e32 v4, s12, v4
	v_and_b32_e32 v5, v5, v4
	v_lshlrev_b32_sdwa v4, v10, v1 dst_sel:DWORD dst_unused:UNUSED_PAD src0_sel:DWORD src1_sel:WORD_1
	v_cmp_gt_i64_e64 s[12:13], 0, v[3:4]
	v_not_b32_e32 v4, v4
	v_ashrrev_i32_e32 v4, 31, v4
	v_and_b32_e32 v6, v6, v7
	v_xor_b32_e32 v7, s13, v4
	v_xor_b32_e32 v4, s12, v4
	v_and_b32_e32 v5, v5, v4
	v_lshlrev_b32_sdwa v4, v11, v1 dst_sel:DWORD dst_unused:UNUSED_PAD src0_sel:DWORD src1_sel:WORD_1
	v_cmp_gt_i64_e64 s[12:13], 0, v[3:4]
	v_not_b32_e32 v4, v4
	v_ashrrev_i32_e32 v4, 31, v4
	v_and_b32_e32 v6, v6, v7
	;; [unrolled: 8-line block ×5, first 2 shown]
	v_xor_b32_e32 v7, s13, v4
	v_xor_b32_e32 v4, s12, v4
	v_and_b32_e32 v6, v6, v7
	v_and_b32_e32 v7, v5, v4
	v_lshlrev_b32_sdwa v4, v20, v1 dst_sel:DWORD dst_unused:UNUSED_PAD src0_sel:DWORD src1_sel:WORD_1
	v_cmp_gt_i64_e64 s[12:13], 0, v[3:4]
	v_not_b32_e32 v4, v4
	v_ashrrev_i32_e32 v4, 31, v4
	v_xor_b32_e32 v5, s13, v4
	v_xor_b32_e32 v4, s12, v4
	v_and_b32_e32 v4, v7, v4
	v_and_b32_e32 v5, v6, v5
	v_mbcnt_lo_u32_b32 v6, v4, 0
	v_mbcnt_hi_u32_b32 v22, v5, v6
	v_cmp_ne_u64_e64 s[12:13], 0, v[4:5]
	v_cmp_eq_u32_e64 s[14:15], 0, v22
	s_and_b64 s[14:15], s[14:15], s[12:13]
	; wave barrier
	; wave barrier
	s_and_saveexec_b64 s[12:13], s[14:15]
; %bb.27:                               ;   in Loop: Header=BB336_2 Depth=1
	v_bcnt_u32_b32 v4, v4, 0
	v_bcnt_u32_b32 v4, v5, v4
	ds_write_b32 v21, v4 offset:4
; %bb.28:                               ;   in Loop: Header=BB336_2 Depth=1
	s_or_b64 exec, exec, s[12:13]
	; wave barrier
	s_waitcnt lgkmcnt(0)
	; wave barrier
	ds_read2_b32 v[6:7], v15 offset0:1 offset1:2
	ds_read2_b32 v[4:5], v15 offset0:3 offset1:4
	s_waitcnt lgkmcnt(1)
	v_add_u32_e32 v23, v7, v6
	s_waitcnt lgkmcnt(0)
	v_add3_u32 v5, v23, v4, v5
	s_nop 1
	v_mov_b32_dpp v23, v5 row_shr:1 row_mask:0xf bank_mask:0xf
	v_cndmask_b32_e64 v23, v23, 0, s[2:3]
	v_add_u32_e32 v5, v23, v5
	s_nop 1
	v_mov_b32_dpp v23, v5 row_shr:2 row_mask:0xf bank_mask:0xf
	v_cndmask_b32_e64 v23, 0, v23, s[4:5]
	v_add_u32_e32 v5, v5, v23
	;; [unrolled: 4-line block ×4, first 2 shown]
	s_nop 1
	v_mov_b32_dpp v23, v5 row_bcast:15 row_mask:0xf bank_mask:0xf
	v_cndmask_b32_e64 v23, v23, 0, s[10:11]
	v_add_u32_e32 v5, v5, v23
	s_nop 1
	v_mov_b32_dpp v23, v5 row_bcast:31 row_mask:0xf bank_mask:0xf
	v_cndmask_b32_e64 v23, 0, v23, s[0:1]
	v_add_u32_e32 v5, v5, v23
	s_and_saveexec_b64 s[12:13], vcc
; %bb.29:                               ;   in Loop: Header=BB336_2 Depth=1
	ds_write_b32 v3, v5
; %bb.30:                               ;   in Loop: Header=BB336_2 Depth=1
	s_or_b64 exec, exec, s[12:13]
	ds_bpermute_b32 v5, v18, v5
	s_waitcnt lgkmcnt(0)
	; wave barrier
	v_cndmask_b32_e64 v5, v5, 0, s[16:17]
	v_add_u32_e32 v6, v5, v6
	v_add_u32_e32 v7, v6, v7
	;; [unrolled: 1-line block ×3, first 2 shown]
	ds_write2_b32 v15, v5, v6 offset0:1 offset1:2
	ds_write2_b32 v15, v7, v4 offset0:3 offset1:4
	s_waitcnt lgkmcnt(0)
	; wave barrier
	ds_read_b32 v4, v21 offset:4
	v_lshlrev_b32_e32 v5, 3, v22
	s_waitcnt lgkmcnt(0)
	; wave barrier
	v_lshl_add_u32 v4, v4, 3, v5
	ds_write_b64 v4, v[1:2]
	s_waitcnt lgkmcnt(0)
	; wave barrier
	ds_read_b64 v[1:2], v16
	s_waitcnt lgkmcnt(0)
	; wave barrier
	ds_write2_b32 v15, v3, v3 offset0:1 offset1:2
	ds_write2_b32 v15, v3, v3 offset0:3 offset1:4
	s_waitcnt lgkmcnt(0)
	v_lshrrev_b32_e32 v5, 24, v1
	v_and_b32_e32 v4, 1, v5
	v_add_co_u32_e64 v6, s[12:13], -1, v4
	v_addc_co_u32_e64 v7, s[12:13], 0, -1, s[12:13]
	v_cmp_ne_u32_e64 s[12:13], 0, v4
	v_xor_b32_e32 v4, s13, v7
	v_and_b32_e32 v7, exec_hi, v4
	v_lshlrev_b32_e32 v4, 30, v5
	v_xor_b32_e32 v6, s12, v6
	v_cmp_gt_i64_e64 s[12:13], 0, v[3:4]
	v_not_b32_e32 v4, v4
	v_ashrrev_i32_e32 v4, 31, v4
	v_and_b32_e32 v6, exec_lo, v6
	v_xor_b32_e32 v22, s13, v4
	v_xor_b32_e32 v4, s12, v4
	v_and_b32_e32 v6, v6, v4
	v_lshlrev_b32_e32 v4, 29, v5
	v_cmp_gt_i64_e64 s[12:13], 0, v[3:4]
	v_not_b32_e32 v4, v4
	v_ashrrev_i32_e32 v4, 31, v4
	v_and_b32_e32 v7, v7, v22
	v_xor_b32_e32 v22, s13, v4
	v_xor_b32_e32 v4, s12, v4
	v_and_b32_e32 v6, v6, v4
	v_lshlrev_b32_e32 v4, 28, v5
	v_cmp_gt_i64_e64 s[12:13], 0, v[3:4]
	v_not_b32_e32 v4, v4
	v_ashrrev_i32_e32 v4, 31, v4
	v_and_b32_e32 v7, v7, v22
	;; [unrolled: 8-line block ×5, first 2 shown]
	v_xor_b32_e32 v22, s13, v4
	v_xor_b32_e32 v4, s12, v4
	v_and_b32_e32 v6, v6, v4
	v_lshlrev_b32_e32 v4, 24, v5
	v_cmp_gt_i64_e64 s[12:13], 0, v[3:4]
	v_not_b32_e32 v4, v4
	v_ashrrev_i32_e32 v4, 31, v4
	v_lshl_add_u32 v21, v5, 2, v19
	v_xor_b32_e32 v5, s13, v4
	v_xor_b32_e32 v4, s12, v4
	v_and_b32_e32 v7, v7, v22
	v_and_b32_e32 v4, v6, v4
	;; [unrolled: 1-line block ×3, first 2 shown]
	v_mbcnt_lo_u32_b32 v6, v4, 0
	v_mbcnt_hi_u32_b32 v22, v5, v6
	v_cmp_ne_u64_e64 s[12:13], 0, v[4:5]
	v_cmp_eq_u32_e64 s[14:15], 0, v22
	s_and_b64 s[14:15], s[14:15], s[12:13]
	; wave barrier
	; wave barrier
	s_and_saveexec_b64 s[12:13], s[14:15]
; %bb.31:                               ;   in Loop: Header=BB336_2 Depth=1
	v_bcnt_u32_b32 v4, v4, 0
	v_bcnt_u32_b32 v4, v5, v4
	ds_write_b32 v21, v4 offset:4
; %bb.32:                               ;   in Loop: Header=BB336_2 Depth=1
	s_or_b64 exec, exec, s[12:13]
	; wave barrier
	s_waitcnt lgkmcnt(0)
	; wave barrier
	ds_read2_b32 v[6:7], v15 offset0:1 offset1:2
	ds_read2_b32 v[4:5], v15 offset0:3 offset1:4
	s_waitcnt lgkmcnt(1)
	v_add_u32_e32 v23, v7, v6
	s_waitcnt lgkmcnt(0)
	v_add3_u32 v5, v23, v4, v5
	s_nop 1
	v_mov_b32_dpp v23, v5 row_shr:1 row_mask:0xf bank_mask:0xf
	v_cndmask_b32_e64 v23, v23, 0, s[2:3]
	v_add_u32_e32 v5, v23, v5
	s_nop 1
	v_mov_b32_dpp v23, v5 row_shr:2 row_mask:0xf bank_mask:0xf
	v_cndmask_b32_e64 v23, 0, v23, s[4:5]
	v_add_u32_e32 v5, v5, v23
	;; [unrolled: 4-line block ×4, first 2 shown]
	s_nop 1
	v_mov_b32_dpp v23, v5 row_bcast:15 row_mask:0xf bank_mask:0xf
	v_cndmask_b32_e64 v23, v23, 0, s[10:11]
	v_add_u32_e32 v5, v5, v23
	s_nop 1
	v_mov_b32_dpp v23, v5 row_bcast:31 row_mask:0xf bank_mask:0xf
	v_cndmask_b32_e64 v23, 0, v23, s[0:1]
	v_add_u32_e32 v5, v5, v23
	s_and_saveexec_b64 s[12:13], vcc
	s_cbranch_execz .LBB336_1
; %bb.33:                               ;   in Loop: Header=BB336_2 Depth=1
	ds_write_b32 v3, v5
	s_branch .LBB336_1
.LBB336_34:
	s_add_u32 s0, s18, s20
	s_waitcnt lgkmcnt(0)
	v_xor_b32_e32 v2, 0x80000000, v2
	v_xor_b32_e32 v1, 0x80000000, v1
	s_addc_u32 s1, s19, s21
	v_lshlrev_b32_e32 v0, 3, v0
	global_store_dwordx2 v0, v[1:2], s[0:1]
	s_endpgm
	.section	.rodata,"a",@progbits
	.p2align	6, 0x0
	.amdhsa_kernel _Z16sort_keys_kernelI22helper_blocked_stripedN15benchmark_utils11custom_typeIiiEELj64ELj1ELj10EEvPKT0_PS4_
		.amdhsa_group_segment_fixed_size 1040
		.amdhsa_private_segment_fixed_size 0
		.amdhsa_kernarg_size 272
		.amdhsa_user_sgpr_count 6
		.amdhsa_user_sgpr_private_segment_buffer 1
		.amdhsa_user_sgpr_dispatch_ptr 0
		.amdhsa_user_sgpr_queue_ptr 0
		.amdhsa_user_sgpr_kernarg_segment_ptr 1
		.amdhsa_user_sgpr_dispatch_id 0
		.amdhsa_user_sgpr_flat_scratch_init 0
		.amdhsa_user_sgpr_private_segment_size 0
		.amdhsa_uses_dynamic_stack 0
		.amdhsa_system_sgpr_private_segment_wavefront_offset 0
		.amdhsa_system_sgpr_workgroup_id_x 1
		.amdhsa_system_sgpr_workgroup_id_y 0
		.amdhsa_system_sgpr_workgroup_id_z 0
		.amdhsa_system_sgpr_workgroup_info 0
		.amdhsa_system_vgpr_workitem_id 2
		.amdhsa_next_free_vgpr 24
		.amdhsa_next_free_sgpr 26
		.amdhsa_reserve_vcc 1
		.amdhsa_reserve_flat_scratch 0
		.amdhsa_float_round_mode_32 0
		.amdhsa_float_round_mode_16_64 0
		.amdhsa_float_denorm_mode_32 3
		.amdhsa_float_denorm_mode_16_64 3
		.amdhsa_dx10_clamp 1
		.amdhsa_ieee_mode 1
		.amdhsa_fp16_overflow 0
		.amdhsa_exception_fp_ieee_invalid_op 0
		.amdhsa_exception_fp_denorm_src 0
		.amdhsa_exception_fp_ieee_div_zero 0
		.amdhsa_exception_fp_ieee_overflow 0
		.amdhsa_exception_fp_ieee_underflow 0
		.amdhsa_exception_fp_ieee_inexact 0
		.amdhsa_exception_int_div_zero 0
	.end_amdhsa_kernel
	.section	.text._Z16sort_keys_kernelI22helper_blocked_stripedN15benchmark_utils11custom_typeIiiEELj64ELj1ELj10EEvPKT0_PS4_,"axG",@progbits,_Z16sort_keys_kernelI22helper_blocked_stripedN15benchmark_utils11custom_typeIiiEELj64ELj1ELj10EEvPKT0_PS4_,comdat
.Lfunc_end336:
	.size	_Z16sort_keys_kernelI22helper_blocked_stripedN15benchmark_utils11custom_typeIiiEELj64ELj1ELj10EEvPKT0_PS4_, .Lfunc_end336-_Z16sort_keys_kernelI22helper_blocked_stripedN15benchmark_utils11custom_typeIiiEELj64ELj1ELj10EEvPKT0_PS4_
                                        ; -- End function
	.set _Z16sort_keys_kernelI22helper_blocked_stripedN15benchmark_utils11custom_typeIiiEELj64ELj1ELj10EEvPKT0_PS4_.num_vgpr, 24
	.set _Z16sort_keys_kernelI22helper_blocked_stripedN15benchmark_utils11custom_typeIiiEELj64ELj1ELj10EEvPKT0_PS4_.num_agpr, 0
	.set _Z16sort_keys_kernelI22helper_blocked_stripedN15benchmark_utils11custom_typeIiiEELj64ELj1ELj10EEvPKT0_PS4_.numbered_sgpr, 26
	.set _Z16sort_keys_kernelI22helper_blocked_stripedN15benchmark_utils11custom_typeIiiEELj64ELj1ELj10EEvPKT0_PS4_.num_named_barrier, 0
	.set _Z16sort_keys_kernelI22helper_blocked_stripedN15benchmark_utils11custom_typeIiiEELj64ELj1ELj10EEvPKT0_PS4_.private_seg_size, 0
	.set _Z16sort_keys_kernelI22helper_blocked_stripedN15benchmark_utils11custom_typeIiiEELj64ELj1ELj10EEvPKT0_PS4_.uses_vcc, 1
	.set _Z16sort_keys_kernelI22helper_blocked_stripedN15benchmark_utils11custom_typeIiiEELj64ELj1ELj10EEvPKT0_PS4_.uses_flat_scratch, 0
	.set _Z16sort_keys_kernelI22helper_blocked_stripedN15benchmark_utils11custom_typeIiiEELj64ELj1ELj10EEvPKT0_PS4_.has_dyn_sized_stack, 0
	.set _Z16sort_keys_kernelI22helper_blocked_stripedN15benchmark_utils11custom_typeIiiEELj64ELj1ELj10EEvPKT0_PS4_.has_recursion, 0
	.set _Z16sort_keys_kernelI22helper_blocked_stripedN15benchmark_utils11custom_typeIiiEELj64ELj1ELj10EEvPKT0_PS4_.has_indirect_call, 0
	.section	.AMDGPU.csdata,"",@progbits
; Kernel info:
; codeLenInByte = 6024
; TotalNumSgprs: 30
; NumVgprs: 24
; ScratchSize: 0
; MemoryBound: 0
; FloatMode: 240
; IeeeMode: 1
; LDSByteSize: 1040 bytes/workgroup (compile time only)
; SGPRBlocks: 3
; VGPRBlocks: 5
; NumSGPRsForWavesPerEU: 30
; NumVGPRsForWavesPerEU: 24
; Occupancy: 10
; WaveLimiterHint : 0
; COMPUTE_PGM_RSRC2:SCRATCH_EN: 0
; COMPUTE_PGM_RSRC2:USER_SGPR: 6
; COMPUTE_PGM_RSRC2:TRAP_HANDLER: 0
; COMPUTE_PGM_RSRC2:TGID_X_EN: 1
; COMPUTE_PGM_RSRC2:TGID_Y_EN: 0
; COMPUTE_PGM_RSRC2:TGID_Z_EN: 0
; COMPUTE_PGM_RSRC2:TIDIG_COMP_CNT: 2
	.section	.text._Z17sort_pairs_kernelI22helper_blocked_stripedN15benchmark_utils11custom_typeIiiEELj64ELj1ELj10EEvPKT0_PS4_,"axG",@progbits,_Z17sort_pairs_kernelI22helper_blocked_stripedN15benchmark_utils11custom_typeIiiEELj64ELj1ELj10EEvPKT0_PS4_,comdat
	.protected	_Z17sort_pairs_kernelI22helper_blocked_stripedN15benchmark_utils11custom_typeIiiEELj64ELj1ELj10EEvPKT0_PS4_ ; -- Begin function _Z17sort_pairs_kernelI22helper_blocked_stripedN15benchmark_utils11custom_typeIiiEELj64ELj1ELj10EEvPKT0_PS4_
	.globl	_Z17sort_pairs_kernelI22helper_blocked_stripedN15benchmark_utils11custom_typeIiiEELj64ELj1ELj10EEvPKT0_PS4_
	.p2align	8
	.type	_Z17sort_pairs_kernelI22helper_blocked_stripedN15benchmark_utils11custom_typeIiiEELj64ELj1ELj10EEvPKT0_PS4_,@function
_Z17sort_pairs_kernelI22helper_blocked_stripedN15benchmark_utils11custom_typeIiiEELj64ELj1ELj10EEvPKT0_PS4_: ; @_Z17sort_pairs_kernelI22helper_blocked_stripedN15benchmark_utils11custom_typeIiiEELj64ELj1ELj10EEvPKT0_PS4_
; %bb.0:
	s_load_dwordx4 s[16:19], s[4:5], 0x0
	s_load_dword s24, s[4:5], 0x1c
	s_lshl_b32 s0, s6, 6
	s_mov_b32 s1, 0
	s_lshl_b64 s[20:21], s[0:1], 3
	s_waitcnt lgkmcnt(0)
	s_add_u32 s0, s16, s20
	s_addc_u32 s1, s17, s21
	v_lshlrev_b32_e32 v4, 3, v0
	global_load_dwordx2 v[5:6], v4, s[0:1]
	v_mbcnt_lo_u32_b32 v7, -1, 0
	v_mbcnt_hi_u32_b32 v7, -1, v7
	s_lshr_b32 s25, s24, 16
	v_subrev_co_u32_e64 v10, s[14:15], 1, v7
	v_and_b32_e32 v20, 64, v7
	s_and_b32 s24, s24, 0xffff
	v_mad_u32_u24 v1, v2, s25, v1
	v_cmp_lt_i32_e64 s[16:17], v10, v20
	v_mad_u32_u24 v1, v1, s24, v0
	v_lshlrev_b32_e32 v18, 4, v0
	v_cmp_eq_u32_e64 s[12:13], 0, v0
	v_and_b32_e32 v8, 15, v7
	v_and_b32_e32 v9, 16, v7
	v_cmp_lt_u32_e64 s[0:1], 31, v7
	v_lshlrev_b32_e32 v19, 3, v7
	v_sub_u32_e32 v4, 0, v4
	v_cndmask_b32_e64 v7, v10, v7, s[16:17]
	v_lshrrev_b32_e32 v1, 4, v1
	v_mov_b32_e32 v3, 0
	s_mov_b32 s22, 10
	s_movk_i32 s23, 0xff
	v_mov_b32_e32 v11, 1
	v_mov_b32_e32 v12, 30
	;; [unrolled: 1-line block ×7, first 2 shown]
	v_cmp_eq_u32_e32 vcc, 63, v0
	v_cmp_eq_u32_e64 s[2:3], 0, v8
	v_cmp_lt_u32_e64 s[4:5], 1, v8
	v_cmp_lt_u32_e64 s[6:7], 3, v8
	;; [unrolled: 1-line block ×3, first 2 shown]
	v_cmp_eq_u32_e64 s[10:11], 0, v9
	v_add_u32_e32 v20, v18, v4
	v_lshlrev_b32_e32 v21, 2, v7
	s_or_b64 s[16:17], s[12:13], s[14:15]
	v_and_b32_e32 v22, 0xffffffc, v1
	v_mov_b32_e32 v23, 24
	s_waitcnt vmcnt(0)
	v_add_u32_e32 v2, 1, v6
	v_add_u32_e32 v1, 1, v5
	v_xor_b32_e32 v5, 0x80000000, v5
	v_xor_b32_e32 v6, 0x80000000, v6
	s_branch .LBB337_2
.LBB337_1:                              ;   in Loop: Header=BB337_2 Depth=1
	s_or_b64 exec, exec, s[12:13]
	ds_bpermute_b32 v8, v21, v8
	s_waitcnt lgkmcnt(0)
	; wave barrier
	v_lshlrev_b32_e32 v4, 3, v4
	s_add_i32 s22, s22, -1
	v_cndmask_b32_e64 v8, v8, 0, s[16:17]
	v_add_u32_e32 v9, v8, v9
	v_add_u32_e32 v10, v9, v10
	;; [unrolled: 1-line block ×3, first 2 shown]
	ds_write2_b32 v18, v8, v9 offset0:1 offset1:2
	ds_write2_b32 v18, v10, v7 offset0:3 offset1:4
	s_waitcnt lgkmcnt(0)
	; wave barrier
	ds_read_b32 v7, v24 offset:4
	s_waitcnt lgkmcnt(0)
	; wave barrier
	s_cmp_eq_u32 s22, 0
	v_lshl_add_u32 v4, v7, 3, v4
	ds_write_b64 v4, v[5:6]
	s_waitcnt lgkmcnt(0)
	; wave barrier
	ds_read_b64 v[5:6], v20
	s_waitcnt lgkmcnt(0)
	; wave barrier
	ds_write_b64 v4, v[1:2]
	s_waitcnt lgkmcnt(0)
	; wave barrier
	ds_read_b64 v[1:2], v20
	s_cbranch_scc1 .LBB337_34
.LBB337_2:                              ; =>This Inner Loop Header: Depth=1
	v_and_b32_e32 v4, 0xff, v6
	v_lshl_add_u32 v24, v4, 2, v22
	v_and_b32_e32 v4, 1, v6
	v_add_co_u32_e64 v7, s[12:13], -1, v4
	v_addc_co_u32_e64 v8, s[12:13], 0, -1, s[12:13]
	v_cmp_ne_u32_e64 s[12:13], 0, v4
	v_xor_b32_e32 v4, s13, v8
	v_and_b32_e32 v8, exec_hi, v4
	v_lshlrev_b32_e32 v4, 30, v6
	v_xor_b32_e32 v7, s12, v7
	v_cmp_gt_i64_e64 s[12:13], 0, v[3:4]
	v_not_b32_e32 v4, v4
	v_ashrrev_i32_e32 v4, 31, v4
	v_and_b32_e32 v7, exec_lo, v7
	v_xor_b32_e32 v9, s13, v4
	v_xor_b32_e32 v4, s12, v4
	v_and_b32_e32 v7, v7, v4
	v_lshlrev_b32_e32 v4, 29, v6
	v_cmp_gt_i64_e64 s[12:13], 0, v[3:4]
	v_not_b32_e32 v4, v4
	v_ashrrev_i32_e32 v4, 31, v4
	v_and_b32_e32 v8, v8, v9
	v_xor_b32_e32 v9, s13, v4
	v_xor_b32_e32 v4, s12, v4
	v_and_b32_e32 v7, v7, v4
	v_lshlrev_b32_e32 v4, 28, v6
	v_cmp_gt_i64_e64 s[12:13], 0, v[3:4]
	v_not_b32_e32 v4, v4
	v_ashrrev_i32_e32 v4, 31, v4
	v_and_b32_e32 v8, v8, v9
	;; [unrolled: 8-line block ×6, first 2 shown]
	v_xor_b32_e32 v9, s13, v4
	v_xor_b32_e32 v4, s12, v4
	v_and_b32_e32 v7, v7, v4
	v_and_b32_e32 v8, v8, v9
	v_mbcnt_lo_u32_b32 v4, v7, 0
	v_mbcnt_hi_u32_b32 v4, v8, v4
	v_cmp_ne_u64_e64 s[12:13], 0, v[7:8]
	v_cmp_eq_u32_e64 s[14:15], 0, v4
	s_and_b64 s[14:15], s[14:15], s[12:13]
	ds_write2_b32 v18, v3, v3 offset0:1 offset1:2
	ds_write2_b32 v18, v3, v3 offset0:3 offset1:4
	s_waitcnt lgkmcnt(0)
	; wave barrier
	; wave barrier
	s_and_saveexec_b64 s[12:13], s[14:15]
; %bb.3:                                ;   in Loop: Header=BB337_2 Depth=1
	v_bcnt_u32_b32 v7, v7, 0
	v_bcnt_u32_b32 v7, v8, v7
	ds_write_b32 v24, v7 offset:4
; %bb.4:                                ;   in Loop: Header=BB337_2 Depth=1
	s_or_b64 exec, exec, s[12:13]
	; wave barrier
	s_waitcnt lgkmcnt(0)
	; wave barrier
	ds_read2_b32 v[9:10], v18 offset0:1 offset1:2
	ds_read2_b32 v[7:8], v18 offset0:3 offset1:4
	s_waitcnt lgkmcnt(1)
	v_add_u32_e32 v25, v10, v9
	s_waitcnt lgkmcnt(0)
	v_add3_u32 v8, v25, v7, v8
	s_nop 1
	v_mov_b32_dpp v25, v8 row_shr:1 row_mask:0xf bank_mask:0xf
	v_cndmask_b32_e64 v25, v25, 0, s[2:3]
	v_add_u32_e32 v8, v25, v8
	s_nop 1
	v_mov_b32_dpp v25, v8 row_shr:2 row_mask:0xf bank_mask:0xf
	v_cndmask_b32_e64 v25, 0, v25, s[4:5]
	v_add_u32_e32 v8, v8, v25
	;; [unrolled: 4-line block ×4, first 2 shown]
	s_nop 1
	v_mov_b32_dpp v25, v8 row_bcast:15 row_mask:0xf bank_mask:0xf
	v_cndmask_b32_e64 v25, v25, 0, s[10:11]
	v_add_u32_e32 v8, v8, v25
	s_nop 1
	v_mov_b32_dpp v25, v8 row_bcast:31 row_mask:0xf bank_mask:0xf
	v_cndmask_b32_e64 v25, 0, v25, s[0:1]
	v_add_u32_e32 v8, v8, v25
	s_and_saveexec_b64 s[12:13], vcc
; %bb.5:                                ;   in Loop: Header=BB337_2 Depth=1
	ds_write_b32 v3, v8
; %bb.6:                                ;   in Loop: Header=BB337_2 Depth=1
	s_or_b64 exec, exec, s[12:13]
	ds_bpermute_b32 v8, v21, v8
	s_waitcnt lgkmcnt(0)
	; wave barrier
	v_lshlrev_b32_e32 v4, 3, v4
	v_cndmask_b32_e64 v8, v8, 0, s[16:17]
	v_add_u32_e32 v9, v8, v9
	v_add_u32_e32 v10, v9, v10
	;; [unrolled: 1-line block ×3, first 2 shown]
	ds_write2_b32 v18, v8, v9 offset0:1 offset1:2
	ds_write2_b32 v18, v10, v7 offset0:3 offset1:4
	s_waitcnt lgkmcnt(0)
	; wave barrier
	ds_read_b32 v7, v24 offset:4
	s_waitcnt lgkmcnt(0)
	; wave barrier
	v_lshl_add_u32 v4, v7, 3, v4
	ds_write_b64 v4, v[5:6]
	s_waitcnt lgkmcnt(0)
	; wave barrier
	ds_read_b64 v[5:6], v19
	s_waitcnt lgkmcnt(0)
	; wave barrier
	ds_write_b64 v4, v[1:2]
	s_waitcnt lgkmcnt(0)
	v_lshrrev_b32_e32 v7, 8, v6
	v_and_b32_e32 v4, 0xff, v7
	v_lshl_add_u32 v24, v4, 2, v22
	v_and_b32_e32 v4, 1, v7
	v_add_co_u32_e64 v8, s[12:13], -1, v4
	v_addc_co_u32_e64 v9, s[12:13], 0, -1, s[12:13]
	v_cmp_ne_u32_e64 s[12:13], 0, v4
	v_xor_b32_e32 v4, s13, v9
	v_and_b32_e32 v9, exec_hi, v4
	v_lshlrev_b32_e32 v4, 30, v7
	v_xor_b32_e32 v8, s12, v8
	v_cmp_gt_i64_e64 s[12:13], 0, v[3:4]
	v_not_b32_e32 v4, v4
	v_ashrrev_i32_e32 v4, 31, v4
	v_and_b32_e32 v8, exec_lo, v8
	v_xor_b32_e32 v10, s13, v4
	v_xor_b32_e32 v4, s12, v4
	v_and_b32_e32 v8, v8, v4
	v_lshlrev_b32_e32 v4, 29, v7
	v_cmp_gt_i64_e64 s[12:13], 0, v[3:4]
	v_not_b32_e32 v4, v4
	v_ashrrev_i32_e32 v4, 31, v4
	v_and_b32_e32 v9, v9, v10
	v_xor_b32_e32 v10, s13, v4
	v_xor_b32_e32 v4, s12, v4
	v_and_b32_e32 v8, v8, v4
	v_lshlrev_b32_e32 v4, 28, v7
	v_cmp_gt_i64_e64 s[12:13], 0, v[3:4]
	v_not_b32_e32 v4, v4
	v_ashrrev_i32_e32 v4, 31, v4
	v_and_b32_e32 v9, v9, v10
	;; [unrolled: 8-line block ×5, first 2 shown]
	v_xor_b32_e32 v10, s13, v4
	v_xor_b32_e32 v4, s12, v4
	v_and_b32_e32 v9, v9, v10
	v_and_b32_e32 v10, v8, v4
	v_lshlrev_b32_e32 v4, 24, v7
	v_cmp_gt_i64_e64 s[12:13], 0, v[3:4]
	v_not_b32_e32 v4, v4
	v_ashrrev_i32_e32 v4, 31, v4
	v_xor_b32_e32 v7, s13, v4
	v_xor_b32_e32 v4, s12, v4
	; wave barrier
	ds_read_b64 v[1:2], v19
	v_and_b32_e32 v8, v9, v7
	v_and_b32_e32 v7, v10, v4
	v_mbcnt_lo_u32_b32 v4, v7, 0
	v_mbcnt_hi_u32_b32 v4, v8, v4
	v_cmp_ne_u64_e64 s[12:13], 0, v[7:8]
	v_cmp_eq_u32_e64 s[14:15], 0, v4
	s_and_b64 s[14:15], s[14:15], s[12:13]
	s_waitcnt lgkmcnt(0)
	; wave barrier
	ds_write2_b32 v18, v3, v3 offset0:1 offset1:2
	ds_write2_b32 v18, v3, v3 offset0:3 offset1:4
	s_waitcnt lgkmcnt(0)
	; wave barrier
	; wave barrier
	s_and_saveexec_b64 s[12:13], s[14:15]
; %bb.7:                                ;   in Loop: Header=BB337_2 Depth=1
	v_bcnt_u32_b32 v7, v7, 0
	v_bcnt_u32_b32 v7, v8, v7
	ds_write_b32 v24, v7 offset:4
; %bb.8:                                ;   in Loop: Header=BB337_2 Depth=1
	s_or_b64 exec, exec, s[12:13]
	; wave barrier
	s_waitcnt lgkmcnt(0)
	; wave barrier
	ds_read2_b32 v[9:10], v18 offset0:1 offset1:2
	ds_read2_b32 v[7:8], v18 offset0:3 offset1:4
	s_waitcnt lgkmcnt(1)
	v_add_u32_e32 v25, v10, v9
	s_waitcnt lgkmcnt(0)
	v_add3_u32 v8, v25, v7, v8
	s_nop 1
	v_mov_b32_dpp v25, v8 row_shr:1 row_mask:0xf bank_mask:0xf
	v_cndmask_b32_e64 v25, v25, 0, s[2:3]
	v_add_u32_e32 v8, v25, v8
	s_nop 1
	v_mov_b32_dpp v25, v8 row_shr:2 row_mask:0xf bank_mask:0xf
	v_cndmask_b32_e64 v25, 0, v25, s[4:5]
	v_add_u32_e32 v8, v8, v25
	;; [unrolled: 4-line block ×4, first 2 shown]
	s_nop 1
	v_mov_b32_dpp v25, v8 row_bcast:15 row_mask:0xf bank_mask:0xf
	v_cndmask_b32_e64 v25, v25, 0, s[10:11]
	v_add_u32_e32 v8, v8, v25
	s_nop 1
	v_mov_b32_dpp v25, v8 row_bcast:31 row_mask:0xf bank_mask:0xf
	v_cndmask_b32_e64 v25, 0, v25, s[0:1]
	v_add_u32_e32 v8, v8, v25
	s_and_saveexec_b64 s[12:13], vcc
; %bb.9:                                ;   in Loop: Header=BB337_2 Depth=1
	ds_write_b32 v3, v8
; %bb.10:                               ;   in Loop: Header=BB337_2 Depth=1
	s_or_b64 exec, exec, s[12:13]
	ds_bpermute_b32 v8, v21, v8
	s_waitcnt lgkmcnt(0)
	; wave barrier
	v_lshlrev_b32_e32 v4, 3, v4
	v_cndmask_b32_e64 v8, v8, 0, s[16:17]
	v_add_u32_e32 v9, v8, v9
	v_add_u32_e32 v10, v9, v10
	;; [unrolled: 1-line block ×3, first 2 shown]
	ds_write2_b32 v18, v8, v9 offset0:1 offset1:2
	ds_write2_b32 v18, v10, v7 offset0:3 offset1:4
	s_waitcnt lgkmcnt(0)
	; wave barrier
	ds_read_b32 v7, v24 offset:4
	s_waitcnt lgkmcnt(0)
	; wave barrier
	v_lshl_add_u32 v4, v7, 3, v4
	ds_write_b64 v4, v[5:6]
	s_waitcnt lgkmcnt(0)
	; wave barrier
	ds_read_b64 v[7:8], v19
	s_waitcnt lgkmcnt(0)
	; wave barrier
	ds_write_b64 v4, v[1:2]
	s_waitcnt lgkmcnt(0)
	v_and_b32_sdwa v1, v8, s23 dst_sel:DWORD dst_unused:UNUSED_PAD src0_sel:WORD_1 src1_sel:DWORD
	v_lshl_add_u32 v24, v1, 2, v22
	v_and_b32_sdwa v1, v8, v11 dst_sel:DWORD dst_unused:UNUSED_PAD src0_sel:WORD_1 src1_sel:DWORD
	v_add_co_u32_e64 v2, s[12:13], -1, v1
	v_addc_co_u32_e64 v4, s[12:13], 0, -1, s[12:13]
	v_cmp_ne_u32_e64 s[12:13], 0, v1
	v_xor_b32_e32 v1, s13, v4
	v_lshlrev_b32_sdwa v4, v12, v8 dst_sel:DWORD dst_unused:UNUSED_PAD src0_sel:DWORD src1_sel:WORD_1
	v_xor_b32_e32 v2, s12, v2
	v_cmp_gt_i64_e64 s[12:13], 0, v[3:4]
	v_not_b32_e32 v4, v4
	v_ashrrev_i32_e32 v4, 31, v4
	v_and_b32_e32 v2, exec_lo, v2
	v_xor_b32_e32 v9, s13, v4
	v_xor_b32_e32 v4, s12, v4
	v_and_b32_e32 v2, v2, v4
	v_lshlrev_b32_sdwa v4, v13, v8 dst_sel:DWORD dst_unused:UNUSED_PAD src0_sel:DWORD src1_sel:WORD_1
	v_cmp_gt_i64_e64 s[12:13], 0, v[3:4]
	v_not_b32_e32 v4, v4
	v_and_b32_e32 v1, exec_hi, v1
	v_ashrrev_i32_e32 v4, 31, v4
	v_and_b32_e32 v1, v1, v9
	v_xor_b32_e32 v9, s13, v4
	v_xor_b32_e32 v4, s12, v4
	v_and_b32_e32 v2, v2, v4
	v_lshlrev_b32_sdwa v4, v14, v8 dst_sel:DWORD dst_unused:UNUSED_PAD src0_sel:DWORD src1_sel:WORD_1
	v_cmp_gt_i64_e64 s[12:13], 0, v[3:4]
	v_not_b32_e32 v4, v4
	v_ashrrev_i32_e32 v4, 31, v4
	v_and_b32_e32 v1, v1, v9
	v_xor_b32_e32 v9, s13, v4
	v_xor_b32_e32 v4, s12, v4
	v_and_b32_e32 v2, v2, v4
	v_lshlrev_b32_sdwa v4, v15, v8 dst_sel:DWORD dst_unused:UNUSED_PAD src0_sel:DWORD src1_sel:WORD_1
	v_cmp_gt_i64_e64 s[12:13], 0, v[3:4]
	v_not_b32_e32 v4, v4
	;; [unrolled: 8-line block ×4, first 2 shown]
	v_ashrrev_i32_e32 v4, 31, v4
	v_and_b32_e32 v1, v1, v9
	v_xor_b32_e32 v9, s13, v4
	v_xor_b32_e32 v4, s12, v4
	v_and_b32_e32 v1, v1, v9
	v_and_b32_e32 v9, v2, v4
	v_lshlrev_b32_sdwa v4, v23, v8 dst_sel:DWORD dst_unused:UNUSED_PAD src0_sel:DWORD src1_sel:WORD_1
	v_cmp_gt_i64_e64 s[12:13], 0, v[3:4]
	v_not_b32_e32 v2, v4
	v_ashrrev_i32_e32 v2, 31, v2
	v_xor_b32_e32 v4, s13, v2
	v_xor_b32_e32 v10, s12, v2
	; wave barrier
	ds_read_b64 v[5:6], v19
	v_and_b32_e32 v2, v1, v4
	v_and_b32_e32 v1, v9, v10
	v_mbcnt_lo_u32_b32 v4, v1, 0
	v_mbcnt_hi_u32_b32 v4, v2, v4
	v_cmp_ne_u64_e64 s[12:13], 0, v[1:2]
	v_cmp_eq_u32_e64 s[14:15], 0, v4
	s_and_b64 s[14:15], s[14:15], s[12:13]
	s_waitcnt lgkmcnt(0)
	; wave barrier
	ds_write2_b32 v18, v3, v3 offset0:1 offset1:2
	ds_write2_b32 v18, v3, v3 offset0:3 offset1:4
	s_waitcnt lgkmcnt(0)
	; wave barrier
	; wave barrier
	s_and_saveexec_b64 s[12:13], s[14:15]
; %bb.11:                               ;   in Loop: Header=BB337_2 Depth=1
	v_bcnt_u32_b32 v1, v1, 0
	v_bcnt_u32_b32 v1, v2, v1
	ds_write_b32 v24, v1 offset:4
; %bb.12:                               ;   in Loop: Header=BB337_2 Depth=1
	s_or_b64 exec, exec, s[12:13]
	; wave barrier
	s_waitcnt lgkmcnt(0)
	; wave barrier
	ds_read2_b32 v[9:10], v18 offset0:1 offset1:2
	ds_read2_b32 v[1:2], v18 offset0:3 offset1:4
	s_waitcnt lgkmcnt(1)
	v_add_u32_e32 v25, v10, v9
	s_waitcnt lgkmcnt(0)
	v_add3_u32 v2, v25, v1, v2
	s_nop 1
	v_mov_b32_dpp v25, v2 row_shr:1 row_mask:0xf bank_mask:0xf
	v_cndmask_b32_e64 v25, v25, 0, s[2:3]
	v_add_u32_e32 v2, v25, v2
	s_nop 1
	v_mov_b32_dpp v25, v2 row_shr:2 row_mask:0xf bank_mask:0xf
	v_cndmask_b32_e64 v25, 0, v25, s[4:5]
	v_add_u32_e32 v2, v2, v25
	;; [unrolled: 4-line block ×4, first 2 shown]
	s_nop 1
	v_mov_b32_dpp v25, v2 row_bcast:15 row_mask:0xf bank_mask:0xf
	v_cndmask_b32_e64 v25, v25, 0, s[10:11]
	v_add_u32_e32 v2, v2, v25
	s_nop 1
	v_mov_b32_dpp v25, v2 row_bcast:31 row_mask:0xf bank_mask:0xf
	v_cndmask_b32_e64 v25, 0, v25, s[0:1]
	v_add_u32_e32 v2, v2, v25
	s_and_saveexec_b64 s[12:13], vcc
; %bb.13:                               ;   in Loop: Header=BB337_2 Depth=1
	ds_write_b32 v3, v2
; %bb.14:                               ;   in Loop: Header=BB337_2 Depth=1
	s_or_b64 exec, exec, s[12:13]
	ds_bpermute_b32 v2, v21, v2
	s_waitcnt lgkmcnt(0)
	; wave barrier
	v_cndmask_b32_e64 v2, v2, 0, s[16:17]
	v_add_u32_e32 v9, v2, v9
	v_add_u32_e32 v10, v9, v10
	;; [unrolled: 1-line block ×3, first 2 shown]
	ds_write2_b32 v18, v2, v9 offset0:1 offset1:2
	ds_write2_b32 v18, v10, v1 offset0:3 offset1:4
	s_waitcnt lgkmcnt(0)
	; wave barrier
	ds_read_b32 v1, v24 offset:4
	v_lshlrev_b32_e32 v2, 3, v4
	s_waitcnt lgkmcnt(0)
	; wave barrier
	v_lshl_add_u32 v4, v1, 3, v2
	ds_write_b64 v4, v[7:8]
	s_waitcnt lgkmcnt(0)
	; wave barrier
	ds_read_b64 v[1:2], v19
	s_waitcnt lgkmcnt(0)
	; wave barrier
	ds_write_b64 v4, v[5:6]
	s_waitcnt lgkmcnt(0)
	v_lshrrev_b32_e32 v7, 24, v2
	v_and_b32_e32 v4, 1, v7
	v_add_co_u32_e64 v8, s[12:13], -1, v4
	v_addc_co_u32_e64 v9, s[12:13], 0, -1, s[12:13]
	v_cmp_ne_u32_e64 s[12:13], 0, v4
	v_xor_b32_e32 v4, s13, v9
	v_and_b32_e32 v9, exec_hi, v4
	v_lshlrev_b32_e32 v4, 30, v7
	v_xor_b32_e32 v8, s12, v8
	v_cmp_gt_i64_e64 s[12:13], 0, v[3:4]
	v_not_b32_e32 v4, v4
	v_ashrrev_i32_e32 v4, 31, v4
	v_and_b32_e32 v8, exec_lo, v8
	v_xor_b32_e32 v10, s13, v4
	v_xor_b32_e32 v4, s12, v4
	v_and_b32_e32 v8, v8, v4
	v_lshlrev_b32_e32 v4, 29, v7
	v_cmp_gt_i64_e64 s[12:13], 0, v[3:4]
	v_not_b32_e32 v4, v4
	v_ashrrev_i32_e32 v4, 31, v4
	v_and_b32_e32 v9, v9, v10
	v_xor_b32_e32 v10, s13, v4
	v_xor_b32_e32 v4, s12, v4
	v_and_b32_e32 v8, v8, v4
	v_lshlrev_b32_e32 v4, 28, v7
	v_cmp_gt_i64_e64 s[12:13], 0, v[3:4]
	v_not_b32_e32 v4, v4
	v_ashrrev_i32_e32 v4, 31, v4
	v_and_b32_e32 v9, v9, v10
	;; [unrolled: 8-line block ×5, first 2 shown]
	v_xor_b32_e32 v10, s13, v4
	v_xor_b32_e32 v4, s12, v4
	v_and_b32_e32 v9, v9, v10
	v_and_b32_e32 v10, v8, v4
	v_lshlrev_b32_e32 v4, 24, v7
	v_cmp_gt_i64_e64 s[12:13], 0, v[3:4]
	v_not_b32_e32 v4, v4
	v_ashrrev_i32_e32 v4, 31, v4
	v_lshl_add_u32 v24, v7, 2, v22
	v_xor_b32_e32 v7, s13, v4
	v_xor_b32_e32 v4, s12, v4
	; wave barrier
	ds_read_b64 v[5:6], v19
	v_and_b32_e32 v8, v9, v7
	v_and_b32_e32 v7, v10, v4
	v_mbcnt_lo_u32_b32 v4, v7, 0
	v_mbcnt_hi_u32_b32 v4, v8, v4
	v_cmp_ne_u64_e64 s[12:13], 0, v[7:8]
	v_cmp_eq_u32_e64 s[14:15], 0, v4
	s_and_b64 s[14:15], s[14:15], s[12:13]
	s_waitcnt lgkmcnt(0)
	; wave barrier
	ds_write2_b32 v18, v3, v3 offset0:1 offset1:2
	ds_write2_b32 v18, v3, v3 offset0:3 offset1:4
	s_waitcnt lgkmcnt(0)
	; wave barrier
	; wave barrier
	s_and_saveexec_b64 s[12:13], s[14:15]
; %bb.15:                               ;   in Loop: Header=BB337_2 Depth=1
	v_bcnt_u32_b32 v7, v7, 0
	v_bcnt_u32_b32 v7, v8, v7
	ds_write_b32 v24, v7 offset:4
; %bb.16:                               ;   in Loop: Header=BB337_2 Depth=1
	s_or_b64 exec, exec, s[12:13]
	; wave barrier
	s_waitcnt lgkmcnt(0)
	; wave barrier
	ds_read2_b32 v[9:10], v18 offset0:1 offset1:2
	ds_read2_b32 v[7:8], v18 offset0:3 offset1:4
	s_waitcnt lgkmcnt(1)
	v_add_u32_e32 v25, v10, v9
	s_waitcnt lgkmcnt(0)
	v_add3_u32 v8, v25, v7, v8
	s_nop 1
	v_mov_b32_dpp v25, v8 row_shr:1 row_mask:0xf bank_mask:0xf
	v_cndmask_b32_e64 v25, v25, 0, s[2:3]
	v_add_u32_e32 v8, v25, v8
	s_nop 1
	v_mov_b32_dpp v25, v8 row_shr:2 row_mask:0xf bank_mask:0xf
	v_cndmask_b32_e64 v25, 0, v25, s[4:5]
	v_add_u32_e32 v8, v8, v25
	;; [unrolled: 4-line block ×4, first 2 shown]
	s_nop 1
	v_mov_b32_dpp v25, v8 row_bcast:15 row_mask:0xf bank_mask:0xf
	v_cndmask_b32_e64 v25, v25, 0, s[10:11]
	v_add_u32_e32 v8, v8, v25
	s_nop 1
	v_mov_b32_dpp v25, v8 row_bcast:31 row_mask:0xf bank_mask:0xf
	v_cndmask_b32_e64 v25, 0, v25, s[0:1]
	v_add_u32_e32 v8, v8, v25
	s_and_saveexec_b64 s[12:13], vcc
; %bb.17:                               ;   in Loop: Header=BB337_2 Depth=1
	ds_write_b32 v3, v8
; %bb.18:                               ;   in Loop: Header=BB337_2 Depth=1
	s_or_b64 exec, exec, s[12:13]
	ds_bpermute_b32 v8, v21, v8
	s_waitcnt lgkmcnt(0)
	; wave barrier
	v_lshlrev_b32_e32 v4, 3, v4
	v_cndmask_b32_e64 v8, v8, 0, s[16:17]
	v_add_u32_e32 v9, v8, v9
	v_add_u32_e32 v10, v9, v10
	;; [unrolled: 1-line block ×3, first 2 shown]
	ds_write2_b32 v18, v8, v9 offset0:1 offset1:2
	ds_write2_b32 v18, v10, v7 offset0:3 offset1:4
	s_waitcnt lgkmcnt(0)
	; wave barrier
	ds_read_b32 v7, v24 offset:4
	s_waitcnt lgkmcnt(0)
	; wave barrier
	v_lshl_add_u32 v4, v7, 3, v4
	ds_write_b64 v4, v[1:2]
	s_waitcnt lgkmcnt(0)
	; wave barrier
	ds_read_b64 v[1:2], v19
	s_waitcnt lgkmcnt(0)
	; wave barrier
	ds_write_b64 v4, v[5:6]
	s_waitcnt lgkmcnt(0)
	v_and_b32_e32 v4, 0xff, v1
	v_lshl_add_u32 v24, v4, 2, v22
	v_and_b32_e32 v4, 1, v1
	v_add_co_u32_e64 v7, s[12:13], -1, v4
	v_addc_co_u32_e64 v8, s[12:13], 0, -1, s[12:13]
	v_cmp_ne_u32_e64 s[12:13], 0, v4
	v_xor_b32_e32 v4, s13, v8
	v_and_b32_e32 v8, exec_hi, v4
	v_lshlrev_b32_e32 v4, 30, v1
	v_xor_b32_e32 v7, s12, v7
	v_cmp_gt_i64_e64 s[12:13], 0, v[3:4]
	v_not_b32_e32 v4, v4
	v_ashrrev_i32_e32 v4, 31, v4
	v_and_b32_e32 v7, exec_lo, v7
	v_xor_b32_e32 v9, s13, v4
	v_xor_b32_e32 v4, s12, v4
	v_and_b32_e32 v7, v7, v4
	v_lshlrev_b32_e32 v4, 29, v1
	v_cmp_gt_i64_e64 s[12:13], 0, v[3:4]
	v_not_b32_e32 v4, v4
	v_ashrrev_i32_e32 v4, 31, v4
	v_and_b32_e32 v8, v8, v9
	v_xor_b32_e32 v9, s13, v4
	v_xor_b32_e32 v4, s12, v4
	v_and_b32_e32 v7, v7, v4
	v_lshlrev_b32_e32 v4, 28, v1
	v_cmp_gt_i64_e64 s[12:13], 0, v[3:4]
	v_not_b32_e32 v4, v4
	v_ashrrev_i32_e32 v4, 31, v4
	v_and_b32_e32 v8, v8, v9
	v_xor_b32_e32 v9, s13, v4
	v_xor_b32_e32 v4, s12, v4
	v_and_b32_e32 v7, v7, v4
	v_lshlrev_b32_e32 v4, 27, v1
	v_cmp_gt_i64_e64 s[12:13], 0, v[3:4]
	v_not_b32_e32 v4, v4
	v_ashrrev_i32_e32 v4, 31, v4
	v_and_b32_e32 v8, v8, v9
	v_xor_b32_e32 v9, s13, v4
	v_xor_b32_e32 v4, s12, v4
	v_and_b32_e32 v7, v7, v4
	v_lshlrev_b32_e32 v4, 26, v1
	v_cmp_gt_i64_e64 s[12:13], 0, v[3:4]
	v_not_b32_e32 v4, v4
	v_ashrrev_i32_e32 v4, 31, v4
	v_and_b32_e32 v8, v8, v9
	v_xor_b32_e32 v9, s13, v4
	v_xor_b32_e32 v4, s12, v4
	v_and_b32_e32 v7, v7, v4
	v_lshlrev_b32_e32 v4, 25, v1
	v_cmp_gt_i64_e64 s[12:13], 0, v[3:4]
	v_not_b32_e32 v4, v4
	v_ashrrev_i32_e32 v4, 31, v4
	v_and_b32_e32 v8, v8, v9
	v_xor_b32_e32 v9, s13, v4
	v_xor_b32_e32 v4, s12, v4
	v_and_b32_e32 v7, v7, v4
	v_lshlrev_b32_e32 v4, 24, v1
	v_cmp_gt_i64_e64 s[12:13], 0, v[3:4]
	v_not_b32_e32 v4, v4
	v_ashrrev_i32_e32 v4, 31, v4
	v_and_b32_e32 v8, v8, v9
	v_xor_b32_e32 v9, s13, v4
	v_xor_b32_e32 v4, s12, v4
	; wave barrier
	ds_read_b64 v[5:6], v19
	v_and_b32_e32 v7, v7, v4
	v_and_b32_e32 v8, v8, v9
	v_mbcnt_lo_u32_b32 v4, v7, 0
	v_mbcnt_hi_u32_b32 v4, v8, v4
	v_cmp_ne_u64_e64 s[12:13], 0, v[7:8]
	v_cmp_eq_u32_e64 s[14:15], 0, v4
	s_and_b64 s[14:15], s[14:15], s[12:13]
	s_waitcnt lgkmcnt(0)
	; wave barrier
	ds_write2_b32 v18, v3, v3 offset0:1 offset1:2
	ds_write2_b32 v18, v3, v3 offset0:3 offset1:4
	s_waitcnt lgkmcnt(0)
	; wave barrier
	; wave barrier
	s_and_saveexec_b64 s[12:13], s[14:15]
; %bb.19:                               ;   in Loop: Header=BB337_2 Depth=1
	v_bcnt_u32_b32 v7, v7, 0
	v_bcnt_u32_b32 v7, v8, v7
	ds_write_b32 v24, v7 offset:4
; %bb.20:                               ;   in Loop: Header=BB337_2 Depth=1
	s_or_b64 exec, exec, s[12:13]
	; wave barrier
	s_waitcnt lgkmcnt(0)
	; wave barrier
	ds_read2_b32 v[9:10], v18 offset0:1 offset1:2
	ds_read2_b32 v[7:8], v18 offset0:3 offset1:4
	s_waitcnt lgkmcnt(1)
	v_add_u32_e32 v25, v10, v9
	s_waitcnt lgkmcnt(0)
	v_add3_u32 v8, v25, v7, v8
	s_nop 1
	v_mov_b32_dpp v25, v8 row_shr:1 row_mask:0xf bank_mask:0xf
	v_cndmask_b32_e64 v25, v25, 0, s[2:3]
	v_add_u32_e32 v8, v25, v8
	s_nop 1
	v_mov_b32_dpp v25, v8 row_shr:2 row_mask:0xf bank_mask:0xf
	v_cndmask_b32_e64 v25, 0, v25, s[4:5]
	v_add_u32_e32 v8, v8, v25
	;; [unrolled: 4-line block ×4, first 2 shown]
	s_nop 1
	v_mov_b32_dpp v25, v8 row_bcast:15 row_mask:0xf bank_mask:0xf
	v_cndmask_b32_e64 v25, v25, 0, s[10:11]
	v_add_u32_e32 v8, v8, v25
	s_nop 1
	v_mov_b32_dpp v25, v8 row_bcast:31 row_mask:0xf bank_mask:0xf
	v_cndmask_b32_e64 v25, 0, v25, s[0:1]
	v_add_u32_e32 v8, v8, v25
	s_and_saveexec_b64 s[12:13], vcc
; %bb.21:                               ;   in Loop: Header=BB337_2 Depth=1
	ds_write_b32 v3, v8
; %bb.22:                               ;   in Loop: Header=BB337_2 Depth=1
	s_or_b64 exec, exec, s[12:13]
	ds_bpermute_b32 v8, v21, v8
	s_waitcnt lgkmcnt(0)
	; wave barrier
	v_lshlrev_b32_e32 v4, 3, v4
	v_cndmask_b32_e64 v8, v8, 0, s[16:17]
	v_add_u32_e32 v9, v8, v9
	v_add_u32_e32 v10, v9, v10
	v_add_u32_e32 v7, v10, v7
	ds_write2_b32 v18, v8, v9 offset0:1 offset1:2
	ds_write2_b32 v18, v10, v7 offset0:3 offset1:4
	s_waitcnt lgkmcnt(0)
	; wave barrier
	ds_read_b32 v7, v24 offset:4
	s_waitcnt lgkmcnt(0)
	; wave barrier
	v_lshl_add_u32 v4, v7, 3, v4
	ds_write_b64 v4, v[1:2]
	s_waitcnt lgkmcnt(0)
	; wave barrier
	ds_read_b64 v[1:2], v19
	s_waitcnt lgkmcnt(0)
	; wave barrier
	ds_write_b64 v4, v[5:6]
	s_waitcnt lgkmcnt(0)
	v_lshrrev_b32_e32 v7, 8, v1
	v_and_b32_e32 v4, 0xff, v7
	v_lshl_add_u32 v24, v4, 2, v22
	v_and_b32_e32 v4, 1, v7
	v_add_co_u32_e64 v8, s[12:13], -1, v4
	v_addc_co_u32_e64 v9, s[12:13], 0, -1, s[12:13]
	v_cmp_ne_u32_e64 s[12:13], 0, v4
	v_xor_b32_e32 v4, s13, v9
	v_and_b32_e32 v9, exec_hi, v4
	v_lshlrev_b32_e32 v4, 30, v7
	v_xor_b32_e32 v8, s12, v8
	v_cmp_gt_i64_e64 s[12:13], 0, v[3:4]
	v_not_b32_e32 v4, v4
	v_ashrrev_i32_e32 v4, 31, v4
	v_and_b32_e32 v8, exec_lo, v8
	v_xor_b32_e32 v10, s13, v4
	v_xor_b32_e32 v4, s12, v4
	v_and_b32_e32 v8, v8, v4
	v_lshlrev_b32_e32 v4, 29, v7
	v_cmp_gt_i64_e64 s[12:13], 0, v[3:4]
	v_not_b32_e32 v4, v4
	v_ashrrev_i32_e32 v4, 31, v4
	v_and_b32_e32 v9, v9, v10
	v_xor_b32_e32 v10, s13, v4
	v_xor_b32_e32 v4, s12, v4
	v_and_b32_e32 v8, v8, v4
	v_lshlrev_b32_e32 v4, 28, v7
	v_cmp_gt_i64_e64 s[12:13], 0, v[3:4]
	v_not_b32_e32 v4, v4
	v_ashrrev_i32_e32 v4, 31, v4
	v_and_b32_e32 v9, v9, v10
	;; [unrolled: 8-line block ×5, first 2 shown]
	v_xor_b32_e32 v10, s13, v4
	v_xor_b32_e32 v4, s12, v4
	v_and_b32_e32 v9, v9, v10
	v_and_b32_e32 v10, v8, v4
	v_lshlrev_b32_e32 v4, 24, v7
	v_cmp_gt_i64_e64 s[12:13], 0, v[3:4]
	v_not_b32_e32 v4, v4
	v_ashrrev_i32_e32 v4, 31, v4
	v_xor_b32_e32 v7, s13, v4
	v_xor_b32_e32 v4, s12, v4
	; wave barrier
	ds_read_b64 v[5:6], v19
	v_and_b32_e32 v8, v9, v7
	v_and_b32_e32 v7, v10, v4
	v_mbcnt_lo_u32_b32 v4, v7, 0
	v_mbcnt_hi_u32_b32 v4, v8, v4
	v_cmp_ne_u64_e64 s[12:13], 0, v[7:8]
	v_cmp_eq_u32_e64 s[14:15], 0, v4
	s_and_b64 s[14:15], s[14:15], s[12:13]
	s_waitcnt lgkmcnt(0)
	; wave barrier
	ds_write2_b32 v18, v3, v3 offset0:1 offset1:2
	ds_write2_b32 v18, v3, v3 offset0:3 offset1:4
	s_waitcnt lgkmcnt(0)
	; wave barrier
	; wave barrier
	s_and_saveexec_b64 s[12:13], s[14:15]
; %bb.23:                               ;   in Loop: Header=BB337_2 Depth=1
	v_bcnt_u32_b32 v7, v7, 0
	v_bcnt_u32_b32 v7, v8, v7
	ds_write_b32 v24, v7 offset:4
; %bb.24:                               ;   in Loop: Header=BB337_2 Depth=1
	s_or_b64 exec, exec, s[12:13]
	; wave barrier
	s_waitcnt lgkmcnt(0)
	; wave barrier
	ds_read2_b32 v[9:10], v18 offset0:1 offset1:2
	ds_read2_b32 v[7:8], v18 offset0:3 offset1:4
	s_waitcnt lgkmcnt(1)
	v_add_u32_e32 v25, v10, v9
	s_waitcnt lgkmcnt(0)
	v_add3_u32 v8, v25, v7, v8
	s_nop 1
	v_mov_b32_dpp v25, v8 row_shr:1 row_mask:0xf bank_mask:0xf
	v_cndmask_b32_e64 v25, v25, 0, s[2:3]
	v_add_u32_e32 v8, v25, v8
	s_nop 1
	v_mov_b32_dpp v25, v8 row_shr:2 row_mask:0xf bank_mask:0xf
	v_cndmask_b32_e64 v25, 0, v25, s[4:5]
	v_add_u32_e32 v8, v8, v25
	;; [unrolled: 4-line block ×4, first 2 shown]
	s_nop 1
	v_mov_b32_dpp v25, v8 row_bcast:15 row_mask:0xf bank_mask:0xf
	v_cndmask_b32_e64 v25, v25, 0, s[10:11]
	v_add_u32_e32 v8, v8, v25
	s_nop 1
	v_mov_b32_dpp v25, v8 row_bcast:31 row_mask:0xf bank_mask:0xf
	v_cndmask_b32_e64 v25, 0, v25, s[0:1]
	v_add_u32_e32 v8, v8, v25
	s_and_saveexec_b64 s[12:13], vcc
; %bb.25:                               ;   in Loop: Header=BB337_2 Depth=1
	ds_write_b32 v3, v8
; %bb.26:                               ;   in Loop: Header=BB337_2 Depth=1
	s_or_b64 exec, exec, s[12:13]
	ds_bpermute_b32 v8, v21, v8
	s_waitcnt lgkmcnt(0)
	; wave barrier
	v_lshlrev_b32_e32 v4, 3, v4
	v_cndmask_b32_e64 v8, v8, 0, s[16:17]
	v_add_u32_e32 v9, v8, v9
	v_add_u32_e32 v10, v9, v10
	v_add_u32_e32 v7, v10, v7
	ds_write2_b32 v18, v8, v9 offset0:1 offset1:2
	ds_write2_b32 v18, v10, v7 offset0:3 offset1:4
	s_waitcnt lgkmcnt(0)
	; wave barrier
	ds_read_b32 v7, v24 offset:4
	s_waitcnt lgkmcnt(0)
	; wave barrier
	v_lshl_add_u32 v4, v7, 3, v4
	ds_write_b64 v4, v[1:2]
	s_waitcnt lgkmcnt(0)
	; wave barrier
	ds_read_b64 v[1:2], v19
	s_waitcnt lgkmcnt(0)
	; wave barrier
	ds_write_b64 v4, v[5:6]
	s_waitcnt lgkmcnt(0)
	v_and_b32_sdwa v4, v1, s23 dst_sel:DWORD dst_unused:UNUSED_PAD src0_sel:WORD_1 src1_sel:DWORD
	v_lshl_add_u32 v6, v4, 2, v22
	v_and_b32_sdwa v4, v1, v11 dst_sel:DWORD dst_unused:UNUSED_PAD src0_sel:WORD_1 src1_sel:DWORD
	v_add_co_u32_e64 v5, s[12:13], -1, v4
	v_addc_co_u32_e64 v9, s[12:13], 0, -1, s[12:13]
	v_cmp_ne_u32_e64 s[12:13], 0, v4
	v_xor_b32_e32 v4, s13, v9
	v_and_b32_e32 v9, exec_hi, v4
	v_lshlrev_b32_sdwa v4, v12, v1 dst_sel:DWORD dst_unused:UNUSED_PAD src0_sel:DWORD src1_sel:WORD_1
	v_xor_b32_e32 v5, s12, v5
	v_cmp_gt_i64_e64 s[12:13], 0, v[3:4]
	v_not_b32_e32 v4, v4
	v_ashrrev_i32_e32 v4, 31, v4
	v_and_b32_e32 v5, exec_lo, v5
	v_xor_b32_e32 v10, s13, v4
	v_xor_b32_e32 v4, s12, v4
	v_and_b32_e32 v5, v5, v4
	v_lshlrev_b32_sdwa v4, v13, v1 dst_sel:DWORD dst_unused:UNUSED_PAD src0_sel:DWORD src1_sel:WORD_1
	v_cmp_gt_i64_e64 s[12:13], 0, v[3:4]
	v_not_b32_e32 v4, v4
	v_ashrrev_i32_e32 v4, 31, v4
	v_and_b32_e32 v9, v9, v10
	v_xor_b32_e32 v10, s13, v4
	v_xor_b32_e32 v4, s12, v4
	v_and_b32_e32 v5, v5, v4
	v_lshlrev_b32_sdwa v4, v14, v1 dst_sel:DWORD dst_unused:UNUSED_PAD src0_sel:DWORD src1_sel:WORD_1
	v_cmp_gt_i64_e64 s[12:13], 0, v[3:4]
	v_not_b32_e32 v4, v4
	v_ashrrev_i32_e32 v4, 31, v4
	v_and_b32_e32 v9, v9, v10
	v_xor_b32_e32 v10, s13, v4
	v_xor_b32_e32 v4, s12, v4
	v_and_b32_e32 v5, v5, v4
	v_lshlrev_b32_sdwa v4, v15, v1 dst_sel:DWORD dst_unused:UNUSED_PAD src0_sel:DWORD src1_sel:WORD_1
	v_cmp_gt_i64_e64 s[12:13], 0, v[3:4]
	v_not_b32_e32 v4, v4
	v_ashrrev_i32_e32 v4, 31, v4
	v_and_b32_e32 v9, v9, v10
	v_xor_b32_e32 v10, s13, v4
	v_xor_b32_e32 v4, s12, v4
	v_and_b32_e32 v5, v5, v4
	v_lshlrev_b32_sdwa v4, v16, v1 dst_sel:DWORD dst_unused:UNUSED_PAD src0_sel:DWORD src1_sel:WORD_1
	v_cmp_gt_i64_e64 s[12:13], 0, v[3:4]
	v_not_b32_e32 v4, v4
	v_ashrrev_i32_e32 v4, 31, v4
	v_and_b32_e32 v9, v9, v10
	v_xor_b32_e32 v10, s13, v4
	v_xor_b32_e32 v4, s12, v4
	v_and_b32_e32 v5, v5, v4
	v_lshlrev_b32_sdwa v4, v17, v1 dst_sel:DWORD dst_unused:UNUSED_PAD src0_sel:DWORD src1_sel:WORD_1
	v_cmp_gt_i64_e64 s[12:13], 0, v[3:4]
	v_not_b32_e32 v4, v4
	v_ashrrev_i32_e32 v4, 31, v4
	v_and_b32_e32 v9, v9, v10
	v_xor_b32_e32 v10, s13, v4
	v_xor_b32_e32 v4, s12, v4
	v_and_b32_e32 v9, v9, v10
	v_and_b32_e32 v10, v5, v4
	v_lshlrev_b32_sdwa v4, v23, v1 dst_sel:DWORD dst_unused:UNUSED_PAD src0_sel:DWORD src1_sel:WORD_1
	v_cmp_gt_i64_e64 s[12:13], 0, v[3:4]
	v_not_b32_e32 v4, v4
	v_ashrrev_i32_e32 v4, 31, v4
	v_xor_b32_e32 v5, s13, v4
	v_xor_b32_e32 v4, s12, v4
	; wave barrier
	ds_read_b64 v[7:8], v19
	v_and_b32_e32 v4, v10, v4
	v_and_b32_e32 v5, v9, v5
	v_mbcnt_lo_u32_b32 v9, v4, 0
	v_mbcnt_hi_u32_b32 v24, v5, v9
	v_cmp_ne_u64_e64 s[12:13], 0, v[4:5]
	v_cmp_eq_u32_e64 s[14:15], 0, v24
	s_and_b64 s[14:15], s[14:15], s[12:13]
	s_waitcnt lgkmcnt(0)
	; wave barrier
	ds_write2_b32 v18, v3, v3 offset0:1 offset1:2
	ds_write2_b32 v18, v3, v3 offset0:3 offset1:4
	s_waitcnt lgkmcnt(0)
	; wave barrier
	; wave barrier
	s_and_saveexec_b64 s[12:13], s[14:15]
; %bb.27:                               ;   in Loop: Header=BB337_2 Depth=1
	v_bcnt_u32_b32 v4, v4, 0
	v_bcnt_u32_b32 v4, v5, v4
	ds_write_b32 v6, v4 offset:4
; %bb.28:                               ;   in Loop: Header=BB337_2 Depth=1
	s_or_b64 exec, exec, s[12:13]
	; wave barrier
	s_waitcnt lgkmcnt(0)
	; wave barrier
	ds_read2_b32 v[9:10], v18 offset0:1 offset1:2
	ds_read2_b32 v[4:5], v18 offset0:3 offset1:4
	s_waitcnt lgkmcnt(1)
	v_add_u32_e32 v25, v10, v9
	s_waitcnt lgkmcnt(0)
	v_add3_u32 v5, v25, v4, v5
	s_nop 1
	v_mov_b32_dpp v25, v5 row_shr:1 row_mask:0xf bank_mask:0xf
	v_cndmask_b32_e64 v25, v25, 0, s[2:3]
	v_add_u32_e32 v5, v25, v5
	s_nop 1
	v_mov_b32_dpp v25, v5 row_shr:2 row_mask:0xf bank_mask:0xf
	v_cndmask_b32_e64 v25, 0, v25, s[4:5]
	v_add_u32_e32 v5, v5, v25
	;; [unrolled: 4-line block ×4, first 2 shown]
	s_nop 1
	v_mov_b32_dpp v25, v5 row_bcast:15 row_mask:0xf bank_mask:0xf
	v_cndmask_b32_e64 v25, v25, 0, s[10:11]
	v_add_u32_e32 v5, v5, v25
	s_nop 1
	v_mov_b32_dpp v25, v5 row_bcast:31 row_mask:0xf bank_mask:0xf
	v_cndmask_b32_e64 v25, 0, v25, s[0:1]
	v_add_u32_e32 v5, v5, v25
	s_and_saveexec_b64 s[12:13], vcc
; %bb.29:                               ;   in Loop: Header=BB337_2 Depth=1
	ds_write_b32 v3, v5
; %bb.30:                               ;   in Loop: Header=BB337_2 Depth=1
	s_or_b64 exec, exec, s[12:13]
	ds_bpermute_b32 v5, v21, v5
	s_waitcnt lgkmcnt(0)
	; wave barrier
	v_cndmask_b32_e64 v5, v5, 0, s[16:17]
	v_add_u32_e32 v9, v5, v9
	v_add_u32_e32 v10, v9, v10
	;; [unrolled: 1-line block ×3, first 2 shown]
	ds_write2_b32 v18, v5, v9 offset0:1 offset1:2
	ds_write2_b32 v18, v10, v4 offset0:3 offset1:4
	s_waitcnt lgkmcnt(0)
	; wave barrier
	ds_read_b32 v4, v6 offset:4
	v_lshlrev_b32_e32 v5, 3, v24
	s_waitcnt lgkmcnt(0)
	; wave barrier
	v_lshl_add_u32 v4, v4, 3, v5
	ds_write_b64 v4, v[1:2]
	s_waitcnt lgkmcnt(0)
	; wave barrier
	ds_read_b64 v[5:6], v19
	s_waitcnt lgkmcnt(0)
	; wave barrier
	ds_write_b64 v4, v[7:8]
	s_waitcnt lgkmcnt(0)
	v_lshrrev_b32_e32 v7, 24, v5
	v_and_b32_e32 v4, 1, v7
	v_add_co_u32_e64 v8, s[12:13], -1, v4
	v_addc_co_u32_e64 v9, s[12:13], 0, -1, s[12:13]
	v_cmp_ne_u32_e64 s[12:13], 0, v4
	v_xor_b32_e32 v4, s13, v9
	v_and_b32_e32 v9, exec_hi, v4
	v_lshlrev_b32_e32 v4, 30, v7
	v_xor_b32_e32 v8, s12, v8
	v_cmp_gt_i64_e64 s[12:13], 0, v[3:4]
	v_not_b32_e32 v4, v4
	v_ashrrev_i32_e32 v4, 31, v4
	v_and_b32_e32 v8, exec_lo, v8
	v_xor_b32_e32 v10, s13, v4
	v_xor_b32_e32 v4, s12, v4
	v_and_b32_e32 v8, v8, v4
	v_lshlrev_b32_e32 v4, 29, v7
	v_cmp_gt_i64_e64 s[12:13], 0, v[3:4]
	v_not_b32_e32 v4, v4
	v_ashrrev_i32_e32 v4, 31, v4
	v_and_b32_e32 v9, v9, v10
	v_xor_b32_e32 v10, s13, v4
	v_xor_b32_e32 v4, s12, v4
	v_and_b32_e32 v8, v8, v4
	v_lshlrev_b32_e32 v4, 28, v7
	v_cmp_gt_i64_e64 s[12:13], 0, v[3:4]
	v_not_b32_e32 v4, v4
	v_ashrrev_i32_e32 v4, 31, v4
	v_and_b32_e32 v9, v9, v10
	v_xor_b32_e32 v10, s13, v4
	v_xor_b32_e32 v4, s12, v4
	v_and_b32_e32 v8, v8, v4
	v_lshlrev_b32_e32 v4, 27, v7
	v_cmp_gt_i64_e64 s[12:13], 0, v[3:4]
	v_not_b32_e32 v4, v4
	v_ashrrev_i32_e32 v4, 31, v4
	v_and_b32_e32 v9, v9, v10
	v_xor_b32_e32 v10, s13, v4
	v_xor_b32_e32 v4, s12, v4
	v_and_b32_e32 v8, v8, v4
	v_lshlrev_b32_e32 v4, 26, v7
	v_cmp_gt_i64_e64 s[12:13], 0, v[3:4]
	v_not_b32_e32 v4, v4
	v_ashrrev_i32_e32 v4, 31, v4
	v_and_b32_e32 v9, v9, v10
	v_xor_b32_e32 v10, s13, v4
	v_xor_b32_e32 v4, s12, v4
	v_and_b32_e32 v8, v8, v4
	v_lshlrev_b32_e32 v4, 25, v7
	v_cmp_gt_i64_e64 s[12:13], 0, v[3:4]
	v_not_b32_e32 v4, v4
	v_ashrrev_i32_e32 v4, 31, v4
	v_and_b32_e32 v9, v9, v10
	v_xor_b32_e32 v10, s13, v4
	v_xor_b32_e32 v4, s12, v4
	v_and_b32_e32 v9, v9, v10
	v_and_b32_e32 v10, v8, v4
	v_lshlrev_b32_e32 v4, 24, v7
	v_cmp_gt_i64_e64 s[12:13], 0, v[3:4]
	v_not_b32_e32 v4, v4
	v_ashrrev_i32_e32 v4, 31, v4
	v_lshl_add_u32 v24, v7, 2, v22
	v_xor_b32_e32 v7, s13, v4
	v_xor_b32_e32 v4, s12, v4
	; wave barrier
	ds_read_b64 v[1:2], v19
	v_and_b32_e32 v8, v9, v7
	v_and_b32_e32 v7, v10, v4
	v_mbcnt_lo_u32_b32 v4, v7, 0
	v_mbcnt_hi_u32_b32 v4, v8, v4
	v_cmp_ne_u64_e64 s[12:13], 0, v[7:8]
	v_cmp_eq_u32_e64 s[14:15], 0, v4
	s_and_b64 s[14:15], s[14:15], s[12:13]
	s_waitcnt lgkmcnt(0)
	; wave barrier
	ds_write2_b32 v18, v3, v3 offset0:1 offset1:2
	ds_write2_b32 v18, v3, v3 offset0:3 offset1:4
	s_waitcnt lgkmcnt(0)
	; wave barrier
	; wave barrier
	s_and_saveexec_b64 s[12:13], s[14:15]
; %bb.31:                               ;   in Loop: Header=BB337_2 Depth=1
	v_bcnt_u32_b32 v7, v7, 0
	v_bcnt_u32_b32 v7, v8, v7
	ds_write_b32 v24, v7 offset:4
; %bb.32:                               ;   in Loop: Header=BB337_2 Depth=1
	s_or_b64 exec, exec, s[12:13]
	; wave barrier
	s_waitcnt lgkmcnt(0)
	; wave barrier
	ds_read2_b32 v[9:10], v18 offset0:1 offset1:2
	ds_read2_b32 v[7:8], v18 offset0:3 offset1:4
	s_waitcnt lgkmcnt(1)
	v_add_u32_e32 v25, v10, v9
	s_waitcnt lgkmcnt(0)
	v_add3_u32 v8, v25, v7, v8
	s_nop 1
	v_mov_b32_dpp v25, v8 row_shr:1 row_mask:0xf bank_mask:0xf
	v_cndmask_b32_e64 v25, v25, 0, s[2:3]
	v_add_u32_e32 v8, v25, v8
	s_nop 1
	v_mov_b32_dpp v25, v8 row_shr:2 row_mask:0xf bank_mask:0xf
	v_cndmask_b32_e64 v25, 0, v25, s[4:5]
	v_add_u32_e32 v8, v8, v25
	;; [unrolled: 4-line block ×4, first 2 shown]
	s_nop 1
	v_mov_b32_dpp v25, v8 row_bcast:15 row_mask:0xf bank_mask:0xf
	v_cndmask_b32_e64 v25, v25, 0, s[10:11]
	v_add_u32_e32 v8, v8, v25
	s_nop 1
	v_mov_b32_dpp v25, v8 row_bcast:31 row_mask:0xf bank_mask:0xf
	v_cndmask_b32_e64 v25, 0, v25, s[0:1]
	v_add_u32_e32 v8, v8, v25
	s_and_saveexec_b64 s[12:13], vcc
	s_cbranch_execz .LBB337_1
; %bb.33:                               ;   in Loop: Header=BB337_2 Depth=1
	ds_write_b32 v3, v8
	s_branch .LBB337_1
.LBB337_34:
	s_brev_b32 s0, 1
	s_waitcnt lgkmcnt(0)
	v_add3_u32 v1, v1, v5, s0
	v_add3_u32 v2, v2, v6, s0
	s_add_u32 s0, s18, s20
	s_addc_u32 s1, s19, s21
	v_lshlrev_b32_e32 v0, 3, v0
	global_store_dwordx2 v0, v[1:2], s[0:1]
	s_endpgm
	.section	.rodata,"a",@progbits
	.p2align	6, 0x0
	.amdhsa_kernel _Z17sort_pairs_kernelI22helper_blocked_stripedN15benchmark_utils11custom_typeIiiEELj64ELj1ELj10EEvPKT0_PS4_
		.amdhsa_group_segment_fixed_size 1040
		.amdhsa_private_segment_fixed_size 0
		.amdhsa_kernarg_size 272
		.amdhsa_user_sgpr_count 6
		.amdhsa_user_sgpr_private_segment_buffer 1
		.amdhsa_user_sgpr_dispatch_ptr 0
		.amdhsa_user_sgpr_queue_ptr 0
		.amdhsa_user_sgpr_kernarg_segment_ptr 1
		.amdhsa_user_sgpr_dispatch_id 0
		.amdhsa_user_sgpr_flat_scratch_init 0
		.amdhsa_user_sgpr_private_segment_size 0
		.amdhsa_uses_dynamic_stack 0
		.amdhsa_system_sgpr_private_segment_wavefront_offset 0
		.amdhsa_system_sgpr_workgroup_id_x 1
		.amdhsa_system_sgpr_workgroup_id_y 0
		.amdhsa_system_sgpr_workgroup_id_z 0
		.amdhsa_system_sgpr_workgroup_info 0
		.amdhsa_system_vgpr_workitem_id 2
		.amdhsa_next_free_vgpr 26
		.amdhsa_next_free_sgpr 26
		.amdhsa_reserve_vcc 1
		.amdhsa_reserve_flat_scratch 0
		.amdhsa_float_round_mode_32 0
		.amdhsa_float_round_mode_16_64 0
		.amdhsa_float_denorm_mode_32 3
		.amdhsa_float_denorm_mode_16_64 3
		.amdhsa_dx10_clamp 1
		.amdhsa_ieee_mode 1
		.amdhsa_fp16_overflow 0
		.amdhsa_exception_fp_ieee_invalid_op 0
		.amdhsa_exception_fp_denorm_src 0
		.amdhsa_exception_fp_ieee_div_zero 0
		.amdhsa_exception_fp_ieee_overflow 0
		.amdhsa_exception_fp_ieee_underflow 0
		.amdhsa_exception_fp_ieee_inexact 0
		.amdhsa_exception_int_div_zero 0
	.end_amdhsa_kernel
	.section	.text._Z17sort_pairs_kernelI22helper_blocked_stripedN15benchmark_utils11custom_typeIiiEELj64ELj1ELj10EEvPKT0_PS4_,"axG",@progbits,_Z17sort_pairs_kernelI22helper_blocked_stripedN15benchmark_utils11custom_typeIiiEELj64ELj1ELj10EEvPKT0_PS4_,comdat
.Lfunc_end337:
	.size	_Z17sort_pairs_kernelI22helper_blocked_stripedN15benchmark_utils11custom_typeIiiEELj64ELj1ELj10EEvPKT0_PS4_, .Lfunc_end337-_Z17sort_pairs_kernelI22helper_blocked_stripedN15benchmark_utils11custom_typeIiiEELj64ELj1ELj10EEvPKT0_PS4_
                                        ; -- End function
	.set _Z17sort_pairs_kernelI22helper_blocked_stripedN15benchmark_utils11custom_typeIiiEELj64ELj1ELj10EEvPKT0_PS4_.num_vgpr, 26
	.set _Z17sort_pairs_kernelI22helper_blocked_stripedN15benchmark_utils11custom_typeIiiEELj64ELj1ELj10EEvPKT0_PS4_.num_agpr, 0
	.set _Z17sort_pairs_kernelI22helper_blocked_stripedN15benchmark_utils11custom_typeIiiEELj64ELj1ELj10EEvPKT0_PS4_.numbered_sgpr, 26
	.set _Z17sort_pairs_kernelI22helper_blocked_stripedN15benchmark_utils11custom_typeIiiEELj64ELj1ELj10EEvPKT0_PS4_.num_named_barrier, 0
	.set _Z17sort_pairs_kernelI22helper_blocked_stripedN15benchmark_utils11custom_typeIiiEELj64ELj1ELj10EEvPKT0_PS4_.private_seg_size, 0
	.set _Z17sort_pairs_kernelI22helper_blocked_stripedN15benchmark_utils11custom_typeIiiEELj64ELj1ELj10EEvPKT0_PS4_.uses_vcc, 1
	.set _Z17sort_pairs_kernelI22helper_blocked_stripedN15benchmark_utils11custom_typeIiiEELj64ELj1ELj10EEvPKT0_PS4_.uses_flat_scratch, 0
	.set _Z17sort_pairs_kernelI22helper_blocked_stripedN15benchmark_utils11custom_typeIiiEELj64ELj1ELj10EEvPKT0_PS4_.has_dyn_sized_stack, 0
	.set _Z17sort_pairs_kernelI22helper_blocked_stripedN15benchmark_utils11custom_typeIiiEELj64ELj1ELj10EEvPKT0_PS4_.has_recursion, 0
	.set _Z17sort_pairs_kernelI22helper_blocked_stripedN15benchmark_utils11custom_typeIiiEELj64ELj1ELj10EEvPKT0_PS4_.has_indirect_call, 0
	.section	.AMDGPU.csdata,"",@progbits
; Kernel info:
; codeLenInByte = 6224
; TotalNumSgprs: 30
; NumVgprs: 26
; ScratchSize: 0
; MemoryBound: 0
; FloatMode: 240
; IeeeMode: 1
; LDSByteSize: 1040 bytes/workgroup (compile time only)
; SGPRBlocks: 3
; VGPRBlocks: 6
; NumSGPRsForWavesPerEU: 30
; NumVGPRsForWavesPerEU: 26
; Occupancy: 9
; WaveLimiterHint : 0
; COMPUTE_PGM_RSRC2:SCRATCH_EN: 0
; COMPUTE_PGM_RSRC2:USER_SGPR: 6
; COMPUTE_PGM_RSRC2:TRAP_HANDLER: 0
; COMPUTE_PGM_RSRC2:TGID_X_EN: 1
; COMPUTE_PGM_RSRC2:TGID_Y_EN: 0
; COMPUTE_PGM_RSRC2:TGID_Z_EN: 0
; COMPUTE_PGM_RSRC2:TIDIG_COMP_CNT: 2
	.section	.text._Z16sort_keys_kernelI22helper_blocked_stripedN15benchmark_utils11custom_typeIiiEELj64ELj3ELj10EEvPKT0_PS4_,"axG",@progbits,_Z16sort_keys_kernelI22helper_blocked_stripedN15benchmark_utils11custom_typeIiiEELj64ELj3ELj10EEvPKT0_PS4_,comdat
	.protected	_Z16sort_keys_kernelI22helper_blocked_stripedN15benchmark_utils11custom_typeIiiEELj64ELj3ELj10EEvPKT0_PS4_ ; -- Begin function _Z16sort_keys_kernelI22helper_blocked_stripedN15benchmark_utils11custom_typeIiiEELj64ELj3ELj10EEvPKT0_PS4_
	.globl	_Z16sort_keys_kernelI22helper_blocked_stripedN15benchmark_utils11custom_typeIiiEELj64ELj3ELj10EEvPKT0_PS4_
	.p2align	8
	.type	_Z16sort_keys_kernelI22helper_blocked_stripedN15benchmark_utils11custom_typeIiiEELj64ELj3ELj10EEvPKT0_PS4_,@function
_Z16sort_keys_kernelI22helper_blocked_stripedN15benchmark_utils11custom_typeIiiEELj64ELj3ELj10EEvPKT0_PS4_: ; @_Z16sort_keys_kernelI22helper_blocked_stripedN15benchmark_utils11custom_typeIiiEELj64ELj3ELj10EEvPKT0_PS4_
; %bb.0:
	s_load_dwordx4 s[20:23], s[4:5], 0x0
	s_load_dword s2, s[4:5], 0x1c
	s_mul_i32 s24, s6, 0xc0
	s_mov_b32 s25, 0
	s_lshl_b64 s[26:27], s[24:25], 3
	s_waitcnt lgkmcnt(0)
	s_add_u32 s0, s20, s26
	v_mul_u32_u24_e32 v3, 3, v0
	s_addc_u32 s1, s21, s27
	v_lshlrev_b32_e32 v11, 3, v3
	global_load_dwordx2 v[9:10], v11, s[0:1] offset:16
	global_load_dwordx4 v[3:6], v11, s[0:1]
	global_load_dwordx2 v[7:8], v11, s[0:1]
	s_waitcnt vmcnt(1)
	v_mbcnt_lo_u32_b32 v3, -1, 0
	v_mbcnt_hi_u32_b32 v3, -1, v3
	s_lshr_b32 s0, s2, 16
	s_and_b32 s1, s2, 0xffff
	v_mad_u32_u24 v1, v2, s0, v1
	v_and_b32_e32 v2, 15, v3
	v_mad_u32_u24 v1, v1, s1, v0
	v_cmp_eq_u32_e64 s[0:1], 0, v2
	v_cmp_lt_u32_e64 s[2:3], 1, v2
	v_cmp_lt_u32_e64 s[4:5], 3, v2
	;; [unrolled: 1-line block ×3, first 2 shown]
	v_and_b32_e32 v2, 16, v3
	v_cmp_eq_u32_e64 s[8:9], 0, v2
	v_subrev_co_u32_e32 v2, vcc, 1, v3
	v_and_b32_e32 v4, 64, v3
	v_cmp_lt_i32_e64 s[14:15], v2, v4
	v_lshlrev_b32_e32 v17, 3, v0
	v_lshlrev_b32_e32 v16, 4, v0
	v_cmp_eq_u32_e64 s[12:13], 63, v0
	v_cndmask_b32_e64 v2, v2, v3, s[14:15]
	v_cmp_eq_u32_e64 s[14:15], 0, v0
	v_lshrrev_b32_e32 v1, 4, v1
	v_sub_u32_e32 v0, 0, v17
	v_mul_u32_u24_e32 v14, 24, v3
	v_lshlrev_b32_e32 v15, 3, v3
	v_cmp_lt_u32_e64 s[10:11], 31, v3
	v_lshlrev_b32_e32 v18, 2, v2
	s_or_b64 s[20:21], s[14:15], vcc
	v_and_b32_e32 v19, 0xffffffc, v1
	v_mov_b32_e32 v4, 0
	v_add_u32_e32 v20, v16, v0
	s_branch .LBB338_2
.LBB338_1:                              ;   in Loop: Header=BB338_2 Depth=1
	; wave barrier
	ds_write_b64 v22, v[10:11]
	ds_write_b64 v21, v[8:9]
	;; [unrolled: 1-line block ×3, first 2 shown]
	s_waitcnt lgkmcnt(0)
	; wave barrier
	ds_read2st64_b64 v[0:3], v20 offset1:1
	ds_read_b64 v[9:10], v20 offset:1024
	s_add_i32 s25, s25, 1
	s_cmp_eq_u32 s25, 10
	s_waitcnt lgkmcnt(1)
	v_xor_b32_e32 v7, 0x80000000, v0
	v_xor_b32_e32 v8, 0x80000000, v1
	;; [unrolled: 1-line block ×4, first 2 shown]
	s_waitcnt lgkmcnt(0)
	v_xor_b32_e32 v9, 0x80000000, v9
	v_xor_b32_e32 v10, 0x80000000, v10
	s_cbranch_scc1 .LBB338_14
.LBB338_2:                              ; =>This Loop Header: Depth=1
                                        ;     Child Loop BB338_4 Depth 2
	s_waitcnt vmcnt(0)
	v_xor_b32_e32 v1, 0x80000000, v8
	v_xor_b32_e32 v0, 0x80000000, v7
	;; [unrolled: 1-line block ×6, first 2 shown]
	ds_write2_b64 v14, v[0:1], v[2:3] offset1:1
	ds_write_b64 v14, v[5:6] offset:16
	; wave barrier
	ds_read2st64_b64 v[0:3], v15 offset1:1
	ds_read_b64 v[12:13], v15 offset:1024
	s_mov_b32 s24, 8
	s_mov_b32 s28, 32
	;; [unrolled: 1-line block ×3, first 2 shown]
	s_waitcnt lgkmcnt(0)
	; wave barrier
	; wave barrier
	;; [unrolled: 1-line block ×3, first 2 shown]
	s_branch .LBB338_4
.LBB338_3:                              ;   in Loop: Header=BB338_4 Depth=2
	s_andn2_b64 vcc, exec, s[14:15]
	s_cbranch_vccz .LBB338_1
.LBB338_4:                              ;   Parent Loop BB338_2 Depth=1
                                        ; =>  This Inner Loop Header: Depth=2
	s_min_i32 s16, s24, 32
	s_cmp_lt_u32 s29, 32
	s_cselect_b64 s[14:15], -1, 0
	s_cmp_gt_u32 s29, 31
	s_cselect_b64 vcc, -1, 0
	s_sub_i32 s16, s16, 32
	s_add_i32 s17, s16, s28
	s_lshl_b32 s17, -1, s17
	s_not_b32 s17, s17
	s_cmp_lg_u32 s16, s29
	s_cselect_b32 s31, s17, -1
	s_max_i32 s30, s28, 0
	s_max_i32 s16, s29, 32
	s_sub_i32 s33, s16, 32
	s_sub_i32 s16, s16, s30
	;; [unrolled: 1-line block ×3, first 2 shown]
	s_min_i32 s16, s16, 32
	s_sub_i32 s16, s16, s33
	s_lshl_b32 s17, -1, s16
	v_mov_b32_e32 v11, v1
	s_not_b32 s17, s17
	v_mov_b32_e32 v10, v0
	s_cmp_lg_u32 s16, 32
	s_cselect_b32 s34, s17, -1
	v_lshrrev_b32_e32 v1, s33, v10
	v_lshrrev_b32_e32 v0, s29, v11
	v_and_b32_e32 v1, s34, v1
	v_and_b32_e32 v0, s31, v0
	v_lshlrev_b32_e32 v1, s30, v1
	v_cndmask_b32_e64 v0, 0, v0, s[14:15]
	v_cndmask_b32_e32 v1, 0, v1, vcc
	v_or_b32_e32 v0, v0, v1
	v_mov_b32_e32 v9, v3
	v_and_b32_e32 v1, 1, v0
	v_mov_b32_e32 v8, v2
	v_add_co_u32_e64 v2, s[16:17], -1, v1
	v_addc_co_u32_e64 v3, s[16:17], 0, -1, s[16:17]
	v_cmp_ne_u32_e64 s[16:17], 0, v1
	v_lshlrev_b32_e32 v5, 30, v0
	v_xor_b32_e32 v1, s17, v3
	v_xor_b32_e32 v2, s16, v2
	v_cmp_gt_i64_e64 s[16:17], 0, v[4:5]
	v_not_b32_e32 v3, v5
	v_ashrrev_i32_e32 v3, 31, v3
	v_and_b32_e32 v1, exec_hi, v1
	v_xor_b32_e32 v5, s17, v3
	v_and_b32_e32 v2, exec_lo, v2
	v_xor_b32_e32 v3, s16, v3
	v_and_b32_e32 v1, v1, v5
	v_lshlrev_b32_e32 v5, 29, v0
	v_and_b32_e32 v2, v2, v3
	v_cmp_gt_i64_e64 s[16:17], 0, v[4:5]
	v_not_b32_e32 v3, v5
	v_ashrrev_i32_e32 v3, 31, v3
	v_xor_b32_e32 v5, s17, v3
	v_xor_b32_e32 v3, s16, v3
	v_and_b32_e32 v1, v1, v5
	v_lshlrev_b32_e32 v5, 28, v0
	v_and_b32_e32 v2, v2, v3
	v_cmp_gt_i64_e64 s[16:17], 0, v[4:5]
	v_not_b32_e32 v3, v5
	v_ashrrev_i32_e32 v3, 31, v3
	v_xor_b32_e32 v5, s17, v3
	;; [unrolled: 8-line block ×5, first 2 shown]
	v_mov_b32_e32 v6, v12
	v_and_b32_e32 v1, v1, v5
	v_lshlrev_b32_e32 v5, 24, v0
	v_mov_b32_e32 v7, v13
	v_lshl_add_u32 v12, v0, 2, v19
	v_xor_b32_e32 v3, s16, v3
	v_cmp_gt_i64_e64 s[16:17], 0, v[4:5]
	v_not_b32_e32 v0, v5
	v_ashrrev_i32_e32 v0, 31, v0
	v_and_b32_e32 v2, v2, v3
	v_xor_b32_e32 v3, s17, v0
	v_xor_b32_e32 v0, s16, v0
	v_and_b32_e32 v0, v2, v0
	v_and_b32_e32 v1, v1, v3
	v_mbcnt_lo_u32_b32 v2, v0, 0
	v_mbcnt_hi_u32_b32 v13, v1, v2
	v_cmp_ne_u64_e64 s[16:17], 0, v[0:1]
	v_cmp_eq_u32_e64 s[18:19], 0, v13
	s_and_b64 s[18:19], s[18:19], s[16:17]
	ds_write2_b32 v16, v4, v4 offset0:1 offset1:2
	ds_write2_b32 v16, v4, v4 offset0:3 offset1:4
	s_waitcnt lgkmcnt(0)
	; wave barrier
	; wave barrier
	s_and_saveexec_b64 s[16:17], s[18:19]
; %bb.5:                                ;   in Loop: Header=BB338_4 Depth=2
	v_bcnt_u32_b32 v0, v0, 0
	v_bcnt_u32_b32 v0, v1, v0
	ds_write_b32 v12, v0 offset:4
; %bb.6:                                ;   in Loop: Header=BB338_4 Depth=2
	s_or_b64 exec, exec, s[16:17]
	v_lshrrev_b32_e32 v1, s33, v8
	v_lshrrev_b32_e32 v0, s29, v9
	v_and_b32_e32 v1, s34, v1
	v_and_b32_e32 v0, s31, v0
	v_lshlrev_b32_e32 v1, s30, v1
	v_cndmask_b32_e64 v0, 0, v0, s[14:15]
	v_cndmask_b32_e32 v1, 0, v1, vcc
	v_or_b32_e32 v0, v0, v1
	v_and_b32_e32 v1, 1, v0
	v_add_co_u32_e64 v2, s[16:17], -1, v1
	v_addc_co_u32_e64 v3, s[16:17], 0, -1, s[16:17]
	v_cmp_ne_u32_e64 s[16:17], 0, v1
	v_lshlrev_b32_e32 v5, 30, v0
	v_xor_b32_e32 v1, s17, v3
	v_xor_b32_e32 v2, s16, v2
	v_cmp_gt_i64_e64 s[16:17], 0, v[4:5]
	v_not_b32_e32 v3, v5
	v_ashrrev_i32_e32 v3, 31, v3
	v_and_b32_e32 v1, exec_hi, v1
	v_xor_b32_e32 v5, s17, v3
	v_and_b32_e32 v2, exec_lo, v2
	v_xor_b32_e32 v3, s16, v3
	v_and_b32_e32 v1, v1, v5
	v_lshlrev_b32_e32 v5, 29, v0
	v_and_b32_e32 v2, v2, v3
	v_cmp_gt_i64_e64 s[16:17], 0, v[4:5]
	v_not_b32_e32 v3, v5
	v_ashrrev_i32_e32 v3, 31, v3
	v_xor_b32_e32 v5, s17, v3
	v_xor_b32_e32 v3, s16, v3
	v_and_b32_e32 v1, v1, v5
	v_lshlrev_b32_e32 v5, 28, v0
	v_and_b32_e32 v2, v2, v3
	v_cmp_gt_i64_e64 s[16:17], 0, v[4:5]
	v_not_b32_e32 v3, v5
	v_ashrrev_i32_e32 v3, 31, v3
	v_xor_b32_e32 v5, s17, v3
	;; [unrolled: 8-line block ×5, first 2 shown]
	v_and_b32_e32 v1, v1, v5
	v_lshlrev_b32_e32 v5, 24, v0
	v_lshl_add_u32 v22, v0, 2, v19
	v_xor_b32_e32 v3, s16, v3
	v_cmp_gt_i64_e64 s[16:17], 0, v[4:5]
	v_not_b32_e32 v0, v5
	v_ashrrev_i32_e32 v0, 31, v0
	v_and_b32_e32 v2, v2, v3
	v_xor_b32_e32 v3, s17, v0
	v_xor_b32_e32 v0, s16, v0
	; wave barrier
	ds_read_b32 v21, v22 offset:4
	v_and_b32_e32 v0, v2, v0
	v_and_b32_e32 v1, v1, v3
	v_mbcnt_lo_u32_b32 v2, v0, 0
	v_mbcnt_hi_u32_b32 v23, v1, v2
	v_cmp_ne_u64_e64 s[16:17], 0, v[0:1]
	v_cmp_eq_u32_e64 s[18:19], 0, v23
	s_and_b64 s[18:19], s[18:19], s[16:17]
	; wave barrier
	s_and_saveexec_b64 s[16:17], s[18:19]
	s_cbranch_execz .LBB338_8
; %bb.7:                                ;   in Loop: Header=BB338_4 Depth=2
	v_bcnt_u32_b32 v0, v0, 0
	v_bcnt_u32_b32 v0, v1, v0
	s_waitcnt lgkmcnt(0)
	v_add_u32_e32 v0, v21, v0
	ds_write_b32 v22, v0 offset:4
.LBB338_8:                              ;   in Loop: Header=BB338_4 Depth=2
	s_or_b64 exec, exec, s[16:17]
	v_lshrrev_b32_e32 v1, s33, v6
	v_lshrrev_b32_e32 v0, s29, v7
	v_and_b32_e32 v1, s34, v1
	v_and_b32_e32 v0, s31, v0
	v_lshlrev_b32_e32 v1, s30, v1
	v_cndmask_b32_e64 v0, 0, v0, s[14:15]
	v_cndmask_b32_e32 v1, 0, v1, vcc
	v_or_b32_e32 v0, v0, v1
	v_and_b32_e32 v1, 1, v0
	v_add_co_u32_e32 v2, vcc, -1, v1
	v_addc_co_u32_e64 v3, s[14:15], 0, -1, vcc
	v_cmp_ne_u32_e32 vcc, 0, v1
	v_lshlrev_b32_e32 v5, 30, v0
	v_xor_b32_e32 v1, vcc_hi, v3
	v_xor_b32_e32 v2, vcc_lo, v2
	v_cmp_gt_i64_e32 vcc, 0, v[4:5]
	v_not_b32_e32 v3, v5
	v_ashrrev_i32_e32 v3, 31, v3
	v_and_b32_e32 v1, exec_hi, v1
	v_xor_b32_e32 v5, vcc_hi, v3
	v_and_b32_e32 v2, exec_lo, v2
	v_xor_b32_e32 v3, vcc_lo, v3
	v_and_b32_e32 v1, v1, v5
	v_lshlrev_b32_e32 v5, 29, v0
	v_and_b32_e32 v2, v2, v3
	v_cmp_gt_i64_e32 vcc, 0, v[4:5]
	v_not_b32_e32 v3, v5
	v_ashrrev_i32_e32 v3, 31, v3
	v_xor_b32_e32 v5, vcc_hi, v3
	v_xor_b32_e32 v3, vcc_lo, v3
	v_and_b32_e32 v1, v1, v5
	v_lshlrev_b32_e32 v5, 28, v0
	v_and_b32_e32 v2, v2, v3
	v_cmp_gt_i64_e32 vcc, 0, v[4:5]
	v_not_b32_e32 v3, v5
	v_ashrrev_i32_e32 v3, 31, v3
	v_xor_b32_e32 v5, vcc_hi, v3
	v_xor_b32_e32 v3, vcc_lo, v3
	v_and_b32_e32 v1, v1, v5
	v_lshlrev_b32_e32 v5, 27, v0
	v_and_b32_e32 v2, v2, v3
	v_cmp_gt_i64_e32 vcc, 0, v[4:5]
	v_not_b32_e32 v3, v5
	v_ashrrev_i32_e32 v3, 31, v3
	v_xor_b32_e32 v5, vcc_hi, v3
	v_xor_b32_e32 v3, vcc_lo, v3
	v_and_b32_e32 v1, v1, v5
	v_lshlrev_b32_e32 v5, 26, v0
	v_and_b32_e32 v2, v2, v3
	v_cmp_gt_i64_e32 vcc, 0, v[4:5]
	v_not_b32_e32 v3, v5
	v_ashrrev_i32_e32 v3, 31, v3
	v_xor_b32_e32 v5, vcc_hi, v3
	v_xor_b32_e32 v3, vcc_lo, v3
	v_and_b32_e32 v1, v1, v5
	v_lshlrev_b32_e32 v5, 25, v0
	v_and_b32_e32 v2, v2, v3
	v_cmp_gt_i64_e32 vcc, 0, v[4:5]
	v_not_b32_e32 v3, v5
	v_ashrrev_i32_e32 v3, 31, v3
	v_xor_b32_e32 v5, vcc_hi, v3
	v_and_b32_e32 v1, v1, v5
	v_lshlrev_b32_e32 v5, 24, v0
	v_lshl_add_u32 v25, v0, 2, v19
	v_xor_b32_e32 v3, vcc_lo, v3
	v_cmp_gt_i64_e32 vcc, 0, v[4:5]
	v_not_b32_e32 v0, v5
	v_ashrrev_i32_e32 v0, 31, v0
	v_and_b32_e32 v2, v2, v3
	v_xor_b32_e32 v3, vcc_hi, v0
	v_xor_b32_e32 v0, vcc_lo, v0
	; wave barrier
	ds_read_b32 v24, v25 offset:4
	v_and_b32_e32 v0, v2, v0
	v_and_b32_e32 v1, v1, v3
	v_mbcnt_lo_u32_b32 v2, v0, 0
	v_mbcnt_hi_u32_b32 v5, v1, v2
	v_cmp_ne_u64_e32 vcc, 0, v[0:1]
	v_cmp_eq_u32_e64 s[14:15], 0, v5
	s_and_b64 s[16:17], s[14:15], vcc
	; wave barrier
	s_and_saveexec_b64 s[14:15], s[16:17]
	s_cbranch_execz .LBB338_10
; %bb.9:                                ;   in Loop: Header=BB338_4 Depth=2
	v_bcnt_u32_b32 v0, v0, 0
	v_bcnt_u32_b32 v0, v1, v0
	s_waitcnt lgkmcnt(0)
	v_add_u32_e32 v0, v24, v0
	ds_write_b32 v25, v0 offset:4
.LBB338_10:                             ;   in Loop: Header=BB338_4 Depth=2
	s_or_b64 exec, exec, s[14:15]
	; wave barrier
	s_waitcnt lgkmcnt(0)
	; wave barrier
	ds_read2_b32 v[2:3], v16 offset0:1 offset1:2
	ds_read2_b32 v[0:1], v16 offset0:3 offset1:4
	s_waitcnt lgkmcnt(1)
	v_add_u32_e32 v26, v3, v2
	s_waitcnt lgkmcnt(0)
	v_add3_u32 v1, v26, v0, v1
	s_nop 1
	v_mov_b32_dpp v26, v1 row_shr:1 row_mask:0xf bank_mask:0xf
	v_cndmask_b32_e64 v26, v26, 0, s[0:1]
	v_add_u32_e32 v1, v26, v1
	s_nop 1
	v_mov_b32_dpp v26, v1 row_shr:2 row_mask:0xf bank_mask:0xf
	v_cndmask_b32_e64 v26, 0, v26, s[2:3]
	v_add_u32_e32 v1, v1, v26
	;; [unrolled: 4-line block ×4, first 2 shown]
	s_nop 1
	v_mov_b32_dpp v26, v1 row_bcast:15 row_mask:0xf bank_mask:0xf
	v_cndmask_b32_e64 v26, v26, 0, s[8:9]
	v_add_u32_e32 v1, v1, v26
	s_nop 1
	v_mov_b32_dpp v26, v1 row_bcast:31 row_mask:0xf bank_mask:0xf
	v_cndmask_b32_e64 v26, 0, v26, s[10:11]
	v_add_u32_e32 v1, v1, v26
	s_and_saveexec_b64 s[14:15], s[12:13]
; %bb.11:                               ;   in Loop: Header=BB338_4 Depth=2
	ds_write_b32 v4, v1
; %bb.12:                               ;   in Loop: Header=BB338_4 Depth=2
	s_or_b64 exec, exec, s[14:15]
	ds_bpermute_b32 v1, v18, v1
	s_waitcnt lgkmcnt(0)
	; wave barrier
	s_cmp_gt_u32 s29, 55
	s_mov_b64 s[14:15], -1
	v_cndmask_b32_e64 v1, v1, 0, s[20:21]
	v_add_u32_e32 v2, v1, v2
	v_add_u32_e32 v3, v2, v3
	;; [unrolled: 1-line block ×3, first 2 shown]
	ds_write2_b32 v16, v1, v2 offset0:1 offset1:2
	ds_write2_b32 v16, v3, v0 offset0:3 offset1:4
	s_waitcnt lgkmcnt(0)
	; wave barrier
	ds_read_b32 v0, v12 offset:4
	ds_read_b32 v1, v22 offset:4
	;; [unrolled: 1-line block ×3, first 2 shown]
	v_lshlrev_b32_e32 v3, 3, v13
	s_waitcnt lgkmcnt(0)
	v_lshl_add_u32 v22, v0, 3, v3
	v_lshlrev_b32_e32 v0, 3, v23
	v_lshlrev_b32_e32 v3, 3, v21
	;; [unrolled: 1-line block ×3, first 2 shown]
	v_add3_u32 v21, v0, v3, v1
	v_lshlrev_b32_e32 v0, 3, v5
	v_lshlrev_b32_e32 v1, 3, v24
	;; [unrolled: 1-line block ×3, first 2 shown]
	v_add3_u32 v5, v0, v1, v2
                                        ; implicit-def: $vgpr0_vgpr1
                                        ; implicit-def: $vgpr12_vgpr13
	s_cbranch_scc1 .LBB338_3
; %bb.13:                               ;   in Loop: Header=BB338_4 Depth=2
	; wave barrier
	ds_write_b64 v22, v[10:11]
	ds_write_b64 v21, v[8:9]
	;; [unrolled: 1-line block ×3, first 2 shown]
	s_waitcnt lgkmcnt(0)
	; wave barrier
	ds_read2st64_b64 v[0:3], v15 offset1:1
	ds_read_b64 v[12:13], v15 offset:1024
	s_add_i32 s28, s28, -8
	s_add_i32 s24, s24, 8
	s_add_i32 s29, s29, 8
	s_mov_b64 s[14:15], 0
	s_waitcnt lgkmcnt(0)
	; wave barrier
	s_branch .LBB338_3
.LBB338_14:
	s_add_u32 s0, s22, s26
	s_addc_u32 s1, s23, s27
	global_store_dwordx2 v17, v[7:8], s[0:1]
	global_store_dwordx2 v17, v[5:6], s[0:1] offset:512
	global_store_dwordx2 v17, v[9:10], s[0:1] offset:1024
	s_endpgm
	.section	.rodata,"a",@progbits
	.p2align	6, 0x0
	.amdhsa_kernel _Z16sort_keys_kernelI22helper_blocked_stripedN15benchmark_utils11custom_typeIiiEELj64ELj3ELj10EEvPKT0_PS4_
		.amdhsa_group_segment_fixed_size 1536
		.amdhsa_private_segment_fixed_size 0
		.amdhsa_kernarg_size 272
		.amdhsa_user_sgpr_count 6
		.amdhsa_user_sgpr_private_segment_buffer 1
		.amdhsa_user_sgpr_dispatch_ptr 0
		.amdhsa_user_sgpr_queue_ptr 0
		.amdhsa_user_sgpr_kernarg_segment_ptr 1
		.amdhsa_user_sgpr_dispatch_id 0
		.amdhsa_user_sgpr_flat_scratch_init 0
		.amdhsa_user_sgpr_private_segment_size 0
		.amdhsa_uses_dynamic_stack 0
		.amdhsa_system_sgpr_private_segment_wavefront_offset 0
		.amdhsa_system_sgpr_workgroup_id_x 1
		.amdhsa_system_sgpr_workgroup_id_y 0
		.amdhsa_system_sgpr_workgroup_id_z 0
		.amdhsa_system_sgpr_workgroup_info 0
		.amdhsa_system_vgpr_workitem_id 2
		.amdhsa_next_free_vgpr 27
		.amdhsa_next_free_sgpr 35
		.amdhsa_reserve_vcc 1
		.amdhsa_reserve_flat_scratch 0
		.amdhsa_float_round_mode_32 0
		.amdhsa_float_round_mode_16_64 0
		.amdhsa_float_denorm_mode_32 3
		.amdhsa_float_denorm_mode_16_64 3
		.amdhsa_dx10_clamp 1
		.amdhsa_ieee_mode 1
		.amdhsa_fp16_overflow 0
		.amdhsa_exception_fp_ieee_invalid_op 0
		.amdhsa_exception_fp_denorm_src 0
		.amdhsa_exception_fp_ieee_div_zero 0
		.amdhsa_exception_fp_ieee_overflow 0
		.amdhsa_exception_fp_ieee_underflow 0
		.amdhsa_exception_fp_ieee_inexact 0
		.amdhsa_exception_int_div_zero 0
	.end_amdhsa_kernel
	.section	.text._Z16sort_keys_kernelI22helper_blocked_stripedN15benchmark_utils11custom_typeIiiEELj64ELj3ELj10EEvPKT0_PS4_,"axG",@progbits,_Z16sort_keys_kernelI22helper_blocked_stripedN15benchmark_utils11custom_typeIiiEELj64ELj3ELj10EEvPKT0_PS4_,comdat
.Lfunc_end338:
	.size	_Z16sort_keys_kernelI22helper_blocked_stripedN15benchmark_utils11custom_typeIiiEELj64ELj3ELj10EEvPKT0_PS4_, .Lfunc_end338-_Z16sort_keys_kernelI22helper_blocked_stripedN15benchmark_utils11custom_typeIiiEELj64ELj3ELj10EEvPKT0_PS4_
                                        ; -- End function
	.set _Z16sort_keys_kernelI22helper_blocked_stripedN15benchmark_utils11custom_typeIiiEELj64ELj3ELj10EEvPKT0_PS4_.num_vgpr, 27
	.set _Z16sort_keys_kernelI22helper_blocked_stripedN15benchmark_utils11custom_typeIiiEELj64ELj3ELj10EEvPKT0_PS4_.num_agpr, 0
	.set _Z16sort_keys_kernelI22helper_blocked_stripedN15benchmark_utils11custom_typeIiiEELj64ELj3ELj10EEvPKT0_PS4_.numbered_sgpr, 35
	.set _Z16sort_keys_kernelI22helper_blocked_stripedN15benchmark_utils11custom_typeIiiEELj64ELj3ELj10EEvPKT0_PS4_.num_named_barrier, 0
	.set _Z16sort_keys_kernelI22helper_blocked_stripedN15benchmark_utils11custom_typeIiiEELj64ELj3ELj10EEvPKT0_PS4_.private_seg_size, 0
	.set _Z16sort_keys_kernelI22helper_blocked_stripedN15benchmark_utils11custom_typeIiiEELj64ELj3ELj10EEvPKT0_PS4_.uses_vcc, 1
	.set _Z16sort_keys_kernelI22helper_blocked_stripedN15benchmark_utils11custom_typeIiiEELj64ELj3ELj10EEvPKT0_PS4_.uses_flat_scratch, 0
	.set _Z16sort_keys_kernelI22helper_blocked_stripedN15benchmark_utils11custom_typeIiiEELj64ELj3ELj10EEvPKT0_PS4_.has_dyn_sized_stack, 0
	.set _Z16sort_keys_kernelI22helper_blocked_stripedN15benchmark_utils11custom_typeIiiEELj64ELj3ELj10EEvPKT0_PS4_.has_recursion, 0
	.set _Z16sort_keys_kernelI22helper_blocked_stripedN15benchmark_utils11custom_typeIiiEELj64ELj3ELj10EEvPKT0_PS4_.has_indirect_call, 0
	.section	.AMDGPU.csdata,"",@progbits
; Kernel info:
; codeLenInByte = 2300
; TotalNumSgprs: 39
; NumVgprs: 27
; ScratchSize: 0
; MemoryBound: 0
; FloatMode: 240
; IeeeMode: 1
; LDSByteSize: 1536 bytes/workgroup (compile time only)
; SGPRBlocks: 4
; VGPRBlocks: 6
; NumSGPRsForWavesPerEU: 39
; NumVGPRsForWavesPerEU: 27
; Occupancy: 9
; WaveLimiterHint : 1
; COMPUTE_PGM_RSRC2:SCRATCH_EN: 0
; COMPUTE_PGM_RSRC2:USER_SGPR: 6
; COMPUTE_PGM_RSRC2:TRAP_HANDLER: 0
; COMPUTE_PGM_RSRC2:TGID_X_EN: 1
; COMPUTE_PGM_RSRC2:TGID_Y_EN: 0
; COMPUTE_PGM_RSRC2:TGID_Z_EN: 0
; COMPUTE_PGM_RSRC2:TIDIG_COMP_CNT: 2
	.section	.text._Z17sort_pairs_kernelI22helper_blocked_stripedN15benchmark_utils11custom_typeIiiEELj64ELj3ELj10EEvPKT0_PS4_,"axG",@progbits,_Z17sort_pairs_kernelI22helper_blocked_stripedN15benchmark_utils11custom_typeIiiEELj64ELj3ELj10EEvPKT0_PS4_,comdat
	.protected	_Z17sort_pairs_kernelI22helper_blocked_stripedN15benchmark_utils11custom_typeIiiEELj64ELj3ELj10EEvPKT0_PS4_ ; -- Begin function _Z17sort_pairs_kernelI22helper_blocked_stripedN15benchmark_utils11custom_typeIiiEELj64ELj3ELj10EEvPKT0_PS4_
	.globl	_Z17sort_pairs_kernelI22helper_blocked_stripedN15benchmark_utils11custom_typeIiiEELj64ELj3ELj10EEvPKT0_PS4_
	.p2align	8
	.type	_Z17sort_pairs_kernelI22helper_blocked_stripedN15benchmark_utils11custom_typeIiiEELj64ELj3ELj10EEvPKT0_PS4_,@function
_Z17sort_pairs_kernelI22helper_blocked_stripedN15benchmark_utils11custom_typeIiiEELj64ELj3ELj10EEvPKT0_PS4_: ; @_Z17sort_pairs_kernelI22helper_blocked_stripedN15benchmark_utils11custom_typeIiiEELj64ELj3ELj10EEvPKT0_PS4_
; %bb.0:
	s_load_dwordx4 s[20:23], s[4:5], 0x0
	s_load_dword s18, s[4:5], 0x1c
	s_mul_i32 s26, s6, 0xc0
	s_mov_b32 s27, 0
	s_lshl_b64 s[24:25], s[26:27], 3
	s_waitcnt lgkmcnt(0)
	s_add_u32 s0, s20, s24
	v_mul_u32_u24_e32 v3, 3, v0
	s_addc_u32 s1, s21, s25
	v_lshlrev_b32_e32 v7, 3, v3
	global_load_dwordx4 v[3:6], v7, s[0:1]
	global_load_dwordx2 v[12:13], v7, s[0:1] offset:16
	v_mbcnt_lo_u32_b32 v7, -1, 0
	v_mbcnt_hi_u32_b32 v7, -1, v7
	v_subrev_co_u32_e64 v10, s[14:15], 1, v7
	v_and_b32_e32 v11, 64, v7
	v_cmp_lt_i32_e64 s[16:17], v10, v11
	v_mul_u32_u24_e32 v29, 24, v7
	v_lshlrev_b32_e32 v30, 3, v7
	v_and_b32_e32 v8, 15, v7
	v_and_b32_e32 v9, 16, v7
	v_cmp_lt_u32_e64 s[2:3], 31, v7
	v_cndmask_b32_e64 v7, v10, v7, s[16:17]
	s_lshr_b32 s16, s18, 16
	s_and_b32 s17, s18, 0xffff
	v_mad_u32_u24 v1, v2, s16, v1
	v_lshlrev_b32_e32 v28, 4, v0
	v_cmp_eq_u32_e64 s[0:1], 63, v0
	v_cmp_eq_u32_e32 vcc, 0, v0
	v_lshlrev_b32_e32 v27, 3, v0
	v_mad_u32_u24 v0, v1, s17, v0
	v_sub_u32_e32 v14, 0, v27
	v_lshrrev_b32_e32 v0, 4, v0
	v_cmp_eq_u32_e64 s[4:5], 0, v8
	v_cmp_lt_u32_e64 s[6:7], 1, v8
	v_cmp_lt_u32_e64 s[8:9], 3, v8
	;; [unrolled: 1-line block ×3, first 2 shown]
	v_cmp_eq_u32_e64 s[12:13], 0, v9
	v_add_u32_e32 v31, v28, v14
	v_lshlrev_b32_e32 v32, 2, v7
	s_or_b64 s[20:21], vcc, s[14:15]
	v_and_b32_e32 v33, 0xffffffc, v0
	v_mov_b32_e32 v11, 0
	s_waitcnt vmcnt(1)
	v_add_u32_e32 v8, 1, v4
	v_add_u32_e32 v7, 1, v3
	;; [unrolled: 1-line block ×4, first 2 shown]
	s_waitcnt vmcnt(0)
	v_add_u32_e32 v15, 1, v13
	v_add_u32_e32 v14, 1, v12
	s_branch .LBB339_2
.LBB339_1:                              ;   in Loop: Header=BB339_2 Depth=1
	; wave barrier
	ds_write_b64 v12, v[17:18]
	ds_write_b64 v10, v[15:16]
	;; [unrolled: 1-line block ×3, first 2 shown]
	s_waitcnt lgkmcnt(0)
	; wave barrier
	ds_read2st64_b64 v[3:6], v31 offset1:1
	ds_read_b64 v[0:1], v31 offset:1024
	s_waitcnt lgkmcnt(0)
	; wave barrier
	ds_write_b64 v12, v[13:14]
	ds_write_b64 v10, v[8:9]
	;; [unrolled: 1-line block ×3, first 2 shown]
	s_waitcnt lgkmcnt(0)
	; wave barrier
	ds_read2st64_b64 v[7:10], v31 offset1:1
	ds_read_b64 v[14:15], v31 offset:1024
	s_add_i32 s27, s27, 1
	v_xor_b32_e32 v3, 0x80000000, v3
	v_xor_b32_e32 v4, 0x80000000, v4
	;; [unrolled: 1-line block ×5, first 2 shown]
	s_cmp_lg_u32 s27, 10
	v_xor_b32_e32 v13, 0x80000000, v1
	s_cbranch_scc0 .LBB339_14
.LBB339_2:                              ; =>This Loop Header: Depth=1
                                        ;     Child Loop BB339_4 Depth 2
	v_xor_b32_e32 v1, 0x80000000, v4
	v_xor_b32_e32 v0, 0x80000000, v3
	;; [unrolled: 1-line block ×6, first 2 shown]
	ds_write2_b64 v29, v[0:1], v[2:3] offset1:1
	ds_write_b64 v29, v[4:5] offset:16
	; wave barrier
	ds_read2st64_b64 v[0:3], v30 offset1:1
	ds_read_b64 v[23:24], v30 offset:1024
	; wave barrier
	s_waitcnt lgkmcnt(5)
	ds_write2_b64 v29, v[7:8], v[9:10] offset1:1
	s_waitcnt lgkmcnt(5)
	ds_write_b64 v29, v[14:15] offset:16
	; wave barrier
	ds_read2st64_b64 v[4:7], v30 offset1:1
	ds_read_b64 v[25:26], v30 offset:1024
	s_mov_b32 s26, 8
	s_mov_b32 s28, 32
	;; [unrolled: 1-line block ×3, first 2 shown]
	s_waitcnt lgkmcnt(0)
	; wave barrier
	s_branch .LBB339_4
.LBB339_3:                              ;   in Loop: Header=BB339_4 Depth=2
	s_andn2_b64 vcc, exec, s[14:15]
	s_cbranch_vccz .LBB339_1
.LBB339_4:                              ;   Parent Loop BB339_2 Depth=1
                                        ; =>  This Inner Loop Header: Depth=2
	s_min_i32 s16, s26, 32
	s_cmp_lt_u32 s29, 32
	s_cselect_b64 s[14:15], -1, 0
	s_cmp_gt_u32 s29, 31
	s_cselect_b64 vcc, -1, 0
	s_sub_i32 s16, s16, 32
	s_add_i32 s17, s16, s28
	s_lshl_b32 s17, -1, s17
	s_not_b32 s17, s17
	s_cmp_lg_u32 s16, s29
	s_cselect_b32 s31, s17, -1
	s_max_i32 s30, s28, 0
	s_max_i32 s16, s29, 32
	s_sub_i32 s33, s16, 32
	s_sub_i32 s16, s16, s30
	;; [unrolled: 1-line block ×3, first 2 shown]
	s_min_i32 s16, s16, 32
	s_sub_i32 s16, s16, s33
	s_lshl_b32 s17, -1, s16
	v_mov_b32_e32 v18, v1
	s_not_b32 s17, s17
	v_mov_b32_e32 v17, v0
	s_cmp_lg_u32 s16, 32
	s_cselect_b32 s34, s17, -1
	v_lshrrev_b32_e32 v1, s33, v17
	v_lshrrev_b32_e32 v0, s29, v18
	v_and_b32_e32 v1, s34, v1
	v_and_b32_e32 v0, s31, v0
	v_lshlrev_b32_e32 v1, s30, v1
	v_mov_b32_e32 v16, v3
	v_cndmask_b32_e64 v0, 0, v0, s[14:15]
	v_cndmask_b32_e32 v1, 0, v1, vcc
	v_mov_b32_e32 v15, v2
	v_or_b32_e32 v2, v0, v1
	v_and_b32_e32 v0, 1, v2
	v_add_co_u32_e64 v1, s[16:17], -1, v0
	v_addc_co_u32_e64 v3, s[16:17], 0, -1, s[16:17]
	v_cmp_ne_u32_e64 s[16:17], 0, v0
	v_lshlrev_b32_e32 v12, 30, v2
	v_xor_b32_e32 v0, s17, v3
	v_cmp_gt_i64_e64 s[18:19], 0, v[11:12]
	v_not_b32_e32 v3, v12
	v_mov_b32_e32 v14, v5
	v_ashrrev_i32_e32 v3, 31, v3
	v_xor_b32_e32 v1, s16, v1
	v_mov_b32_e32 v13, v4
	v_xor_b32_e32 v4, s19, v3
	v_and_b32_e32 v1, exec_lo, v1
	v_xor_b32_e32 v3, s18, v3
	v_lshlrev_b32_e32 v12, 29, v2
	v_and_b32_e32 v1, v1, v3
	v_cmp_gt_i64_e64 s[16:17], 0, v[11:12]
	v_not_b32_e32 v3, v12
	v_and_b32_e32 v0, exec_hi, v0
	v_ashrrev_i32_e32 v3, 31, v3
	v_and_b32_e32 v0, v0, v4
	v_xor_b32_e32 v4, s17, v3
	v_xor_b32_e32 v3, s16, v3
	v_lshlrev_b32_e32 v12, 28, v2
	v_and_b32_e32 v1, v1, v3
	v_cmp_gt_i64_e64 s[16:17], 0, v[11:12]
	v_not_b32_e32 v3, v12
	v_ashrrev_i32_e32 v3, 31, v3
	v_and_b32_e32 v0, v0, v4
	v_xor_b32_e32 v4, s17, v3
	v_xor_b32_e32 v3, s16, v3
	v_lshlrev_b32_e32 v12, 27, v2
	v_and_b32_e32 v1, v1, v3
	v_cmp_gt_i64_e64 s[16:17], 0, v[11:12]
	v_not_b32_e32 v3, v12
	;; [unrolled: 8-line block ×5, first 2 shown]
	v_ashrrev_i32_e32 v1, 31, v1
	v_and_b32_e32 v0, v0, v4
	v_xor_b32_e32 v4, s17, v1
	v_xor_b32_e32 v5, s16, v1
	v_and_b32_e32 v1, v0, v4
	v_and_b32_e32 v0, v3, v5
	v_lshl_add_u32 v4, v2, 2, v33
	v_mbcnt_lo_u32_b32 v2, v0, 0
	v_mbcnt_hi_u32_b32 v5, v1, v2
	v_cmp_ne_u64_e64 s[16:17], 0, v[0:1]
	v_mov_b32_e32 v9, v7
	v_mov_b32_e32 v19, v25
	;; [unrolled: 1-line block ×3, first 2 shown]
	v_cmp_eq_u32_e64 s[18:19], 0, v5
	v_mov_b32_e32 v8, v6
	v_mov_b32_e32 v20, v26
	v_mov_b32_e32 v22, v24
	s_and_b64 s[18:19], s[18:19], s[16:17]
	ds_write2_b32 v28, v11, v11 offset0:1 offset1:2
	ds_write2_b32 v28, v11, v11 offset0:3 offset1:4
	s_waitcnt lgkmcnt(0)
	; wave barrier
	; wave barrier
	s_and_saveexec_b64 s[16:17], s[18:19]
; %bb.5:                                ;   in Loop: Header=BB339_4 Depth=2
	v_bcnt_u32_b32 v0, v0, 0
	v_bcnt_u32_b32 v0, v1, v0
	ds_write_b32 v4, v0 offset:4
; %bb.6:                                ;   in Loop: Header=BB339_4 Depth=2
	s_or_b64 exec, exec, s[16:17]
	v_lshrrev_b32_e32 v1, s33, v15
	v_lshrrev_b32_e32 v0, s29, v16
	v_and_b32_e32 v1, s34, v1
	v_and_b32_e32 v0, s31, v0
	v_lshlrev_b32_e32 v1, s30, v1
	v_cndmask_b32_e64 v0, 0, v0, s[14:15]
	v_cndmask_b32_e32 v1, 0, v1, vcc
	v_or_b32_e32 v0, v0, v1
	v_and_b32_e32 v1, 1, v0
	v_add_co_u32_e64 v2, s[16:17], -1, v1
	v_addc_co_u32_e64 v3, s[16:17], 0, -1, s[16:17]
	v_cmp_ne_u32_e64 s[16:17], 0, v1
	v_lshlrev_b32_e32 v12, 30, v0
	v_xor_b32_e32 v1, s17, v3
	v_xor_b32_e32 v2, s16, v2
	v_cmp_gt_i64_e64 s[16:17], 0, v[11:12]
	v_not_b32_e32 v3, v12
	v_ashrrev_i32_e32 v3, 31, v3
	v_and_b32_e32 v2, exec_lo, v2
	v_xor_b32_e32 v10, s17, v3
	v_xor_b32_e32 v3, s16, v3
	v_lshlrev_b32_e32 v12, 29, v0
	v_and_b32_e32 v2, v2, v3
	v_cmp_gt_i64_e64 s[16:17], 0, v[11:12]
	v_not_b32_e32 v3, v12
	v_and_b32_e32 v1, exec_hi, v1
	v_ashrrev_i32_e32 v3, 31, v3
	v_and_b32_e32 v1, v1, v10
	v_xor_b32_e32 v10, s17, v3
	v_xor_b32_e32 v3, s16, v3
	v_lshlrev_b32_e32 v12, 28, v0
	v_and_b32_e32 v2, v2, v3
	v_cmp_gt_i64_e64 s[16:17], 0, v[11:12]
	v_not_b32_e32 v3, v12
	v_ashrrev_i32_e32 v3, 31, v3
	v_and_b32_e32 v1, v1, v10
	v_xor_b32_e32 v10, s17, v3
	v_xor_b32_e32 v3, s16, v3
	v_lshlrev_b32_e32 v12, 27, v0
	v_and_b32_e32 v2, v2, v3
	v_cmp_gt_i64_e64 s[16:17], 0, v[11:12]
	v_not_b32_e32 v3, v12
	;; [unrolled: 8-line block ×4, first 2 shown]
	v_ashrrev_i32_e32 v3, 31, v3
	v_lshlrev_b32_e32 v12, 24, v0
	v_lshl_add_u32 v7, v0, 2, v33
	v_and_b32_e32 v1, v1, v10
	v_xor_b32_e32 v10, s17, v3
	v_xor_b32_e32 v3, s16, v3
	v_cmp_gt_i64_e64 s[16:17], 0, v[11:12]
	v_not_b32_e32 v0, v12
	v_ashrrev_i32_e32 v0, 31, v0
	v_and_b32_e32 v2, v2, v3
	v_xor_b32_e32 v3, s17, v0
	v_xor_b32_e32 v0, s16, v0
	; wave barrier
	ds_read_b32 v6, v7 offset:4
	v_and_b32_e32 v1, v1, v10
	v_and_b32_e32 v0, v2, v0
	;; [unrolled: 1-line block ×3, first 2 shown]
	v_mbcnt_lo_u32_b32 v2, v0, 0
	v_mbcnt_hi_u32_b32 v10, v1, v2
	v_cmp_ne_u64_e64 s[16:17], 0, v[0:1]
	v_cmp_eq_u32_e64 s[18:19], 0, v10
	s_and_b64 s[18:19], s[18:19], s[16:17]
	; wave barrier
	s_and_saveexec_b64 s[16:17], s[18:19]
	s_cbranch_execz .LBB339_8
; %bb.7:                                ;   in Loop: Header=BB339_4 Depth=2
	v_bcnt_u32_b32 v0, v0, 0
	v_bcnt_u32_b32 v0, v1, v0
	s_waitcnt lgkmcnt(0)
	v_add_u32_e32 v0, v6, v0
	ds_write_b32 v7, v0 offset:4
.LBB339_8:                              ;   in Loop: Header=BB339_4 Depth=2
	s_or_b64 exec, exec, s[16:17]
	v_lshrrev_b32_e32 v1, s33, v21
	v_lshrrev_b32_e32 v0, s29, v22
	v_and_b32_e32 v1, s34, v1
	v_and_b32_e32 v0, s31, v0
	v_lshlrev_b32_e32 v1, s30, v1
	v_cndmask_b32_e64 v0, 0, v0, s[14:15]
	v_cndmask_b32_e32 v1, 0, v1, vcc
	v_or_b32_e32 v0, v0, v1
	v_and_b32_e32 v1, 1, v0
	v_add_co_u32_e32 v2, vcc, -1, v1
	v_addc_co_u32_e64 v3, s[14:15], 0, -1, vcc
	v_cmp_ne_u32_e32 vcc, 0, v1
	v_lshlrev_b32_e32 v12, 30, v0
	v_xor_b32_e32 v1, vcc_hi, v3
	v_xor_b32_e32 v2, vcc_lo, v2
	v_cmp_gt_i64_e32 vcc, 0, v[11:12]
	v_not_b32_e32 v3, v12
	v_ashrrev_i32_e32 v3, 31, v3
	v_and_b32_e32 v1, exec_hi, v1
	v_xor_b32_e32 v12, vcc_hi, v3
	v_and_b32_e32 v2, exec_lo, v2
	v_xor_b32_e32 v3, vcc_lo, v3
	v_and_b32_e32 v1, v1, v12
	v_lshlrev_b32_e32 v12, 29, v0
	v_and_b32_e32 v2, v2, v3
	v_cmp_gt_i64_e32 vcc, 0, v[11:12]
	v_not_b32_e32 v3, v12
	v_ashrrev_i32_e32 v3, 31, v3
	v_xor_b32_e32 v12, vcc_hi, v3
	v_xor_b32_e32 v3, vcc_lo, v3
	v_and_b32_e32 v1, v1, v12
	v_lshlrev_b32_e32 v12, 28, v0
	v_and_b32_e32 v2, v2, v3
	v_cmp_gt_i64_e32 vcc, 0, v[11:12]
	v_not_b32_e32 v3, v12
	v_ashrrev_i32_e32 v3, 31, v3
	v_xor_b32_e32 v12, vcc_hi, v3
	;; [unrolled: 8-line block ×5, first 2 shown]
	v_and_b32_e32 v1, v1, v12
	v_lshlrev_b32_e32 v12, 24, v0
	v_lshl_add_u32 v24, v0, 2, v33
	v_xor_b32_e32 v3, vcc_lo, v3
	v_cmp_gt_i64_e32 vcc, 0, v[11:12]
	v_not_b32_e32 v0, v12
	v_ashrrev_i32_e32 v0, 31, v0
	v_and_b32_e32 v2, v2, v3
	v_xor_b32_e32 v3, vcc_hi, v0
	v_xor_b32_e32 v0, vcc_lo, v0
	; wave barrier
	ds_read_b32 v23, v24 offset:4
	v_and_b32_e32 v0, v2, v0
	v_and_b32_e32 v1, v1, v3
	v_mbcnt_lo_u32_b32 v2, v0, 0
	v_mbcnt_hi_u32_b32 v25, v1, v2
	v_cmp_ne_u64_e32 vcc, 0, v[0:1]
	v_cmp_eq_u32_e64 s[14:15], 0, v25
	s_and_b64 s[16:17], s[14:15], vcc
	; wave barrier
	s_and_saveexec_b64 s[14:15], s[16:17]
	s_cbranch_execz .LBB339_10
; %bb.9:                                ;   in Loop: Header=BB339_4 Depth=2
	v_bcnt_u32_b32 v0, v0, 0
	v_bcnt_u32_b32 v0, v1, v0
	s_waitcnt lgkmcnt(0)
	v_add_u32_e32 v0, v23, v0
	ds_write_b32 v24, v0 offset:4
.LBB339_10:                             ;   in Loop: Header=BB339_4 Depth=2
	s_or_b64 exec, exec, s[14:15]
	; wave barrier
	s_waitcnt lgkmcnt(0)
	; wave barrier
	ds_read2_b32 v[2:3], v28 offset0:1 offset1:2
	ds_read2_b32 v[0:1], v28 offset0:3 offset1:4
	s_waitcnt lgkmcnt(1)
	v_add_u32_e32 v12, v3, v2
	s_waitcnt lgkmcnt(0)
	v_add3_u32 v1, v12, v0, v1
	s_nop 1
	v_mov_b32_dpp v12, v1 row_shr:1 row_mask:0xf bank_mask:0xf
	v_cndmask_b32_e64 v12, v12, 0, s[4:5]
	v_add_u32_e32 v1, v12, v1
	s_nop 1
	v_mov_b32_dpp v12, v1 row_shr:2 row_mask:0xf bank_mask:0xf
	v_cndmask_b32_e64 v12, 0, v12, s[6:7]
	v_add_u32_e32 v1, v1, v12
	;; [unrolled: 4-line block ×4, first 2 shown]
	s_nop 1
	v_mov_b32_dpp v12, v1 row_bcast:15 row_mask:0xf bank_mask:0xf
	v_cndmask_b32_e64 v12, v12, 0, s[12:13]
	v_add_u32_e32 v1, v1, v12
	s_nop 1
	v_mov_b32_dpp v12, v1 row_bcast:31 row_mask:0xf bank_mask:0xf
	v_cndmask_b32_e64 v12, 0, v12, s[2:3]
	v_add_u32_e32 v1, v1, v12
	s_and_saveexec_b64 s[14:15], s[0:1]
; %bb.11:                               ;   in Loop: Header=BB339_4 Depth=2
	ds_write_b32 v11, v1
; %bb.12:                               ;   in Loop: Header=BB339_4 Depth=2
	s_or_b64 exec, exec, s[14:15]
	ds_bpermute_b32 v1, v32, v1
	s_waitcnt lgkmcnt(0)
	; wave barrier
	s_cmp_gt_u32 s29, 55
	s_mov_b64 s[14:15], -1
	v_cndmask_b32_e64 v1, v1, 0, s[20:21]
	v_add_u32_e32 v2, v1, v2
	v_add_u32_e32 v3, v2, v3
	;; [unrolled: 1-line block ×3, first 2 shown]
	ds_write2_b32 v28, v1, v2 offset0:1 offset1:2
	ds_write2_b32 v28, v3, v0 offset0:3 offset1:4
	s_waitcnt lgkmcnt(0)
	; wave barrier
	ds_read_b32 v0, v4 offset:4
	ds_read_b32 v1, v7 offset:4
	;; [unrolled: 1-line block ×3, first 2 shown]
	v_lshlrev_b32_e32 v3, 3, v5
	s_waitcnt lgkmcnt(0)
	v_lshl_add_u32 v12, v0, 3, v3
	v_lshlrev_b32_e32 v0, 3, v10
	v_lshlrev_b32_e32 v3, 3, v6
	;; [unrolled: 1-line block ×3, first 2 shown]
	v_add3_u32 v10, v0, v3, v1
	v_lshlrev_b32_e32 v0, 3, v25
	v_lshlrev_b32_e32 v1, 3, v23
	;; [unrolled: 1-line block ×3, first 2 shown]
	v_add3_u32 v34, v0, v1, v2
                                        ; implicit-def: $vgpr4_vgpr5
                                        ; implicit-def: $vgpr25_vgpr26
                                        ; implicit-def: $vgpr0_vgpr1
                                        ; implicit-def: $vgpr23_vgpr24
	s_cbranch_scc1 .LBB339_3
; %bb.13:                               ;   in Loop: Header=BB339_4 Depth=2
	; wave barrier
	ds_write_b64 v12, v[17:18]
	ds_write_b64 v10, v[15:16]
	;; [unrolled: 1-line block ×3, first 2 shown]
	s_waitcnt lgkmcnt(0)
	; wave barrier
	ds_read2st64_b64 v[0:3], v30 offset1:1
	ds_read_b64 v[23:24], v30 offset:1024
	s_waitcnt lgkmcnt(0)
	; wave barrier
	ds_write_b64 v12, v[13:14]
	ds_write_b64 v10, v[8:9]
	;; [unrolled: 1-line block ×3, first 2 shown]
	s_waitcnt lgkmcnt(0)
	; wave barrier
	ds_read2st64_b64 v[4:7], v30 offset1:1
	ds_read_b64 v[25:26], v30 offset:1024
	s_add_i32 s28, s28, -8
	s_add_i32 s26, s26, 8
	s_add_i32 s29, s29, 8
	s_mov_b64 s[14:15], 0
	s_waitcnt lgkmcnt(0)
	; wave barrier
	s_branch .LBB339_3
.LBB339_14:
	s_add_u32 s0, s22, s24
	s_waitcnt lgkmcnt(1)
	v_add_u32_e32 v0, v3, v7
	v_add_u32_e32 v1, v4, v8
	s_addc_u32 s1, s23, s25
	v_add_u32_e32 v2, v5, v9
	v_add_u32_e32 v3, v6, v10
	s_waitcnt lgkmcnt(0)
	v_add_u32_e32 v4, v12, v14
	v_add_u32_e32 v5, v13, v15
	global_store_dwordx2 v27, v[0:1], s[0:1]
	global_store_dwordx2 v27, v[2:3], s[0:1] offset:512
	global_store_dwordx2 v27, v[4:5], s[0:1] offset:1024
	s_endpgm
	.section	.rodata,"a",@progbits
	.p2align	6, 0x0
	.amdhsa_kernel _Z17sort_pairs_kernelI22helper_blocked_stripedN15benchmark_utils11custom_typeIiiEELj64ELj3ELj10EEvPKT0_PS4_
		.amdhsa_group_segment_fixed_size 1536
		.amdhsa_private_segment_fixed_size 0
		.amdhsa_kernarg_size 272
		.amdhsa_user_sgpr_count 6
		.amdhsa_user_sgpr_private_segment_buffer 1
		.amdhsa_user_sgpr_dispatch_ptr 0
		.amdhsa_user_sgpr_queue_ptr 0
		.amdhsa_user_sgpr_kernarg_segment_ptr 1
		.amdhsa_user_sgpr_dispatch_id 0
		.amdhsa_user_sgpr_flat_scratch_init 0
		.amdhsa_user_sgpr_private_segment_size 0
		.amdhsa_uses_dynamic_stack 0
		.amdhsa_system_sgpr_private_segment_wavefront_offset 0
		.amdhsa_system_sgpr_workgroup_id_x 1
		.amdhsa_system_sgpr_workgroup_id_y 0
		.amdhsa_system_sgpr_workgroup_id_z 0
		.amdhsa_system_sgpr_workgroup_info 0
		.amdhsa_system_vgpr_workitem_id 2
		.amdhsa_next_free_vgpr 35
		.amdhsa_next_free_sgpr 35
		.amdhsa_reserve_vcc 1
		.amdhsa_reserve_flat_scratch 0
		.amdhsa_float_round_mode_32 0
		.amdhsa_float_round_mode_16_64 0
		.amdhsa_float_denorm_mode_32 3
		.amdhsa_float_denorm_mode_16_64 3
		.amdhsa_dx10_clamp 1
		.amdhsa_ieee_mode 1
		.amdhsa_fp16_overflow 0
		.amdhsa_exception_fp_ieee_invalid_op 0
		.amdhsa_exception_fp_denorm_src 0
		.amdhsa_exception_fp_ieee_div_zero 0
		.amdhsa_exception_fp_ieee_overflow 0
		.amdhsa_exception_fp_ieee_underflow 0
		.amdhsa_exception_fp_ieee_inexact 0
		.amdhsa_exception_int_div_zero 0
	.end_amdhsa_kernel
	.section	.text._Z17sort_pairs_kernelI22helper_blocked_stripedN15benchmark_utils11custom_typeIiiEELj64ELj3ELj10EEvPKT0_PS4_,"axG",@progbits,_Z17sort_pairs_kernelI22helper_blocked_stripedN15benchmark_utils11custom_typeIiiEELj64ELj3ELj10EEvPKT0_PS4_,comdat
.Lfunc_end339:
	.size	_Z17sort_pairs_kernelI22helper_blocked_stripedN15benchmark_utils11custom_typeIiiEELj64ELj3ELj10EEvPKT0_PS4_, .Lfunc_end339-_Z17sort_pairs_kernelI22helper_blocked_stripedN15benchmark_utils11custom_typeIiiEELj64ELj3ELj10EEvPKT0_PS4_
                                        ; -- End function
	.set _Z17sort_pairs_kernelI22helper_blocked_stripedN15benchmark_utils11custom_typeIiiEELj64ELj3ELj10EEvPKT0_PS4_.num_vgpr, 35
	.set _Z17sort_pairs_kernelI22helper_blocked_stripedN15benchmark_utils11custom_typeIiiEELj64ELj3ELj10EEvPKT0_PS4_.num_agpr, 0
	.set _Z17sort_pairs_kernelI22helper_blocked_stripedN15benchmark_utils11custom_typeIiiEELj64ELj3ELj10EEvPKT0_PS4_.numbered_sgpr, 35
	.set _Z17sort_pairs_kernelI22helper_blocked_stripedN15benchmark_utils11custom_typeIiiEELj64ELj3ELj10EEvPKT0_PS4_.num_named_barrier, 0
	.set _Z17sort_pairs_kernelI22helper_blocked_stripedN15benchmark_utils11custom_typeIiiEELj64ELj3ELj10EEvPKT0_PS4_.private_seg_size, 0
	.set _Z17sort_pairs_kernelI22helper_blocked_stripedN15benchmark_utils11custom_typeIiiEELj64ELj3ELj10EEvPKT0_PS4_.uses_vcc, 1
	.set _Z17sort_pairs_kernelI22helper_blocked_stripedN15benchmark_utils11custom_typeIiiEELj64ELj3ELj10EEvPKT0_PS4_.uses_flat_scratch, 0
	.set _Z17sort_pairs_kernelI22helper_blocked_stripedN15benchmark_utils11custom_typeIiiEELj64ELj3ELj10EEvPKT0_PS4_.has_dyn_sized_stack, 0
	.set _Z17sort_pairs_kernelI22helper_blocked_stripedN15benchmark_utils11custom_typeIiiEELj64ELj3ELj10EEvPKT0_PS4_.has_recursion, 0
	.set _Z17sort_pairs_kernelI22helper_blocked_stripedN15benchmark_utils11custom_typeIiiEELj64ELj3ELj10EEvPKT0_PS4_.has_indirect_call, 0
	.section	.AMDGPU.csdata,"",@progbits
; Kernel info:
; codeLenInByte = 2500
; TotalNumSgprs: 39
; NumVgprs: 35
; ScratchSize: 0
; MemoryBound: 0
; FloatMode: 240
; IeeeMode: 1
; LDSByteSize: 1536 bytes/workgroup (compile time only)
; SGPRBlocks: 4
; VGPRBlocks: 8
; NumSGPRsForWavesPerEU: 39
; NumVGPRsForWavesPerEU: 35
; Occupancy: 7
; WaveLimiterHint : 1
; COMPUTE_PGM_RSRC2:SCRATCH_EN: 0
; COMPUTE_PGM_RSRC2:USER_SGPR: 6
; COMPUTE_PGM_RSRC2:TRAP_HANDLER: 0
; COMPUTE_PGM_RSRC2:TGID_X_EN: 1
; COMPUTE_PGM_RSRC2:TGID_Y_EN: 0
; COMPUTE_PGM_RSRC2:TGID_Z_EN: 0
; COMPUTE_PGM_RSRC2:TIDIG_COMP_CNT: 2
	.section	.text._Z16sort_keys_kernelI22helper_blocked_stripedN15benchmark_utils11custom_typeIiiEELj64ELj4ELj10EEvPKT0_PS4_,"axG",@progbits,_Z16sort_keys_kernelI22helper_blocked_stripedN15benchmark_utils11custom_typeIiiEELj64ELj4ELj10EEvPKT0_PS4_,comdat
	.protected	_Z16sort_keys_kernelI22helper_blocked_stripedN15benchmark_utils11custom_typeIiiEELj64ELj4ELj10EEvPKT0_PS4_ ; -- Begin function _Z16sort_keys_kernelI22helper_blocked_stripedN15benchmark_utils11custom_typeIiiEELj64ELj4ELj10EEvPKT0_PS4_
	.globl	_Z16sort_keys_kernelI22helper_blocked_stripedN15benchmark_utils11custom_typeIiiEELj64ELj4ELj10EEvPKT0_PS4_
	.p2align	8
	.type	_Z16sort_keys_kernelI22helper_blocked_stripedN15benchmark_utils11custom_typeIiiEELj64ELj4ELj10EEvPKT0_PS4_,@function
_Z16sort_keys_kernelI22helper_blocked_stripedN15benchmark_utils11custom_typeIiiEELj64ELj4ELj10EEvPKT0_PS4_: ; @_Z16sort_keys_kernelI22helper_blocked_stripedN15benchmark_utils11custom_typeIiiEELj64ELj4ELj10EEvPKT0_PS4_
; %bb.0:
	s_load_dwordx4 s[28:31], s[4:5], 0x0
	s_load_dword s8, s[4:5], 0x1c
	s_lshl_b32 s34, s6, 8
	s_mov_b32 s35, 0
	s_lshl_b64 s[36:37], s[34:35], 3
	s_waitcnt lgkmcnt(0)
	s_add_u32 s0, s28, s36
	s_addc_u32 s1, s29, s37
	v_lshlrev_b32_e32 v13, 5, v0
	global_load_dwordx4 v[3:6], v13, s[0:1] offset:16
	global_load_dwordx4 v[7:10], v13, s[0:1]
	global_load_dwordx2 v[11:12], v13, s[0:1]
	s_waitcnt vmcnt(1)
	v_mbcnt_lo_u32_b32 v7, -1, 0
	v_mbcnt_hi_u32_b32 v7, -1, v7
	s_lshr_b32 s9, s8, 16
	s_and_b32 s8, s8, 0xffff
	v_mad_u32_u24 v1, v2, s9, v1
	v_and_b32_e32 v2, 15, v7
	v_mad_u32_u24 v1, v1, s8, v0
	v_cmp_eq_u32_e64 s[8:9], 0, v2
	v_cmp_lt_u32_e64 s[10:11], 1, v2
	v_cmp_lt_u32_e64 s[12:13], 3, v2
	v_cmp_lt_u32_e64 s[14:15], 7, v2
	v_and_b32_e32 v2, 16, v7
	v_lshrrev_b32_e32 v8, 2, v7
	v_and_b32_e32 v14, 64, v7
	v_cmp_eq_u32_e64 s[16:17], 0, v2
	v_subrev_co_u32_e32 v2, vcc, 1, v7
	v_or_b32_e32 v15, v8, v14
	v_add_u32_e32 v8, 48, v8
	v_cmp_lt_i32_e64 s[22:23], v2, v14
	v_lshlrev_b32_e32 v23, 3, v0
	v_and_b32_e32 v13, 3, v7
	v_lshlrev_b32_e32 v18, 2, v15
	v_and_or_b32 v8, v8, 63, v14
	v_lshlrev_b32_e32 v22, 4, v0
	v_cmp_eq_u32_e64 s[20:21], 63, v0
	v_cndmask_b32_e64 v2, v2, v7, s[22:23]
	v_cmp_eq_u32_e64 s[22:23], 0, v0
	v_lshrrev_b32_e32 v1, 4, v1
	v_sub_u32_e32 v0, 0, v23
	v_cmp_eq_u32_e64 s[0:1], 0, v13
	v_cmp_eq_u32_e64 s[2:3], 1, v13
	;; [unrolled: 1-line block ×4, first 2 shown]
	v_add_u32_e32 v19, 64, v18
	v_or_b32_e32 v20, 0x80, v18
	v_lshlrev_b32_e32 v21, 2, v8
	v_cmp_lt_u32_e64 s[18:19], 31, v7
	v_lshlrev_b32_e32 v24, 2, v2
	s_or_b64 s[28:29], s[22:23], vcc
	v_lshlrev_b32_e32 v25, 3, v7
	v_and_b32_e32 v26, 0xffffffc, v1
	v_mov_b32_e32 v8, 0
	v_add_u32_e32 v27, v22, v0
	s_branch .LBB340_2
.LBB340_1:                              ;   in Loop: Header=BB340_2 Depth=1
	; wave barrier
	ds_write_b64 v30, v[16:17]
	ds_write_b64 v28, v[14:15]
	;; [unrolled: 1-line block ×4, first 2 shown]
	s_waitcnt lgkmcnt(0)
	; wave barrier
	ds_read2st64_b64 v[0:3], v27 offset1:1
	ds_read2st64_b64 v[4:7], v27 offset0:2 offset1:3
	s_add_i32 s35, s35, 1
	s_cmp_eq_u32 s35, 10
	s_waitcnt lgkmcnt(1)
	v_xor_b32_e32 v11, 0x80000000, v0
	v_xor_b32_e32 v12, 0x80000000, v1
	;; [unrolled: 1-line block ×4, first 2 shown]
	s_waitcnt lgkmcnt(0)
	v_xor_b32_e32 v3, 0x80000000, v4
	v_xor_b32_e32 v4, 0x80000000, v5
	;; [unrolled: 1-line block ×4, first 2 shown]
	s_cbranch_scc1 .LBB340_16
.LBB340_2:                              ; =>This Loop Header: Depth=1
                                        ;     Child Loop BB340_4 Depth 2
	s_waitcnt vmcnt(0)
	v_xor_b32_e32 v7, 0x80000000, v11
	v_xor_b32_e32 v11, 0x80000000, v12
	;; [unrolled: 1-line block ×3, first 2 shown]
	ds_bpermute_b32 v0, v18, v11
	v_xor_b32_e32 v13, 0x80000000, v4
	ds_bpermute_b32 v2, v18, v10
	ds_bpermute_b32 v4, v18, v13
	v_xor_b32_e32 v9, 0x80000000, v9
	ds_bpermute_b32 v1, v18, v7
	v_xor_b32_e32 v12, 0x80000000, v3
	s_waitcnt lgkmcnt(3)
	v_cndmask_b32_e64 v0, 0, v0, s[0:1]
	ds_bpermute_b32 v3, v18, v9
	v_xor_b32_e32 v14, 0x80000000, v5
	v_xor_b32_e32 v6, 0x80000000, v6
	ds_bpermute_b32 v5, v18, v12
	s_waitcnt lgkmcnt(4)
	v_cndmask_b32_e64 v0, v0, v2, s[2:3]
	ds_bpermute_b32 v2, v18, v6
	s_waitcnt lgkmcnt(4)
	v_cndmask_b32_e64 v0, v0, v4, s[4:5]
	;; [unrolled: 3-line block ×3, first 2 shown]
	s_waitcnt lgkmcnt(3)
	v_cndmask_b32_e64 v1, v1, v3, s[2:3]
	s_waitcnt lgkmcnt(2)
	v_cndmask_b32_e64 v3, v1, v5, s[4:5]
	ds_bpermute_b32 v5, v19, v7
	s_waitcnt lgkmcnt(2)
	v_cndmask_b32_e64 v1, v0, v2, s[6:7]
	ds_bpermute_b32 v2, v19, v11
	;; [unrolled: 3-line block ×3, first 2 shown]
	ds_bpermute_b32 v15, v19, v10
	s_waitcnt lgkmcnt(3)
	v_cndmask_b32_e64 v4, 0, v5, s[0:1]
	s_waitcnt lgkmcnt(2)
	v_cndmask_b32_e64 v2, 0, v2, s[0:1]
	ds_bpermute_b32 v5, v19, v13
	s_waitcnt lgkmcnt(2)
	v_cndmask_b32_e64 v3, v4, v3, s[2:3]
	ds_bpermute_b32 v4, v19, v12
	;; [unrolled: 3-line block ×3, first 2 shown]
	ds_bpermute_b32 v16, v19, v14
	s_waitcnt lgkmcnt(3)
	v_cndmask_b32_e64 v2, v2, v5, s[4:5]
	ds_bpermute_b32 v5, v20, v11
	s_waitcnt lgkmcnt(3)
	v_cndmask_b32_e64 v4, v3, v4, s[4:5]
	;; [unrolled: 3-line block ×3, first 2 shown]
	s_waitcnt lgkmcnt(2)
	v_cndmask_b32_e64 v2, v4, v16, s[6:7]
	ds_bpermute_b32 v4, v20, v7
	ds_bpermute_b32 v15, v20, v10
	;; [unrolled: 1-line block ×5, first 2 shown]
	s_waitcnt lgkmcnt(5)
	v_cndmask_b32_e64 v11, 0, v11, s[0:1]
	ds_bpermute_b32 v9, v21, v9
	v_cndmask_b32_e64 v5, 0, v5, s[0:1]
	ds_bpermute_b32 v17, v20, v13
	s_waitcnt lgkmcnt(6)
	v_cndmask_b32_e64 v4, 0, v4, s[0:1]
	ds_bpermute_b32 v28, v20, v12
	s_waitcnt lgkmcnt(5)
	v_cndmask_b32_e64 v10, v11, v10, s[2:3]
	ds_bpermute_b32 v11, v21, v13
	ds_bpermute_b32 v12, v21, v12
	v_cndmask_b32_e64 v5, v5, v15, s[2:3]
	s_waitcnt lgkmcnt(6)
	v_cndmask_b32_e64 v4, v4, v16, s[2:3]
	ds_bpermute_b32 v15, v20, v6
	ds_bpermute_b32 v16, v20, v14
	;; [unrolled: 1-line block ×4, first 2 shown]
	s_waitcnt lgkmcnt(9)
	v_cndmask_b32_e64 v7, 0, v7, s[0:1]
	s_waitcnt lgkmcnt(8)
	v_cndmask_b32_e64 v7, v7, v9, s[2:3]
	;; [unrolled: 2-line block ×10, first 2 shown]
	s_mov_b32 s33, 8
	s_mov_b32 s34, 32
	;; [unrolled: 1-line block ×3, first 2 shown]
	; wave barrier
	s_branch .LBB340_4
.LBB340_3:                              ;   in Loop: Header=BB340_4 Depth=2
	s_andn2_b64 vcc, exec, s[22:23]
	s_cbranch_vccz .LBB340_1
.LBB340_4:                              ;   Parent Loop BB340_2 Depth=1
                                        ; =>  This Inner Loop Header: Depth=2
	s_min_i32 s24, s33, 32
	s_cmp_lt_u32 s38, 32
	s_cselect_b64 s[22:23], -1, 0
	s_cmp_gt_u32 s38, 31
	s_cselect_b64 vcc, -1, 0
	s_sub_i32 s24, s24, 32
	s_add_i32 s25, s24, s34
	s_lshl_b32 s25, -1, s25
	s_not_b32 s25, s25
	s_cmp_lg_u32 s24, s38
	s_cselect_b32 s40, s25, -1
	s_max_i32 s39, s34, 0
	s_max_i32 s24, s38, 32
	s_sub_i32 s41, s24, 32
	s_sub_i32 s24, s24, s39
	;; [unrolled: 1-line block ×3, first 2 shown]
	s_min_i32 s24, s24, 32
	s_sub_i32 s24, s24, s41
	s_lshl_b32 s25, -1, s24
	v_mov_b32_e32 v17, v1
	s_not_b32 s25, s25
	v_mov_b32_e32 v16, v0
	s_cmp_lg_u32 s24, 32
	s_cselect_b32 s42, s25, -1
	v_lshrrev_b32_e32 v1, s41, v16
	v_lshrrev_b32_e32 v0, s38, v17
	v_and_b32_e32 v1, s42, v1
	v_and_b32_e32 v0, s40, v0
	v_lshlrev_b32_e32 v1, s39, v1
	v_cndmask_b32_e64 v0, 0, v0, s[22:23]
	v_cndmask_b32_e32 v1, 0, v1, vcc
	v_or_b32_e32 v0, v0, v1
	v_mov_b32_e32 v15, v3
	v_and_b32_e32 v1, 1, v0
	v_mov_b32_e32 v14, v2
	v_add_co_u32_e64 v2, s[24:25], -1, v1
	v_addc_co_u32_e64 v3, s[24:25], 0, -1, s[24:25]
	v_cmp_ne_u32_e64 s[24:25], 0, v1
	v_lshlrev_b32_e32 v9, 30, v0
	v_xor_b32_e32 v1, s25, v3
	v_xor_b32_e32 v2, s24, v2
	v_cmp_gt_i64_e64 s[24:25], 0, v[8:9]
	v_not_b32_e32 v3, v9
	v_mov_b32_e32 v13, v5
	v_ashrrev_i32_e32 v3, 31, v3
	v_mov_b32_e32 v12, v4
	v_and_b32_e32 v2, exec_lo, v2
	v_xor_b32_e32 v5, s25, v3
	v_xor_b32_e32 v3, s24, v3
	v_lshlrev_b32_e32 v9, 29, v0
	v_and_b32_e32 v2, v2, v3
	v_cmp_gt_i64_e64 s[24:25], 0, v[8:9]
	v_not_b32_e32 v3, v9
	v_and_b32_e32 v1, exec_hi, v1
	v_ashrrev_i32_e32 v3, 31, v3
	v_and_b32_e32 v1, v1, v5
	v_xor_b32_e32 v5, s25, v3
	v_xor_b32_e32 v3, s24, v3
	v_lshlrev_b32_e32 v9, 28, v0
	v_and_b32_e32 v2, v2, v3
	v_cmp_gt_i64_e64 s[24:25], 0, v[8:9]
	v_not_b32_e32 v3, v9
	v_ashrrev_i32_e32 v3, 31, v3
	v_and_b32_e32 v1, v1, v5
	v_xor_b32_e32 v5, s25, v3
	v_xor_b32_e32 v3, s24, v3
	v_lshlrev_b32_e32 v9, 27, v0
	v_and_b32_e32 v2, v2, v3
	v_cmp_gt_i64_e64 s[24:25], 0, v[8:9]
	v_not_b32_e32 v3, v9
	v_ashrrev_i32_e32 v3, 31, v3
	v_and_b32_e32 v1, v1, v5
	v_xor_b32_e32 v5, s25, v3
	v_xor_b32_e32 v3, s24, v3
	v_lshlrev_b32_e32 v9, 26, v0
	v_and_b32_e32 v2, v2, v3
	v_cmp_gt_i64_e64 s[24:25], 0, v[8:9]
	v_not_b32_e32 v3, v9
	v_ashrrev_i32_e32 v3, 31, v3
	v_and_b32_e32 v1, v1, v5
	v_xor_b32_e32 v5, s25, v3
	v_xor_b32_e32 v3, s24, v3
	v_lshlrev_b32_e32 v9, 25, v0
	v_and_b32_e32 v2, v2, v3
	v_cmp_gt_i64_e64 s[24:25], 0, v[8:9]
	v_not_b32_e32 v3, v9
	v_ashrrev_i32_e32 v3, 31, v3
	v_lshlrev_b32_e32 v9, 24, v0
	v_lshl_add_u32 v4, v0, 2, v26
	v_and_b32_e32 v1, v1, v5
	v_xor_b32_e32 v5, s25, v3
	v_xor_b32_e32 v3, s24, v3
	v_cmp_gt_i64_e64 s[24:25], 0, v[8:9]
	v_not_b32_e32 v0, v9
	v_ashrrev_i32_e32 v0, 31, v0
	v_and_b32_e32 v2, v2, v3
	v_xor_b32_e32 v3, s25, v0
	v_xor_b32_e32 v0, s24, v0
	v_and_b32_e32 v1, v1, v5
	v_and_b32_e32 v0, v2, v0
	;; [unrolled: 1-line block ×3, first 2 shown]
	v_mbcnt_lo_u32_b32 v2, v0, 0
	v_mbcnt_hi_u32_b32 v5, v1, v2
	v_cmp_ne_u64_e64 s[24:25], 0, v[0:1]
	v_mov_b32_e32 v11, v7
	v_cmp_eq_u32_e64 s[26:27], 0, v5
	v_mov_b32_e32 v10, v6
	s_and_b64 s[26:27], s[26:27], s[24:25]
	ds_write2_b32 v22, v8, v8 offset0:1 offset1:2
	ds_write2_b32 v22, v8, v8 offset0:3 offset1:4
	s_waitcnt lgkmcnt(0)
	; wave barrier
	; wave barrier
	s_and_saveexec_b64 s[24:25], s[26:27]
; %bb.5:                                ;   in Loop: Header=BB340_4 Depth=2
	v_bcnt_u32_b32 v0, v0, 0
	v_bcnt_u32_b32 v0, v1, v0
	ds_write_b32 v4, v0 offset:4
; %bb.6:                                ;   in Loop: Header=BB340_4 Depth=2
	s_or_b64 exec, exec, s[24:25]
	v_lshrrev_b32_e32 v1, s41, v14
	v_lshrrev_b32_e32 v0, s38, v15
	v_and_b32_e32 v1, s42, v1
	v_and_b32_e32 v0, s40, v0
	v_lshlrev_b32_e32 v1, s39, v1
	v_cndmask_b32_e64 v0, 0, v0, s[22:23]
	v_cndmask_b32_e32 v1, 0, v1, vcc
	v_or_b32_e32 v0, v0, v1
	v_and_b32_e32 v1, 1, v0
	v_add_co_u32_e64 v2, s[24:25], -1, v1
	v_addc_co_u32_e64 v3, s[24:25], 0, -1, s[24:25]
	v_cmp_ne_u32_e64 s[24:25], 0, v1
	v_lshlrev_b32_e32 v9, 30, v0
	v_xor_b32_e32 v1, s25, v3
	v_xor_b32_e32 v2, s24, v2
	v_cmp_gt_i64_e64 s[24:25], 0, v[8:9]
	v_not_b32_e32 v3, v9
	v_ashrrev_i32_e32 v3, 31, v3
	v_and_b32_e32 v1, exec_hi, v1
	v_xor_b32_e32 v9, s25, v3
	v_and_b32_e32 v2, exec_lo, v2
	v_xor_b32_e32 v3, s24, v3
	v_and_b32_e32 v1, v1, v9
	v_lshlrev_b32_e32 v9, 29, v0
	v_and_b32_e32 v2, v2, v3
	v_cmp_gt_i64_e64 s[24:25], 0, v[8:9]
	v_not_b32_e32 v3, v9
	v_ashrrev_i32_e32 v3, 31, v3
	v_xor_b32_e32 v9, s25, v3
	v_xor_b32_e32 v3, s24, v3
	v_and_b32_e32 v1, v1, v9
	v_lshlrev_b32_e32 v9, 28, v0
	v_and_b32_e32 v2, v2, v3
	v_cmp_gt_i64_e64 s[24:25], 0, v[8:9]
	v_not_b32_e32 v3, v9
	v_ashrrev_i32_e32 v3, 31, v3
	v_xor_b32_e32 v9, s25, v3
	;; [unrolled: 8-line block ×5, first 2 shown]
	v_and_b32_e32 v1, v1, v9
	v_lshlrev_b32_e32 v9, 24, v0
	v_lshl_add_u32 v7, v0, 2, v26
	v_xor_b32_e32 v3, s24, v3
	v_cmp_gt_i64_e64 s[24:25], 0, v[8:9]
	v_not_b32_e32 v0, v9
	v_ashrrev_i32_e32 v0, 31, v0
	v_and_b32_e32 v2, v2, v3
	v_xor_b32_e32 v3, s25, v0
	v_xor_b32_e32 v0, s24, v0
	; wave barrier
	ds_read_b32 v6, v7 offset:4
	v_and_b32_e32 v0, v2, v0
	v_and_b32_e32 v1, v1, v3
	v_mbcnt_lo_u32_b32 v2, v0, 0
	v_mbcnt_hi_u32_b32 v28, v1, v2
	v_cmp_ne_u64_e64 s[24:25], 0, v[0:1]
	v_cmp_eq_u32_e64 s[26:27], 0, v28
	s_and_b64 s[26:27], s[26:27], s[24:25]
	; wave barrier
	s_and_saveexec_b64 s[24:25], s[26:27]
	s_cbranch_execz .LBB340_8
; %bb.7:                                ;   in Loop: Header=BB340_4 Depth=2
	v_bcnt_u32_b32 v0, v0, 0
	v_bcnt_u32_b32 v0, v1, v0
	s_waitcnt lgkmcnt(0)
	v_add_u32_e32 v0, v6, v0
	ds_write_b32 v7, v0 offset:4
.LBB340_8:                              ;   in Loop: Header=BB340_4 Depth=2
	s_or_b64 exec, exec, s[24:25]
	v_lshrrev_b32_e32 v1, s41, v12
	v_lshrrev_b32_e32 v0, s38, v13
	v_and_b32_e32 v1, s42, v1
	v_and_b32_e32 v0, s40, v0
	v_lshlrev_b32_e32 v1, s39, v1
	v_cndmask_b32_e64 v0, 0, v0, s[22:23]
	v_cndmask_b32_e32 v1, 0, v1, vcc
	v_or_b32_e32 v0, v0, v1
	v_and_b32_e32 v1, 1, v0
	v_add_co_u32_e64 v2, s[24:25], -1, v1
	v_addc_co_u32_e64 v3, s[24:25], 0, -1, s[24:25]
	v_cmp_ne_u32_e64 s[24:25], 0, v1
	v_lshlrev_b32_e32 v9, 30, v0
	v_xor_b32_e32 v1, s25, v3
	v_xor_b32_e32 v2, s24, v2
	v_cmp_gt_i64_e64 s[24:25], 0, v[8:9]
	v_not_b32_e32 v3, v9
	v_ashrrev_i32_e32 v3, 31, v3
	v_and_b32_e32 v1, exec_hi, v1
	v_xor_b32_e32 v9, s25, v3
	v_and_b32_e32 v2, exec_lo, v2
	v_xor_b32_e32 v3, s24, v3
	v_and_b32_e32 v1, v1, v9
	v_lshlrev_b32_e32 v9, 29, v0
	v_and_b32_e32 v2, v2, v3
	v_cmp_gt_i64_e64 s[24:25], 0, v[8:9]
	v_not_b32_e32 v3, v9
	v_ashrrev_i32_e32 v3, 31, v3
	v_xor_b32_e32 v9, s25, v3
	v_xor_b32_e32 v3, s24, v3
	v_and_b32_e32 v1, v1, v9
	v_lshlrev_b32_e32 v9, 28, v0
	v_and_b32_e32 v2, v2, v3
	v_cmp_gt_i64_e64 s[24:25], 0, v[8:9]
	v_not_b32_e32 v3, v9
	v_ashrrev_i32_e32 v3, 31, v3
	v_xor_b32_e32 v9, s25, v3
	;; [unrolled: 8-line block ×5, first 2 shown]
	v_and_b32_e32 v1, v1, v9
	v_lshlrev_b32_e32 v9, 24, v0
	v_lshl_add_u32 v30, v0, 2, v26
	v_xor_b32_e32 v3, s24, v3
	v_cmp_gt_i64_e64 s[24:25], 0, v[8:9]
	v_not_b32_e32 v0, v9
	v_ashrrev_i32_e32 v0, 31, v0
	v_and_b32_e32 v2, v2, v3
	v_xor_b32_e32 v3, s25, v0
	v_xor_b32_e32 v0, s24, v0
	; wave barrier
	ds_read_b32 v29, v30 offset:4
	v_and_b32_e32 v0, v2, v0
	v_and_b32_e32 v1, v1, v3
	v_mbcnt_lo_u32_b32 v2, v0, 0
	v_mbcnt_hi_u32_b32 v31, v1, v2
	v_cmp_ne_u64_e64 s[24:25], 0, v[0:1]
	v_cmp_eq_u32_e64 s[26:27], 0, v31
	s_and_b64 s[26:27], s[26:27], s[24:25]
	; wave barrier
	s_and_saveexec_b64 s[24:25], s[26:27]
	s_cbranch_execz .LBB340_10
; %bb.9:                                ;   in Loop: Header=BB340_4 Depth=2
	v_bcnt_u32_b32 v0, v0, 0
	v_bcnt_u32_b32 v0, v1, v0
	s_waitcnt lgkmcnt(0)
	v_add_u32_e32 v0, v29, v0
	ds_write_b32 v30, v0 offset:4
.LBB340_10:                             ;   in Loop: Header=BB340_4 Depth=2
	s_or_b64 exec, exec, s[24:25]
	v_lshrrev_b32_e32 v1, s41, v10
	v_lshrrev_b32_e32 v0, s38, v11
	v_and_b32_e32 v1, s42, v1
	v_and_b32_e32 v0, s40, v0
	v_lshlrev_b32_e32 v1, s39, v1
	v_cndmask_b32_e64 v0, 0, v0, s[22:23]
	v_cndmask_b32_e32 v1, 0, v1, vcc
	v_or_b32_e32 v0, v0, v1
	v_and_b32_e32 v1, 1, v0
	v_add_co_u32_e32 v2, vcc, -1, v1
	v_addc_co_u32_e64 v3, s[22:23], 0, -1, vcc
	v_cmp_ne_u32_e32 vcc, 0, v1
	v_lshlrev_b32_e32 v9, 30, v0
	v_xor_b32_e32 v1, vcc_hi, v3
	v_xor_b32_e32 v2, vcc_lo, v2
	v_cmp_gt_i64_e32 vcc, 0, v[8:9]
	v_not_b32_e32 v3, v9
	v_ashrrev_i32_e32 v3, 31, v3
	v_and_b32_e32 v1, exec_hi, v1
	v_xor_b32_e32 v9, vcc_hi, v3
	v_and_b32_e32 v2, exec_lo, v2
	v_xor_b32_e32 v3, vcc_lo, v3
	v_and_b32_e32 v1, v1, v9
	v_lshlrev_b32_e32 v9, 29, v0
	v_and_b32_e32 v2, v2, v3
	v_cmp_gt_i64_e32 vcc, 0, v[8:9]
	v_not_b32_e32 v3, v9
	v_ashrrev_i32_e32 v3, 31, v3
	v_xor_b32_e32 v9, vcc_hi, v3
	v_xor_b32_e32 v3, vcc_lo, v3
	v_and_b32_e32 v1, v1, v9
	v_lshlrev_b32_e32 v9, 28, v0
	v_and_b32_e32 v2, v2, v3
	v_cmp_gt_i64_e32 vcc, 0, v[8:9]
	v_not_b32_e32 v3, v9
	v_ashrrev_i32_e32 v3, 31, v3
	v_xor_b32_e32 v9, vcc_hi, v3
	;; [unrolled: 8-line block ×5, first 2 shown]
	v_and_b32_e32 v1, v1, v9
	v_lshlrev_b32_e32 v9, 24, v0
	v_lshl_add_u32 v33, v0, 2, v26
	v_xor_b32_e32 v3, vcc_lo, v3
	v_cmp_gt_i64_e32 vcc, 0, v[8:9]
	v_not_b32_e32 v0, v9
	v_ashrrev_i32_e32 v0, 31, v0
	v_and_b32_e32 v2, v2, v3
	v_xor_b32_e32 v3, vcc_hi, v0
	v_xor_b32_e32 v0, vcc_lo, v0
	; wave barrier
	ds_read_b32 v32, v33 offset:4
	v_and_b32_e32 v0, v2, v0
	v_and_b32_e32 v1, v1, v3
	v_mbcnt_lo_u32_b32 v2, v0, 0
	v_mbcnt_hi_u32_b32 v9, v1, v2
	v_cmp_ne_u64_e32 vcc, 0, v[0:1]
	v_cmp_eq_u32_e64 s[22:23], 0, v9
	s_and_b64 s[24:25], s[22:23], vcc
	; wave barrier
	s_and_saveexec_b64 s[22:23], s[24:25]
	s_cbranch_execz .LBB340_12
; %bb.11:                               ;   in Loop: Header=BB340_4 Depth=2
	v_bcnt_u32_b32 v0, v0, 0
	v_bcnt_u32_b32 v0, v1, v0
	s_waitcnt lgkmcnt(0)
	v_add_u32_e32 v0, v32, v0
	ds_write_b32 v33, v0 offset:4
.LBB340_12:                             ;   in Loop: Header=BB340_4 Depth=2
	s_or_b64 exec, exec, s[22:23]
	; wave barrier
	s_waitcnt lgkmcnt(0)
	; wave barrier
	ds_read2_b32 v[2:3], v22 offset0:1 offset1:2
	ds_read2_b32 v[0:1], v22 offset0:3 offset1:4
	s_waitcnt lgkmcnt(1)
	v_add_u32_e32 v34, v3, v2
	s_waitcnt lgkmcnt(0)
	v_add3_u32 v1, v34, v0, v1
	s_nop 1
	v_mov_b32_dpp v34, v1 row_shr:1 row_mask:0xf bank_mask:0xf
	v_cndmask_b32_e64 v34, v34, 0, s[8:9]
	v_add_u32_e32 v1, v34, v1
	s_nop 1
	v_mov_b32_dpp v34, v1 row_shr:2 row_mask:0xf bank_mask:0xf
	v_cndmask_b32_e64 v34, 0, v34, s[10:11]
	v_add_u32_e32 v1, v1, v34
	;; [unrolled: 4-line block ×4, first 2 shown]
	s_nop 1
	v_mov_b32_dpp v34, v1 row_bcast:15 row_mask:0xf bank_mask:0xf
	v_cndmask_b32_e64 v34, v34, 0, s[16:17]
	v_add_u32_e32 v1, v1, v34
	s_nop 1
	v_mov_b32_dpp v34, v1 row_bcast:31 row_mask:0xf bank_mask:0xf
	v_cndmask_b32_e64 v34, 0, v34, s[18:19]
	v_add_u32_e32 v1, v1, v34
	s_and_saveexec_b64 s[22:23], s[20:21]
; %bb.13:                               ;   in Loop: Header=BB340_4 Depth=2
	ds_write_b32 v8, v1
; %bb.14:                               ;   in Loop: Header=BB340_4 Depth=2
	s_or_b64 exec, exec, s[22:23]
	ds_bpermute_b32 v1, v24, v1
	s_waitcnt lgkmcnt(0)
	; wave barrier
	s_cmp_gt_u32 s38, 55
	s_mov_b64 s[22:23], -1
	v_cndmask_b32_e64 v1, v1, 0, s[28:29]
	v_add_u32_e32 v2, v1, v2
	v_add_u32_e32 v3, v2, v3
	;; [unrolled: 1-line block ×3, first 2 shown]
	ds_write2_b32 v22, v1, v2 offset0:1 offset1:2
	ds_write2_b32 v22, v3, v0 offset0:3 offset1:4
	s_waitcnt lgkmcnt(0)
	; wave barrier
	ds_read_b32 v0, v4 offset:4
	ds_read_b32 v1, v7 offset:4
	;; [unrolled: 1-line block ×4, first 2 shown]
	v_lshlrev_b32_e32 v4, 3, v5
	s_waitcnt lgkmcnt(3)
	v_lshl_add_u32 v30, v0, 3, v4
	v_lshlrev_b32_e32 v0, 3, v28
	v_lshlrev_b32_e32 v4, 3, v6
	s_waitcnt lgkmcnt(2)
	v_lshlrev_b32_e32 v1, 3, v1
	v_add3_u32 v28, v0, v4, v1
	v_lshlrev_b32_e32 v0, 3, v31
	v_lshlrev_b32_e32 v1, 3, v29
	s_waitcnt lgkmcnt(1)
	v_lshlrev_b32_e32 v2, 3, v2
	v_add3_u32 v29, v0, v1, v2
	;; [unrolled: 5-line block ×3, first 2 shown]
                                        ; implicit-def: $vgpr0_vgpr1
                                        ; implicit-def: $vgpr4_vgpr5
	s_cbranch_scc1 .LBB340_3
; %bb.15:                               ;   in Loop: Header=BB340_4 Depth=2
	; wave barrier
	ds_write_b64 v30, v[16:17]
	ds_write_b64 v28, v[14:15]
	;; [unrolled: 1-line block ×4, first 2 shown]
	s_waitcnt lgkmcnt(0)
	; wave barrier
	ds_read2st64_b64 v[0:3], v25 offset1:1
	ds_read2st64_b64 v[4:7], v25 offset0:2 offset1:3
	s_add_i32 s34, s34, -8
	s_add_i32 s33, s33, 8
	s_add_i32 s38, s38, 8
	s_mov_b64 s[22:23], 0
	s_waitcnt lgkmcnt(0)
	; wave barrier
	s_branch .LBB340_3
.LBB340_16:
	s_add_u32 s0, s30, s36
	s_addc_u32 s1, s31, s37
	global_store_dwordx2 v23, v[11:12], s[0:1]
	global_store_dwordx2 v23, v[9:10], s[0:1] offset:512
	global_store_dwordx2 v23, v[3:4], s[0:1] offset:1024
	;; [unrolled: 1-line block ×3, first 2 shown]
	s_endpgm
	.section	.rodata,"a",@progbits
	.p2align	6, 0x0
	.amdhsa_kernel _Z16sort_keys_kernelI22helper_blocked_stripedN15benchmark_utils11custom_typeIiiEELj64ELj4ELj10EEvPKT0_PS4_
		.amdhsa_group_segment_fixed_size 2048
		.amdhsa_private_segment_fixed_size 0
		.amdhsa_kernarg_size 272
		.amdhsa_user_sgpr_count 6
		.amdhsa_user_sgpr_private_segment_buffer 1
		.amdhsa_user_sgpr_dispatch_ptr 0
		.amdhsa_user_sgpr_queue_ptr 0
		.amdhsa_user_sgpr_kernarg_segment_ptr 1
		.amdhsa_user_sgpr_dispatch_id 0
		.amdhsa_user_sgpr_flat_scratch_init 0
		.amdhsa_user_sgpr_private_segment_size 0
		.amdhsa_uses_dynamic_stack 0
		.amdhsa_system_sgpr_private_segment_wavefront_offset 0
		.amdhsa_system_sgpr_workgroup_id_x 1
		.amdhsa_system_sgpr_workgroup_id_y 0
		.amdhsa_system_sgpr_workgroup_id_z 0
		.amdhsa_system_sgpr_workgroup_info 0
		.amdhsa_system_vgpr_workitem_id 2
		.amdhsa_next_free_vgpr 35
		.amdhsa_next_free_sgpr 61
		.amdhsa_reserve_vcc 1
		.amdhsa_reserve_flat_scratch 0
		.amdhsa_float_round_mode_32 0
		.amdhsa_float_round_mode_16_64 0
		.amdhsa_float_denorm_mode_32 3
		.amdhsa_float_denorm_mode_16_64 3
		.amdhsa_dx10_clamp 1
		.amdhsa_ieee_mode 1
		.amdhsa_fp16_overflow 0
		.amdhsa_exception_fp_ieee_invalid_op 0
		.amdhsa_exception_fp_denorm_src 0
		.amdhsa_exception_fp_ieee_div_zero 0
		.amdhsa_exception_fp_ieee_overflow 0
		.amdhsa_exception_fp_ieee_underflow 0
		.amdhsa_exception_fp_ieee_inexact 0
		.amdhsa_exception_int_div_zero 0
	.end_amdhsa_kernel
	.section	.text._Z16sort_keys_kernelI22helper_blocked_stripedN15benchmark_utils11custom_typeIiiEELj64ELj4ELj10EEvPKT0_PS4_,"axG",@progbits,_Z16sort_keys_kernelI22helper_blocked_stripedN15benchmark_utils11custom_typeIiiEELj64ELj4ELj10EEvPKT0_PS4_,comdat
.Lfunc_end340:
	.size	_Z16sort_keys_kernelI22helper_blocked_stripedN15benchmark_utils11custom_typeIiiEELj64ELj4ELj10EEvPKT0_PS4_, .Lfunc_end340-_Z16sort_keys_kernelI22helper_blocked_stripedN15benchmark_utils11custom_typeIiiEELj64ELj4ELj10EEvPKT0_PS4_
                                        ; -- End function
	.set _Z16sort_keys_kernelI22helper_blocked_stripedN15benchmark_utils11custom_typeIiiEELj64ELj4ELj10EEvPKT0_PS4_.num_vgpr, 35
	.set _Z16sort_keys_kernelI22helper_blocked_stripedN15benchmark_utils11custom_typeIiiEELj64ELj4ELj10EEvPKT0_PS4_.num_agpr, 0
	.set _Z16sort_keys_kernelI22helper_blocked_stripedN15benchmark_utils11custom_typeIiiEELj64ELj4ELj10EEvPKT0_PS4_.numbered_sgpr, 43
	.set _Z16sort_keys_kernelI22helper_blocked_stripedN15benchmark_utils11custom_typeIiiEELj64ELj4ELj10EEvPKT0_PS4_.num_named_barrier, 0
	.set _Z16sort_keys_kernelI22helper_blocked_stripedN15benchmark_utils11custom_typeIiiEELj64ELj4ELj10EEvPKT0_PS4_.private_seg_size, 0
	.set _Z16sort_keys_kernelI22helper_blocked_stripedN15benchmark_utils11custom_typeIiiEELj64ELj4ELj10EEvPKT0_PS4_.uses_vcc, 1
	.set _Z16sort_keys_kernelI22helper_blocked_stripedN15benchmark_utils11custom_typeIiiEELj64ELj4ELj10EEvPKT0_PS4_.uses_flat_scratch, 0
	.set _Z16sort_keys_kernelI22helper_blocked_stripedN15benchmark_utils11custom_typeIiiEELj64ELj4ELj10EEvPKT0_PS4_.has_dyn_sized_stack, 0
	.set _Z16sort_keys_kernelI22helper_blocked_stripedN15benchmark_utils11custom_typeIiiEELj64ELj4ELj10EEvPKT0_PS4_.has_recursion, 0
	.set _Z16sort_keys_kernelI22helper_blocked_stripedN15benchmark_utils11custom_typeIiiEELj64ELj4ELj10EEvPKT0_PS4_.has_indirect_call, 0
	.section	.AMDGPU.csdata,"",@progbits
; Kernel info:
; codeLenInByte = 3492
; TotalNumSgprs: 47
; NumVgprs: 35
; ScratchSize: 0
; MemoryBound: 0
; FloatMode: 240
; IeeeMode: 1
; LDSByteSize: 2048 bytes/workgroup (compile time only)
; SGPRBlocks: 8
; VGPRBlocks: 8
; NumSGPRsForWavesPerEU: 65
; NumVGPRsForWavesPerEU: 35
; Occupancy: 7
; WaveLimiterHint : 1
; COMPUTE_PGM_RSRC2:SCRATCH_EN: 0
; COMPUTE_PGM_RSRC2:USER_SGPR: 6
; COMPUTE_PGM_RSRC2:TRAP_HANDLER: 0
; COMPUTE_PGM_RSRC2:TGID_X_EN: 1
; COMPUTE_PGM_RSRC2:TGID_Y_EN: 0
; COMPUTE_PGM_RSRC2:TGID_Z_EN: 0
; COMPUTE_PGM_RSRC2:TIDIG_COMP_CNT: 2
	.section	.text._Z17sort_pairs_kernelI22helper_blocked_stripedN15benchmark_utils11custom_typeIiiEELj64ELj4ELj10EEvPKT0_PS4_,"axG",@progbits,_Z17sort_pairs_kernelI22helper_blocked_stripedN15benchmark_utils11custom_typeIiiEELj64ELj4ELj10EEvPKT0_PS4_,comdat
	.protected	_Z17sort_pairs_kernelI22helper_blocked_stripedN15benchmark_utils11custom_typeIiiEELj64ELj4ELj10EEvPKT0_PS4_ ; -- Begin function _Z17sort_pairs_kernelI22helper_blocked_stripedN15benchmark_utils11custom_typeIiiEELj64ELj4ELj10EEvPKT0_PS4_
	.globl	_Z17sort_pairs_kernelI22helper_blocked_stripedN15benchmark_utils11custom_typeIiiEELj64ELj4ELj10EEvPKT0_PS4_
	.p2align	8
	.type	_Z17sort_pairs_kernelI22helper_blocked_stripedN15benchmark_utils11custom_typeIiiEELj64ELj4ELj10EEvPKT0_PS4_,@function
_Z17sort_pairs_kernelI22helper_blocked_stripedN15benchmark_utils11custom_typeIiiEELj64ELj4ELj10EEvPKT0_PS4_: ; @_Z17sort_pairs_kernelI22helper_blocked_stripedN15benchmark_utils11custom_typeIiiEELj64ELj4ELj10EEvPKT0_PS4_
; %bb.0:
	s_load_dwordx4 s[28:31], s[4:5], 0x0
	s_load_dword s26, s[4:5], 0x1c
	s_lshl_b32 s36, s6, 8
	s_mov_b32 s37, 0
	s_lshl_b64 s[34:35], s[36:37], 3
	s_waitcnt lgkmcnt(0)
	s_add_u32 s0, s28, s34
	s_addc_u32 s1, s29, s35
	v_lshlrev_b32_e32 v3, 5, v0
	global_load_dwordx4 v[8:11], v3, s[0:1]
	global_load_dwordx4 v[12:15], v3, s[0:1] offset:16
	v_mbcnt_lo_u32_b32 v3, -1, 0
	v_mbcnt_hi_u32_b32 v3, -1, v3
	v_and_b32_e32 v6, 64, v3
	v_subrev_co_u32_e64 v18, s[22:23], 1, v3
	v_cmp_lt_i32_e64 s[24:25], v18, v6
	v_lshrrev_b32_e32 v4, 2, v3
	v_and_b32_e32 v5, 3, v3
	v_and_b32_e32 v7, 15, v3
	;; [unrolled: 1-line block ×3, first 2 shown]
	v_cmp_lt_u32_e64 s[2:3], 31, v3
	v_lshlrev_b32_e32 v36, 3, v3
	v_cndmask_b32_e64 v3, v18, v3, s[24:25]
	s_lshr_b32 s24, s26, 16
	s_and_b32 s25, s26, 0xffff
	v_mad_u32_u24 v1, v2, s24, v1
	v_lshlrev_b32_e32 v35, 4, v0
	v_cmp_eq_u32_e64 s[0:1], 63, v0
	v_cmp_eq_u32_e32 vcc, 0, v0
	v_lshlrev_b32_e32 v34, 3, v0
	v_or_b32_e32 v20, v4, v6
	v_add_u32_e32 v4, 48, v4
	v_mad_u32_u24 v0, v1, s25, v0
	v_sub_u32_e32 v19, 0, v34
	v_lshlrev_b32_e32 v37, 2, v20
	v_and_or_b32 v4, v4, 63, v6
	v_lshrrev_b32_e32 v0, 4, v0
	v_mov_b32_e32 v16, 0
	v_cmp_eq_u32_e64 s[4:5], 0, v5
	v_cmp_eq_u32_e64 s[6:7], 1, v5
	;; [unrolled: 1-line block ×5, first 2 shown]
	v_cmp_lt_u32_e64 s[14:15], 1, v7
	v_cmp_lt_u32_e64 s[16:17], 3, v7
	v_cmp_lt_u32_e64 s[18:19], 7, v7
	v_cmp_eq_u32_e64 s[20:21], 0, v17
	v_lshlrev_b32_e32 v38, 2, v3
	v_add_u32_e32 v39, 64, v37
	v_or_b32_e32 v40, 0x80, v37
	v_lshlrev_b32_e32 v41, 2, v4
	s_or_b64 s[28:29], vcc, s[22:23]
	v_and_b32_e32 v42, 0xffffffc, v0
	v_add_u32_e32 v43, v35, v19
	s_waitcnt vmcnt(1)
	v_add_u32_e32 v5, 1, v9
	v_add_u32_e32 v4, 1, v8
	;; [unrolled: 1-line block ×4, first 2 shown]
	s_waitcnt vmcnt(0)
	v_add_u32_e32 v1, 1, v13
	v_add_u32_e32 v0, 1, v12
	;; [unrolled: 1-line block ×4, first 2 shown]
	s_branch .LBB341_2
.LBB341_1:                              ;   in Loop: Header=BB341_2 Depth=1
	; wave barrier
	ds_write_b64 v17, v[32:33]
	ds_write_b64 v44, v[30:31]
	;; [unrolled: 1-line block ×4, first 2 shown]
	s_waitcnt lgkmcnt(0)
	; wave barrier
	ds_read2st64_b64 v[8:11], v43 offset1:1
	ds_read2st64_b64 v[12:15], v43 offset0:2 offset1:3
	s_waitcnt lgkmcnt(0)
	; wave barrier
	ds_write_b64 v17, v[24:25]
	ds_write_b64 v44, v[22:23]
	;; [unrolled: 1-line block ×4, first 2 shown]
	s_waitcnt lgkmcnt(0)
	; wave barrier
	ds_read2st64_b64 v[4:7], v43 offset1:1
	ds_read2st64_b64 v[0:3], v43 offset0:2 offset1:3
	s_add_i32 s37, s37, 1
	v_xor_b32_e32 v8, 0x80000000, v8
	v_xor_b32_e32 v9, 0x80000000, v9
	;; [unrolled: 1-line block ×7, first 2 shown]
	s_cmp_lg_u32 s37, 10
	v_xor_b32_e32 v15, 0x80000000, v15
	s_cbranch_scc0 .LBB341_16
.LBB341_2:                              ; =>This Loop Header: Depth=1
                                        ;     Child Loop BB341_4 Depth 2
	v_xor_b32_e32 v9, 0x80000000, v9
	v_xor_b32_e32 v11, 0x80000000, v11
	s_waitcnt lgkmcnt(0)
	ds_bpermute_b32 v33, v37, v0
	ds_bpermute_b32 v47, v39, v0
	;; [unrolled: 1-line block ×10, first 2 shown]
	v_xor_b32_e32 v8, 0x80000000, v8
	v_xor_b32_e32 v10, 0x80000000, v10
	ds_bpermute_b32 v45, v37, v2
	ds_bpermute_b32 v49, v39, v2
	;; [unrolled: 1-line block ×4, first 2 shown]
	s_waitcnt lgkmcnt(9)
	v_cndmask_b32_e64 v0, 0, v0, s[4:5]
	ds_bpermute_b32 v2, v37, v8
	v_xor_b32_e32 v12, 0x80000000, v12
	v_xor_b32_e32 v13, 0x80000000, v13
	s_waitcnt lgkmcnt(5)
	v_cndmask_b32_e64 v0, v0, v1, s[6:7]
	ds_bpermute_b32 v1, v37, v10
	v_xor_b32_e32 v15, 0x80000000, v15
	ds_bpermute_b32 v17, v37, v4
	ds_bpermute_b32 v21, v39, v4
	;; [unrolled: 1-line block ×15, first 2 shown]
	s_waitcnt lgkmcnt(14)
	v_cndmask_b32_e64 v2, 0, v2, s[4:5]
	v_xor_b32_e32 v14, 0x80000000, v14
	v_cndmask_b32_e64 v1, v2, v1, s[6:7]
	s_waitcnt lgkmcnt(6)
	v_cndmask_b32_e64 v0, v0, v3, s[8:9]
	s_waitcnt lgkmcnt(5)
	v_cndmask_b32_e64 v2, v1, v4, s[8:9]
	ds_bpermute_b32 v3, v37, v14
	ds_bpermute_b32 v4, v39, v9
	s_waitcnt lgkmcnt(2)
	v_cndmask_b32_e64 v1, v0, v5, s[10:11]
	ds_bpermute_b32 v5, v39, v11
	ds_bpermute_b32 v19, v37, v6
	;; [unrolled: 1-line block ×11, first 2 shown]
	s_waitcnt lgkmcnt(12)
	v_cndmask_b32_e64 v0, v2, v3, s[10:11]
	s_waitcnt lgkmcnt(11)
	v_cndmask_b32_e64 v2, 0, v4, s[4:5]
	;; [unrolled: 2-line block ×5, first 2 shown]
	ds_bpermute_b32 v2, v39, v8
	ds_bpermute_b32 v4, v39, v10
	;; [unrolled: 1-line block ×5, first 2 shown]
	s_waitcnt lgkmcnt(4)
	v_cndmask_b32_e64 v2, 0, v2, s[4:5]
	s_waitcnt lgkmcnt(3)
	v_cndmask_b32_e64 v2, v2, v4, s[6:7]
	;; [unrolled: 2-line block ×4, first 2 shown]
	ds_bpermute_b32 v5, v40, v11
	ds_bpermute_b32 v6, v40, v8
	s_waitcnt lgkmcnt(2)
	v_cndmask_b32_e64 v4, 0, v7, s[4:5]
	ds_bpermute_b32 v7, v40, v10
	ds_bpermute_b32 v60, v40, v12
	s_waitcnt lgkmcnt(3)
	v_cndmask_b32_e64 v4, v4, v5, s[6:7]
	s_waitcnt lgkmcnt(2)
	v_cndmask_b32_e64 v5, 0, v6, s[4:5]
	ds_bpermute_b32 v59, v40, v13
	s_waitcnt lgkmcnt(2)
	v_cndmask_b32_e64 v5, v5, v7, s[6:7]
	s_waitcnt lgkmcnt(1)
	v_cndmask_b32_e64 v6, v5, v60, s[8:9]
	ds_bpermute_b32 v5, v40, v15
	ds_bpermute_b32 v7, v40, v14
	;; [unrolled: 1-line block ×4, first 2 shown]
	s_waitcnt lgkmcnt(4)
	v_cndmask_b32_e64 v4, v4, v59, s[8:9]
	ds_bpermute_b32 v13, v41, v13
	s_waitcnt lgkmcnt(4)
	v_cndmask_b32_e64 v5, v4, v5, s[10:11]
	s_waitcnt lgkmcnt(3)
	v_cndmask_b32_e64 v4, v6, v7, s[10:11]
	ds_bpermute_b32 v7, v41, v15
	ds_bpermute_b32 v8, v41, v8
	s_waitcnt lgkmcnt(4)
	v_cndmask_b32_e64 v6, 0, v9, s[4:5]
	ds_bpermute_b32 v9, v41, v10
	s_waitcnt lgkmcnt(4)
	v_cndmask_b32_e64 v6, v6, v11, s[6:7]
	;; [unrolled: 3-line block ×3, first 2 shown]
	s_waitcnt lgkmcnt(3)
	v_cndmask_b32_e64 v7, v6, v7, s[10:11]
	s_waitcnt lgkmcnt(2)
	v_cndmask_b32_e64 v6, 0, v8, s[4:5]
	s_waitcnt lgkmcnt(1)
	v_cndmask_b32_e64 v6, v6, v9, s[6:7]
	v_cndmask_b32_e64 v8, 0, v18, s[4:5]
	v_cndmask_b32_e64 v9, 0, v17, s[4:5]
	ds_bpermute_b32 v11, v41, v14
	v_cndmask_b32_e64 v8, v8, v20, s[6:7]
	v_cndmask_b32_e64 v9, v9, v19, s[6:7]
	s_waitcnt lgkmcnt(1)
	v_cndmask_b32_e64 v6, v6, v10, s[8:9]
	v_cndmask_b32_e64 v8, v8, v44, s[8:9]
	;; [unrolled: 1-line block ×14, first 2 shown]
	s_waitcnt lgkmcnt(0)
	v_cndmask_b32_e64 v6, v6, v11, s[10:11]
	v_cndmask_b32_e64 v11, v10, v50, s[10:11]
	v_cndmask_b32_e64 v10, 0, v21, s[4:5]
	v_cndmask_b32_e64 v13, v12, v54, s[10:11]
	v_cndmask_b32_e64 v12, v14, v53, s[10:11]
	v_cndmask_b32_e64 v14, 0, v30, s[4:5]
	v_cndmask_b32_e64 v15, 0, v29, s[4:5]
	v_cndmask_b32_e64 v10, v10, v23, s[6:7]
	v_cndmask_b32_e64 v14, v14, v32, s[6:7]
	v_cndmask_b32_e64 v15, v15, v31, s[6:7]
	v_cndmask_b32_e64 v10, v10, v47, s[8:9]
	v_cndmask_b32_e64 v14, v14, v56, s[8:9]
	v_cndmask_b32_e64 v17, v15, v55, s[8:9]
	v_cndmask_b32_e64 v10, v10, v49, s[10:11]
	v_cndmask_b32_e64 v15, v14, v58, s[10:11]
	v_cndmask_b32_e64 v14, v17, v57, s[10:11]
	s_mov_b32 s33, 8
	s_mov_b32 s36, 32
	;; [unrolled: 1-line block ×3, first 2 shown]
	; wave barrier
	s_branch .LBB341_4
.LBB341_3:                              ;   in Loop: Header=BB341_4 Depth=2
	s_andn2_b64 vcc, exec, s[22:23]
	s_cbranch_vccz .LBB341_1
.LBB341_4:                              ;   Parent Loop BB341_2 Depth=1
                                        ; =>  This Inner Loop Header: Depth=2
	s_min_i32 s24, s33, 32
	s_cmp_lt_u32 s38, 32
	s_cselect_b64 s[22:23], -1, 0
	s_cmp_gt_u32 s38, 31
	s_cselect_b64 vcc, -1, 0
	s_sub_i32 s24, s24, 32
	s_add_i32 s25, s24, s36
	s_lshl_b32 s25, -1, s25
	s_not_b32 s25, s25
	s_cmp_lg_u32 s24, s38
	s_cselect_b32 s40, s25, -1
	s_max_i32 s39, s36, 0
	s_max_i32 s24, s38, 32
	s_sub_i32 s41, s24, 32
	s_sub_i32 s24, s24, s39
	;; [unrolled: 1-line block ×3, first 2 shown]
	s_min_i32 s24, s24, 32
	s_sub_i32 s24, s24, s41
	s_lshl_b32 s25, -1, s24
	v_mov_b32_e32 v33, v1
	s_not_b32 s25, s25
	v_mov_b32_e32 v32, v0
	s_cmp_lg_u32 s24, 32
	s_cselect_b32 s42, s25, -1
	v_lshrrev_b32_e32 v1, s41, v32
	v_lshrrev_b32_e32 v0, s38, v33
	v_and_b32_e32 v1, s42, v1
	v_and_b32_e32 v0, s40, v0
	v_lshlrev_b32_e32 v1, s39, v1
	v_cndmask_b32_e64 v0, 0, v0, s[22:23]
	v_cndmask_b32_e32 v1, 0, v1, vcc
	v_or_b32_e32 v0, v0, v1
	v_mov_b32_e32 v31, v3
	v_and_b32_e32 v1, 1, v0
	v_mov_b32_e32 v30, v2
	v_add_co_u32_e64 v2, s[24:25], -1, v1
	v_addc_co_u32_e64 v3, s[24:25], 0, -1, s[24:25]
	v_cmp_ne_u32_e64 s[24:25], 0, v1
	v_lshlrev_b32_e32 v17, 30, v0
	v_xor_b32_e32 v1, s25, v3
	v_xor_b32_e32 v2, s24, v2
	v_cmp_gt_i64_e64 s[24:25], 0, v[16:17]
	v_not_b32_e32 v3, v17
	v_mov_b32_e32 v29, v5
	v_ashrrev_i32_e32 v3, 31, v3
	v_mov_b32_e32 v28, v4
	v_and_b32_e32 v2, exec_lo, v2
	v_xor_b32_e32 v5, s25, v3
	v_xor_b32_e32 v3, s24, v3
	v_lshlrev_b32_e32 v17, 29, v0
	v_and_b32_e32 v2, v2, v3
	v_cmp_gt_i64_e64 s[24:25], 0, v[16:17]
	v_not_b32_e32 v3, v17
	v_and_b32_e32 v1, exec_hi, v1
	v_ashrrev_i32_e32 v3, 31, v3
	v_and_b32_e32 v1, v1, v5
	v_xor_b32_e32 v5, s25, v3
	v_xor_b32_e32 v3, s24, v3
	v_lshlrev_b32_e32 v17, 28, v0
	v_and_b32_e32 v2, v2, v3
	v_cmp_gt_i64_e64 s[24:25], 0, v[16:17]
	v_not_b32_e32 v3, v17
	v_ashrrev_i32_e32 v3, 31, v3
	v_and_b32_e32 v1, v1, v5
	v_xor_b32_e32 v5, s25, v3
	v_xor_b32_e32 v3, s24, v3
	v_lshlrev_b32_e32 v17, 27, v0
	v_and_b32_e32 v2, v2, v3
	v_cmp_gt_i64_e64 s[24:25], 0, v[16:17]
	v_not_b32_e32 v3, v17
	;; [unrolled: 8-line block ×4, first 2 shown]
	v_ashrrev_i32_e32 v3, 31, v3
	v_lshlrev_b32_e32 v17, 24, v0
	v_lshl_add_u32 v4, v0, 2, v42
	v_and_b32_e32 v1, v1, v5
	v_xor_b32_e32 v5, s25, v3
	v_xor_b32_e32 v3, s24, v3
	v_cmp_gt_i64_e64 s[24:25], 0, v[16:17]
	v_not_b32_e32 v0, v17
	v_ashrrev_i32_e32 v0, 31, v0
	v_and_b32_e32 v2, v2, v3
	v_xor_b32_e32 v3, s25, v0
	v_xor_b32_e32 v0, s24, v0
	v_and_b32_e32 v1, v1, v5
	v_and_b32_e32 v0, v2, v0
	;; [unrolled: 1-line block ×3, first 2 shown]
	v_mbcnt_lo_u32_b32 v2, v0, 0
	v_mbcnt_hi_u32_b32 v5, v1, v2
	v_cmp_ne_u64_e64 s[24:25], 0, v[0:1]
	v_mov_b32_e32 v25, v9
	v_mov_b32_e32 v23, v11
	;; [unrolled: 1-line block ×5, first 2 shown]
	v_cmp_eq_u32_e64 s[26:27], 0, v5
	v_mov_b32_e32 v24, v8
	v_mov_b32_e32 v22, v10
	;; [unrolled: 1-line block ×5, first 2 shown]
	s_and_b64 s[26:27], s[26:27], s[24:25]
	ds_write2_b32 v35, v16, v16 offset0:1 offset1:2
	ds_write2_b32 v35, v16, v16 offset0:3 offset1:4
	s_waitcnt lgkmcnt(0)
	; wave barrier
	; wave barrier
	s_and_saveexec_b64 s[24:25], s[26:27]
; %bb.5:                                ;   in Loop: Header=BB341_4 Depth=2
	v_bcnt_u32_b32 v0, v0, 0
	v_bcnt_u32_b32 v0, v1, v0
	ds_write_b32 v4, v0 offset:4
; %bb.6:                                ;   in Loop: Header=BB341_4 Depth=2
	s_or_b64 exec, exec, s[24:25]
	v_lshrrev_b32_e32 v1, s41, v30
	v_lshrrev_b32_e32 v0, s38, v31
	v_and_b32_e32 v1, s42, v1
	v_and_b32_e32 v0, s40, v0
	v_lshlrev_b32_e32 v1, s39, v1
	v_cndmask_b32_e64 v0, 0, v0, s[22:23]
	v_cndmask_b32_e32 v1, 0, v1, vcc
	v_or_b32_e32 v0, v0, v1
	v_and_b32_e32 v1, 1, v0
	v_add_co_u32_e64 v2, s[24:25], -1, v1
	v_addc_co_u32_e64 v3, s[24:25], 0, -1, s[24:25]
	v_cmp_ne_u32_e64 s[24:25], 0, v1
	v_lshlrev_b32_e32 v17, 30, v0
	v_xor_b32_e32 v1, s25, v3
	v_xor_b32_e32 v2, s24, v2
	v_cmp_gt_i64_e64 s[24:25], 0, v[16:17]
	v_not_b32_e32 v3, v17
	v_ashrrev_i32_e32 v3, 31, v3
	v_and_b32_e32 v2, exec_lo, v2
	v_xor_b32_e32 v8, s25, v3
	v_xor_b32_e32 v3, s24, v3
	v_lshlrev_b32_e32 v17, 29, v0
	v_and_b32_e32 v2, v2, v3
	v_cmp_gt_i64_e64 s[24:25], 0, v[16:17]
	v_not_b32_e32 v3, v17
	v_and_b32_e32 v1, exec_hi, v1
	v_ashrrev_i32_e32 v3, 31, v3
	v_and_b32_e32 v1, v1, v8
	v_xor_b32_e32 v8, s25, v3
	v_xor_b32_e32 v3, s24, v3
	v_lshlrev_b32_e32 v17, 28, v0
	v_and_b32_e32 v2, v2, v3
	v_cmp_gt_i64_e64 s[24:25], 0, v[16:17]
	v_not_b32_e32 v3, v17
	v_ashrrev_i32_e32 v3, 31, v3
	v_and_b32_e32 v1, v1, v8
	v_xor_b32_e32 v8, s25, v3
	v_xor_b32_e32 v3, s24, v3
	v_lshlrev_b32_e32 v17, 27, v0
	v_and_b32_e32 v2, v2, v3
	v_cmp_gt_i64_e64 s[24:25], 0, v[16:17]
	v_not_b32_e32 v3, v17
	v_ashrrev_i32_e32 v3, 31, v3
	v_and_b32_e32 v1, v1, v8
	v_xor_b32_e32 v8, s25, v3
	v_xor_b32_e32 v3, s24, v3
	v_lshlrev_b32_e32 v17, 26, v0
	v_and_b32_e32 v2, v2, v3
	v_cmp_gt_i64_e64 s[24:25], 0, v[16:17]
	v_not_b32_e32 v3, v17
	v_ashrrev_i32_e32 v3, 31, v3
	v_and_b32_e32 v1, v1, v8
	v_xor_b32_e32 v8, s25, v3
	v_xor_b32_e32 v3, s24, v3
	v_lshlrev_b32_e32 v17, 25, v0
	v_and_b32_e32 v2, v2, v3
	v_cmp_gt_i64_e64 s[24:25], 0, v[16:17]
	v_not_b32_e32 v3, v17
	v_ashrrev_i32_e32 v3, 31, v3
	v_lshlrev_b32_e32 v17, 24, v0
	v_lshl_add_u32 v7, v0, 2, v42
	v_and_b32_e32 v1, v1, v8
	v_xor_b32_e32 v8, s25, v3
	v_xor_b32_e32 v3, s24, v3
	v_cmp_gt_i64_e64 s[24:25], 0, v[16:17]
	v_not_b32_e32 v0, v17
	v_ashrrev_i32_e32 v0, 31, v0
	v_and_b32_e32 v2, v2, v3
	v_xor_b32_e32 v3, s25, v0
	v_xor_b32_e32 v0, s24, v0
	; wave barrier
	ds_read_b32 v6, v7 offset:4
	v_and_b32_e32 v1, v1, v8
	v_and_b32_e32 v0, v2, v0
	;; [unrolled: 1-line block ×3, first 2 shown]
	v_mbcnt_lo_u32_b32 v2, v0, 0
	v_mbcnt_hi_u32_b32 v8, v1, v2
	v_cmp_ne_u64_e64 s[24:25], 0, v[0:1]
	v_cmp_eq_u32_e64 s[26:27], 0, v8
	s_and_b64 s[26:27], s[26:27], s[24:25]
	; wave barrier
	s_and_saveexec_b64 s[24:25], s[26:27]
	s_cbranch_execz .LBB341_8
; %bb.7:                                ;   in Loop: Header=BB341_4 Depth=2
	v_bcnt_u32_b32 v0, v0, 0
	v_bcnt_u32_b32 v0, v1, v0
	s_waitcnt lgkmcnt(0)
	v_add_u32_e32 v0, v6, v0
	ds_write_b32 v7, v0 offset:4
.LBB341_8:                              ;   in Loop: Header=BB341_4 Depth=2
	s_or_b64 exec, exec, s[24:25]
	v_lshrrev_b32_e32 v1, s41, v28
	v_lshrrev_b32_e32 v0, s38, v29
	v_and_b32_e32 v1, s42, v1
	v_and_b32_e32 v0, s40, v0
	v_lshlrev_b32_e32 v1, s39, v1
	v_cndmask_b32_e64 v0, 0, v0, s[22:23]
	v_cndmask_b32_e32 v1, 0, v1, vcc
	v_or_b32_e32 v0, v0, v1
	v_and_b32_e32 v1, 1, v0
	v_add_co_u32_e64 v2, s[24:25], -1, v1
	v_addc_co_u32_e64 v3, s[24:25], 0, -1, s[24:25]
	v_cmp_ne_u32_e64 s[24:25], 0, v1
	v_lshlrev_b32_e32 v17, 30, v0
	v_xor_b32_e32 v1, s25, v3
	v_xor_b32_e32 v2, s24, v2
	v_cmp_gt_i64_e64 s[24:25], 0, v[16:17]
	v_not_b32_e32 v3, v17
	v_ashrrev_i32_e32 v3, 31, v3
	v_and_b32_e32 v2, exec_lo, v2
	v_xor_b32_e32 v11, s25, v3
	v_xor_b32_e32 v3, s24, v3
	v_lshlrev_b32_e32 v17, 29, v0
	v_and_b32_e32 v2, v2, v3
	v_cmp_gt_i64_e64 s[24:25], 0, v[16:17]
	v_not_b32_e32 v3, v17
	v_and_b32_e32 v1, exec_hi, v1
	v_ashrrev_i32_e32 v3, 31, v3
	v_and_b32_e32 v1, v1, v11
	v_xor_b32_e32 v11, s25, v3
	v_xor_b32_e32 v3, s24, v3
	v_lshlrev_b32_e32 v17, 28, v0
	v_and_b32_e32 v2, v2, v3
	v_cmp_gt_i64_e64 s[24:25], 0, v[16:17]
	v_not_b32_e32 v3, v17
	v_ashrrev_i32_e32 v3, 31, v3
	v_and_b32_e32 v1, v1, v11
	v_xor_b32_e32 v11, s25, v3
	v_xor_b32_e32 v3, s24, v3
	v_lshlrev_b32_e32 v17, 27, v0
	v_and_b32_e32 v2, v2, v3
	v_cmp_gt_i64_e64 s[24:25], 0, v[16:17]
	v_not_b32_e32 v3, v17
	;; [unrolled: 8-line block ×4, first 2 shown]
	v_ashrrev_i32_e32 v3, 31, v3
	v_lshlrev_b32_e32 v17, 24, v0
	v_lshl_add_u32 v10, v0, 2, v42
	v_and_b32_e32 v1, v1, v11
	v_xor_b32_e32 v11, s25, v3
	v_xor_b32_e32 v3, s24, v3
	v_cmp_gt_i64_e64 s[24:25], 0, v[16:17]
	v_not_b32_e32 v0, v17
	v_ashrrev_i32_e32 v0, 31, v0
	v_and_b32_e32 v2, v2, v3
	v_xor_b32_e32 v3, s25, v0
	v_xor_b32_e32 v0, s24, v0
	; wave barrier
	ds_read_b32 v9, v10 offset:4
	v_and_b32_e32 v1, v1, v11
	v_and_b32_e32 v0, v2, v0
	;; [unrolled: 1-line block ×3, first 2 shown]
	v_mbcnt_lo_u32_b32 v2, v0, 0
	v_mbcnt_hi_u32_b32 v11, v1, v2
	v_cmp_ne_u64_e64 s[24:25], 0, v[0:1]
	v_cmp_eq_u32_e64 s[26:27], 0, v11
	s_and_b64 s[26:27], s[26:27], s[24:25]
	; wave barrier
	s_and_saveexec_b64 s[24:25], s[26:27]
	s_cbranch_execz .LBB341_10
; %bb.9:                                ;   in Loop: Header=BB341_4 Depth=2
	v_bcnt_u32_b32 v0, v0, 0
	v_bcnt_u32_b32 v0, v1, v0
	s_waitcnt lgkmcnt(0)
	v_add_u32_e32 v0, v9, v0
	ds_write_b32 v10, v0 offset:4
.LBB341_10:                             ;   in Loop: Header=BB341_4 Depth=2
	s_or_b64 exec, exec, s[24:25]
	v_lshrrev_b32_e32 v1, s41, v26
	v_lshrrev_b32_e32 v0, s38, v27
	v_and_b32_e32 v1, s42, v1
	v_and_b32_e32 v0, s40, v0
	v_lshlrev_b32_e32 v1, s39, v1
	v_cndmask_b32_e64 v0, 0, v0, s[22:23]
	v_cndmask_b32_e32 v1, 0, v1, vcc
	v_or_b32_e32 v0, v0, v1
	v_and_b32_e32 v1, 1, v0
	v_add_co_u32_e32 v2, vcc, -1, v1
	v_addc_co_u32_e64 v3, s[22:23], 0, -1, vcc
	v_cmp_ne_u32_e32 vcc, 0, v1
	v_lshlrev_b32_e32 v17, 30, v0
	v_xor_b32_e32 v1, vcc_hi, v3
	v_xor_b32_e32 v2, vcc_lo, v2
	v_cmp_gt_i64_e32 vcc, 0, v[16:17]
	v_not_b32_e32 v3, v17
	v_ashrrev_i32_e32 v3, 31, v3
	v_and_b32_e32 v2, exec_lo, v2
	v_xor_b32_e32 v14, vcc_hi, v3
	v_xor_b32_e32 v3, vcc_lo, v3
	v_lshlrev_b32_e32 v17, 29, v0
	v_and_b32_e32 v2, v2, v3
	v_cmp_gt_i64_e32 vcc, 0, v[16:17]
	v_not_b32_e32 v3, v17
	v_and_b32_e32 v1, exec_hi, v1
	v_ashrrev_i32_e32 v3, 31, v3
	v_and_b32_e32 v1, v1, v14
	v_xor_b32_e32 v14, vcc_hi, v3
	v_xor_b32_e32 v3, vcc_lo, v3
	v_lshlrev_b32_e32 v17, 28, v0
	v_and_b32_e32 v2, v2, v3
	v_cmp_gt_i64_e32 vcc, 0, v[16:17]
	v_not_b32_e32 v3, v17
	v_ashrrev_i32_e32 v3, 31, v3
	v_and_b32_e32 v1, v1, v14
	v_xor_b32_e32 v14, vcc_hi, v3
	v_xor_b32_e32 v3, vcc_lo, v3
	v_lshlrev_b32_e32 v17, 27, v0
	v_and_b32_e32 v2, v2, v3
	v_cmp_gt_i64_e32 vcc, 0, v[16:17]
	v_not_b32_e32 v3, v17
	;; [unrolled: 8-line block ×4, first 2 shown]
	v_ashrrev_i32_e32 v3, 31, v3
	v_lshlrev_b32_e32 v17, 24, v0
	v_lshl_add_u32 v13, v0, 2, v42
	v_and_b32_e32 v1, v1, v14
	v_xor_b32_e32 v14, vcc_hi, v3
	v_xor_b32_e32 v3, vcc_lo, v3
	v_cmp_gt_i64_e32 vcc, 0, v[16:17]
	v_not_b32_e32 v0, v17
	v_ashrrev_i32_e32 v0, 31, v0
	v_and_b32_e32 v2, v2, v3
	v_xor_b32_e32 v3, vcc_hi, v0
	v_xor_b32_e32 v0, vcc_lo, v0
	; wave barrier
	ds_read_b32 v12, v13 offset:4
	v_and_b32_e32 v1, v1, v14
	v_and_b32_e32 v0, v2, v0
	;; [unrolled: 1-line block ×3, first 2 shown]
	v_mbcnt_lo_u32_b32 v2, v0, 0
	v_mbcnt_hi_u32_b32 v14, v1, v2
	v_cmp_ne_u64_e32 vcc, 0, v[0:1]
	v_cmp_eq_u32_e64 s[22:23], 0, v14
	s_and_b64 s[24:25], s[22:23], vcc
	; wave barrier
	s_and_saveexec_b64 s[22:23], s[24:25]
	s_cbranch_execz .LBB341_12
; %bb.11:                               ;   in Loop: Header=BB341_4 Depth=2
	v_bcnt_u32_b32 v0, v0, 0
	v_bcnt_u32_b32 v0, v1, v0
	s_waitcnt lgkmcnt(0)
	v_add_u32_e32 v0, v12, v0
	ds_write_b32 v13, v0 offset:4
.LBB341_12:                             ;   in Loop: Header=BB341_4 Depth=2
	s_or_b64 exec, exec, s[22:23]
	; wave barrier
	s_waitcnt lgkmcnt(0)
	; wave barrier
	ds_read2_b32 v[2:3], v35 offset0:1 offset1:2
	ds_read2_b32 v[0:1], v35 offset0:3 offset1:4
	s_waitcnt lgkmcnt(1)
	v_add_u32_e32 v15, v3, v2
	s_waitcnt lgkmcnt(0)
	v_add3_u32 v1, v15, v0, v1
	s_nop 1
	v_mov_b32_dpp v15, v1 row_shr:1 row_mask:0xf bank_mask:0xf
	v_cndmask_b32_e64 v15, v15, 0, s[12:13]
	v_add_u32_e32 v1, v15, v1
	s_nop 1
	v_mov_b32_dpp v15, v1 row_shr:2 row_mask:0xf bank_mask:0xf
	v_cndmask_b32_e64 v15, 0, v15, s[14:15]
	v_add_u32_e32 v1, v1, v15
	;; [unrolled: 4-line block ×4, first 2 shown]
	s_nop 1
	v_mov_b32_dpp v15, v1 row_bcast:15 row_mask:0xf bank_mask:0xf
	v_cndmask_b32_e64 v15, v15, 0, s[20:21]
	v_add_u32_e32 v1, v1, v15
	s_nop 1
	v_mov_b32_dpp v15, v1 row_bcast:31 row_mask:0xf bank_mask:0xf
	v_cndmask_b32_e64 v15, 0, v15, s[2:3]
	v_add_u32_e32 v1, v1, v15
	s_and_saveexec_b64 s[22:23], s[0:1]
; %bb.13:                               ;   in Loop: Header=BB341_4 Depth=2
	ds_write_b32 v16, v1
; %bb.14:                               ;   in Loop: Header=BB341_4 Depth=2
	s_or_b64 exec, exec, s[22:23]
	ds_bpermute_b32 v1, v38, v1
	s_waitcnt lgkmcnt(0)
	; wave barrier
	s_cmp_gt_u32 s38, 55
	s_mov_b64 s[22:23], -1
	v_cndmask_b32_e64 v1, v1, 0, s[28:29]
	v_add_u32_e32 v2, v1, v2
	v_add_u32_e32 v3, v2, v3
	;; [unrolled: 1-line block ×3, first 2 shown]
	ds_write2_b32 v35, v1, v2 offset0:1 offset1:2
	ds_write2_b32 v35, v3, v0 offset0:3 offset1:4
	s_waitcnt lgkmcnt(0)
	; wave barrier
	ds_read_b32 v0, v4 offset:4
	ds_read_b32 v1, v7 offset:4
	;; [unrolled: 1-line block ×4, first 2 shown]
	v_lshlrev_b32_e32 v4, 3, v5
	s_waitcnt lgkmcnt(3)
	v_lshl_add_u32 v17, v0, 3, v4
	v_lshlrev_b32_e32 v0, 3, v8
	v_lshlrev_b32_e32 v4, 3, v6
	s_waitcnt lgkmcnt(2)
	v_lshlrev_b32_e32 v1, 3, v1
	v_add3_u32 v44, v0, v4, v1
	v_lshlrev_b32_e32 v0, 3, v11
	v_lshlrev_b32_e32 v1, 3, v9
	s_waitcnt lgkmcnt(1)
	v_lshlrev_b32_e32 v2, 3, v2
	v_add3_u32 v45, v0, v1, v2
	;; [unrolled: 5-line block ×3, first 2 shown]
                                        ; implicit-def: $vgpr8_vgpr9
                                        ; implicit-def: $vgpr12_vgpr13
                                        ; implicit-def: $vgpr0_vgpr1
                                        ; implicit-def: $vgpr4_vgpr5
	s_cbranch_scc1 .LBB341_3
; %bb.15:                               ;   in Loop: Header=BB341_4 Depth=2
	; wave barrier
	ds_write_b64 v17, v[32:33]
	ds_write_b64 v44, v[30:31]
	;; [unrolled: 1-line block ×4, first 2 shown]
	s_waitcnt lgkmcnt(0)
	; wave barrier
	ds_read2st64_b64 v[0:3], v36 offset1:1
	ds_read2st64_b64 v[4:7], v36 offset0:2 offset1:3
	s_waitcnt lgkmcnt(0)
	; wave barrier
	ds_write_b64 v17, v[24:25]
	ds_write_b64 v44, v[22:23]
	;; [unrolled: 1-line block ×4, first 2 shown]
	s_waitcnt lgkmcnt(0)
	; wave barrier
	ds_read2st64_b64 v[8:11], v36 offset1:1
	ds_read2st64_b64 v[12:15], v36 offset0:2 offset1:3
	s_add_i32 s36, s36, -8
	s_add_i32 s33, s33, 8
	s_add_i32 s38, s38, 8
	s_mov_b64 s[22:23], 0
	s_waitcnt lgkmcnt(0)
	; wave barrier
	s_branch .LBB341_3
.LBB341_16:
	s_add_u32 s0, s30, s34
	s_waitcnt lgkmcnt(1)
	v_add_u32_e32 v4, v8, v4
	v_add_u32_e32 v5, v9, v5
	s_addc_u32 s1, s31, s35
	v_add_u32_e32 v6, v10, v6
	v_add_u32_e32 v7, v11, v7
	s_waitcnt lgkmcnt(0)
	v_add_u32_e32 v0, v12, v0
	v_add_u32_e32 v1, v13, v1
	;; [unrolled: 1-line block ×4, first 2 shown]
	global_store_dwordx2 v34, v[4:5], s[0:1]
	global_store_dwordx2 v34, v[6:7], s[0:1] offset:512
	global_store_dwordx2 v34, v[0:1], s[0:1] offset:1024
	;; [unrolled: 1-line block ×3, first 2 shown]
	s_endpgm
	.section	.rodata,"a",@progbits
	.p2align	6, 0x0
	.amdhsa_kernel _Z17sort_pairs_kernelI22helper_blocked_stripedN15benchmark_utils11custom_typeIiiEELj64ELj4ELj10EEvPKT0_PS4_
		.amdhsa_group_segment_fixed_size 2048
		.amdhsa_private_segment_fixed_size 0
		.amdhsa_kernarg_size 272
		.amdhsa_user_sgpr_count 6
		.amdhsa_user_sgpr_private_segment_buffer 1
		.amdhsa_user_sgpr_dispatch_ptr 0
		.amdhsa_user_sgpr_queue_ptr 0
		.amdhsa_user_sgpr_kernarg_segment_ptr 1
		.amdhsa_user_sgpr_dispatch_id 0
		.amdhsa_user_sgpr_flat_scratch_init 0
		.amdhsa_user_sgpr_private_segment_size 0
		.amdhsa_uses_dynamic_stack 0
		.amdhsa_system_sgpr_private_segment_wavefront_offset 0
		.amdhsa_system_sgpr_workgroup_id_x 1
		.amdhsa_system_sgpr_workgroup_id_y 0
		.amdhsa_system_sgpr_workgroup_id_z 0
		.amdhsa_system_sgpr_workgroup_info 0
		.amdhsa_system_vgpr_workitem_id 2
		.amdhsa_next_free_vgpr 61
		.amdhsa_next_free_sgpr 61
		.amdhsa_reserve_vcc 1
		.amdhsa_reserve_flat_scratch 0
		.amdhsa_float_round_mode_32 0
		.amdhsa_float_round_mode_16_64 0
		.amdhsa_float_denorm_mode_32 3
		.amdhsa_float_denorm_mode_16_64 3
		.amdhsa_dx10_clamp 1
		.amdhsa_ieee_mode 1
		.amdhsa_fp16_overflow 0
		.amdhsa_exception_fp_ieee_invalid_op 0
		.amdhsa_exception_fp_denorm_src 0
		.amdhsa_exception_fp_ieee_div_zero 0
		.amdhsa_exception_fp_ieee_overflow 0
		.amdhsa_exception_fp_ieee_underflow 0
		.amdhsa_exception_fp_ieee_inexact 0
		.amdhsa_exception_int_div_zero 0
	.end_amdhsa_kernel
	.section	.text._Z17sort_pairs_kernelI22helper_blocked_stripedN15benchmark_utils11custom_typeIiiEELj64ELj4ELj10EEvPKT0_PS4_,"axG",@progbits,_Z17sort_pairs_kernelI22helper_blocked_stripedN15benchmark_utils11custom_typeIiiEELj64ELj4ELj10EEvPKT0_PS4_,comdat
.Lfunc_end341:
	.size	_Z17sort_pairs_kernelI22helper_blocked_stripedN15benchmark_utils11custom_typeIiiEELj64ELj4ELj10EEvPKT0_PS4_, .Lfunc_end341-_Z17sort_pairs_kernelI22helper_blocked_stripedN15benchmark_utils11custom_typeIiiEELj64ELj4ELj10EEvPKT0_PS4_
                                        ; -- End function
	.set _Z17sort_pairs_kernelI22helper_blocked_stripedN15benchmark_utils11custom_typeIiiEELj64ELj4ELj10EEvPKT0_PS4_.num_vgpr, 61
	.set _Z17sort_pairs_kernelI22helper_blocked_stripedN15benchmark_utils11custom_typeIiiEELj64ELj4ELj10EEvPKT0_PS4_.num_agpr, 0
	.set _Z17sort_pairs_kernelI22helper_blocked_stripedN15benchmark_utils11custom_typeIiiEELj64ELj4ELj10EEvPKT0_PS4_.numbered_sgpr, 43
	.set _Z17sort_pairs_kernelI22helper_blocked_stripedN15benchmark_utils11custom_typeIiiEELj64ELj4ELj10EEvPKT0_PS4_.num_named_barrier, 0
	.set _Z17sort_pairs_kernelI22helper_blocked_stripedN15benchmark_utils11custom_typeIiiEELj64ELj4ELj10EEvPKT0_PS4_.private_seg_size, 0
	.set _Z17sort_pairs_kernelI22helper_blocked_stripedN15benchmark_utils11custom_typeIiiEELj64ELj4ELj10EEvPKT0_PS4_.uses_vcc, 1
	.set _Z17sort_pairs_kernelI22helper_blocked_stripedN15benchmark_utils11custom_typeIiiEELj64ELj4ELj10EEvPKT0_PS4_.uses_flat_scratch, 0
	.set _Z17sort_pairs_kernelI22helper_blocked_stripedN15benchmark_utils11custom_typeIiiEELj64ELj4ELj10EEvPKT0_PS4_.has_dyn_sized_stack, 0
	.set _Z17sort_pairs_kernelI22helper_blocked_stripedN15benchmark_utils11custom_typeIiiEELj64ELj4ELj10EEvPKT0_PS4_.has_recursion, 0
	.set _Z17sort_pairs_kernelI22helper_blocked_stripedN15benchmark_utils11custom_typeIiiEELj64ELj4ELj10EEvPKT0_PS4_.has_indirect_call, 0
	.section	.AMDGPU.csdata,"",@progbits
; Kernel info:
; codeLenInByte = 4212
; TotalNumSgprs: 47
; NumVgprs: 61
; ScratchSize: 0
; MemoryBound: 0
; FloatMode: 240
; IeeeMode: 1
; LDSByteSize: 2048 bytes/workgroup (compile time only)
; SGPRBlocks: 8
; VGPRBlocks: 15
; NumSGPRsForWavesPerEU: 65
; NumVGPRsForWavesPerEU: 61
; Occupancy: 4
; WaveLimiterHint : 1
; COMPUTE_PGM_RSRC2:SCRATCH_EN: 0
; COMPUTE_PGM_RSRC2:USER_SGPR: 6
; COMPUTE_PGM_RSRC2:TRAP_HANDLER: 0
; COMPUTE_PGM_RSRC2:TGID_X_EN: 1
; COMPUTE_PGM_RSRC2:TGID_Y_EN: 0
; COMPUTE_PGM_RSRC2:TGID_Z_EN: 0
; COMPUTE_PGM_RSRC2:TIDIG_COMP_CNT: 2
	.section	.text._Z16sort_keys_kernelI22helper_blocked_stripedN15benchmark_utils11custom_typeIiiEELj64ELj8ELj10EEvPKT0_PS4_,"axG",@progbits,_Z16sort_keys_kernelI22helper_blocked_stripedN15benchmark_utils11custom_typeIiiEELj64ELj8ELj10EEvPKT0_PS4_,comdat
	.protected	_Z16sort_keys_kernelI22helper_blocked_stripedN15benchmark_utils11custom_typeIiiEELj64ELj8ELj10EEvPKT0_PS4_ ; -- Begin function _Z16sort_keys_kernelI22helper_blocked_stripedN15benchmark_utils11custom_typeIiiEELj64ELj8ELj10EEvPKT0_PS4_
	.globl	_Z16sort_keys_kernelI22helper_blocked_stripedN15benchmark_utils11custom_typeIiiEELj64ELj8ELj10EEvPKT0_PS4_
	.p2align	8
	.type	_Z16sort_keys_kernelI22helper_blocked_stripedN15benchmark_utils11custom_typeIiiEELj64ELj8ELj10EEvPKT0_PS4_,@function
_Z16sort_keys_kernelI22helper_blocked_stripedN15benchmark_utils11custom_typeIiiEELj64ELj8ELj10EEvPKT0_PS4_: ; @_Z16sort_keys_kernelI22helper_blocked_stripedN15benchmark_utils11custom_typeIiiEELj64ELj8ELj10EEvPKT0_PS4_
; %bb.0:
	s_load_dwordx4 s[20:23], s[4:5], 0x0
	s_load_dword s2, s[4:5], 0x1c
	s_lshl_b32 s24, s6, 9
	s_mov_b32 s25, 0
	s_lshl_b64 s[26:27], s[24:25], 3
	s_waitcnt lgkmcnt(0)
	s_add_u32 s0, s20, s26
	s_addc_u32 s1, s21, s27
	v_lshlrev_b32_e32 v19, 6, v0
	global_load_dwordx4 v[15:18], v19, s[0:1] offset:48
	global_load_dwordx4 v[11:14], v19, s[0:1] offset:32
	;; [unrolled: 1-line block ×3, first 2 shown]
	global_load_dwordx4 v[7:10], v19, s[0:1]
	global_load_dwordx2 v[7:8], v19, s[0:1]
                                        ; kill: killed $vgpr19
	v_mbcnt_lo_u32_b32 v19, -1, 0
                                        ; kill: killed $sgpr0 killed $sgpr1
	v_mbcnt_hi_u32_b32 v19, -1, v19
	s_lshr_b32 s0, s2, 16
	s_and_b32 s1, s2, 0xffff
	v_mad_u32_u24 v1, v2, s0, v1
	v_and_b32_e32 v2, 15, v19
	v_mad_u32_u24 v1, v1, s1, v0
	v_cmp_eq_u32_e64 s[0:1], 0, v2
	v_cmp_lt_u32_e64 s[2:3], 1, v2
	v_cmp_lt_u32_e64 s[4:5], 3, v2
	v_cmp_lt_u32_e64 s[6:7], 7, v2
	v_and_b32_e32 v2, 16, v19
	v_cmp_eq_u32_e64 s[8:9], 0, v2
	v_subrev_co_u32_e32 v2, vcc, 1, v19
	v_and_b32_e32 v20, 64, v19
	v_cmp_lt_i32_e64 s[14:15], v2, v20
	v_lshlrev_b32_e32 v35, 3, v0
	v_lshlrev_b32_e32 v38, 4, v0
	v_cmp_eq_u32_e64 s[12:13], 63, v0
	v_cndmask_b32_e64 v2, v2, v19, s[14:15]
	v_cmp_eq_u32_e64 s[14:15], 0, v0
	v_lshrrev_b32_e32 v0, 4, v1
	v_and_b32_e32 v40, 0xffffffc, v0
	v_sub_u32_e32 v0, 0, v35
	v_lshlrev_b32_e32 v36, 6, v19
	v_lshlrev_b32_e32 v37, 3, v19
	v_cmp_lt_u32_e64 s[10:11], 31, v19
	v_lshlrev_b32_e32 v39, 2, v2
	s_or_b64 s[20:21], s[14:15], vcc
	v_mov_b32_e32 v19, 0
	v_add_u32_e32 v41, v38, v0
	s_branch .LBB342_2
.LBB342_1:                              ;   in Loop: Header=BB342_2 Depth=1
	; wave barrier
	ds_write_b64 v18, v[33:34]
	ds_write_b64 v20, v[31:32]
	;; [unrolled: 1-line block ×8, first 2 shown]
	s_waitcnt lgkmcnt(0)
	; wave barrier
	ds_read2st64_b64 v[0:3], v41 offset1:1
	ds_read2st64_b64 v[11:14], v41 offset0:2 offset1:3
	ds_read2st64_b64 v[15:18], v41 offset0:4 offset1:5
	ds_read2st64_b64 v[20:23], v41 offset0:6 offset1:7
	s_add_i32 s25, s25, 1
	s_waitcnt lgkmcnt(3)
	v_xor_b32_e32 v7, 0x80000000, v0
	v_xor_b32_e32 v8, 0x80000000, v1
	v_xor_b32_e32 v9, 0x80000000, v2
	v_xor_b32_e32 v10, 0x80000000, v3
	s_waitcnt lgkmcnt(2)
	v_xor_b32_e32 v3, 0x80000000, v11
	v_xor_b32_e32 v4, 0x80000000, v12
	v_xor_b32_e32 v5, 0x80000000, v13
	v_xor_b32_e32 v6, 0x80000000, v14
	;; [unrolled: 5-line block ×3, first 2 shown]
	s_waitcnt lgkmcnt(0)
	v_xor_b32_e32 v15, 0x80000000, v20
	v_xor_b32_e32 v16, 0x80000000, v21
	;; [unrolled: 1-line block ×3, first 2 shown]
	s_cmp_eq_u32 s25, 10
	v_xor_b32_e32 v18, 0x80000000, v23
	s_cbranch_scc1 .LBB342_24
.LBB342_2:                              ; =>This Loop Header: Depth=1
                                        ;     Child Loop BB342_4 Depth 2
	s_waitcnt vmcnt(0)
	v_xor_b32_e32 v1, 0x80000000, v8
	v_xor_b32_e32 v0, 0x80000000, v7
	v_xor_b32_e32 v8, 0x80000000, v10
	v_xor_b32_e32 v7, 0x80000000, v9
	v_xor_b32_e32 v4, 0x80000000, v4
	v_xor_b32_e32 v3, 0x80000000, v3
	v_xor_b32_e32 v6, 0x80000000, v6
	v_xor_b32_e32 v5, 0x80000000, v5
	v_xor_b32_e32 v10, 0x80000000, v12
	v_xor_b32_e32 v9, 0x80000000, v11
	v_xor_b32_e32 v12, 0x80000000, v14
	v_xor_b32_e32 v11, 0x80000000, v13
	v_xor_b32_e32 v14, 0x80000000, v16
	v_xor_b32_e32 v13, 0x80000000, v15
	v_xor_b32_e32 v15, 0x80000000, v17
	v_xor_b32_e32 v16, 0x80000000, v18
	ds_write2_b64 v36, v[0:1], v[7:8] offset1:1
	ds_write2_b64 v36, v[3:4], v[5:6] offset0:2 offset1:3
	ds_write2_b64 v36, v[9:10], v[11:12] offset0:4 offset1:5
	;; [unrolled: 1-line block ×3, first 2 shown]
	; wave barrier
	ds_read2st64_b64 v[0:3], v37 offset1:1
	ds_read2st64_b64 v[4:7], v37 offset0:2 offset1:3
	ds_read2st64_b64 v[8:11], v37 offset0:4 offset1:5
	;; [unrolled: 1-line block ×3, first 2 shown]
	s_mov_b32 s24, 8
	s_mov_b32 s28, 32
	;; [unrolled: 1-line block ×3, first 2 shown]
	s_waitcnt lgkmcnt(0)
	; wave barrier
	; wave barrier
	;; [unrolled: 1-line block ×3, first 2 shown]
	s_branch .LBB342_4
.LBB342_3:                              ;   in Loop: Header=BB342_4 Depth=2
	s_andn2_b64 vcc, exec, s[14:15]
	s_cbranch_vccz .LBB342_1
.LBB342_4:                              ;   Parent Loop BB342_2 Depth=1
                                        ; =>  This Inner Loop Header: Depth=2
	s_min_i32 s16, s24, 32
	s_cmp_lt_u32 s29, 32
	s_cselect_b64 s[14:15], -1, 0
	s_cmp_gt_u32 s29, 31
	s_cselect_b64 vcc, -1, 0
	s_sub_i32 s16, s16, 32
	s_add_i32 s17, s16, s28
	s_lshl_b32 s17, -1, s17
	s_not_b32 s17, s17
	s_cmp_lg_u32 s16, s29
	s_cselect_b32 s31, s17, -1
	s_max_i32 s30, s28, 0
	s_max_i32 s16, s29, 32
	s_sub_i32 s33, s16, 32
	s_sub_i32 s16, s16, s30
	;; [unrolled: 1-line block ×3, first 2 shown]
	s_min_i32 s16, s16, 32
	s_sub_i32 s16, s16, s33
	s_lshl_b32 s17, -1, s16
	v_mov_b32_e32 v34, v1
	s_not_b32 s17, s17
	v_mov_b32_e32 v33, v0
	s_cmp_lg_u32 s16, 32
	s_cselect_b32 s34, s17, -1
	v_lshrrev_b32_e32 v1, s33, v33
	v_lshrrev_b32_e32 v0, s29, v34
	v_and_b32_e32 v1, s34, v1
	v_and_b32_e32 v0, s31, v0
	v_lshlrev_b32_e32 v1, s30, v1
	v_cndmask_b32_e64 v0, 0, v0, s[14:15]
	v_cndmask_b32_e32 v1, 0, v1, vcc
	v_or_b32_e32 v0, v0, v1
	v_mov_b32_e32 v32, v3
	v_and_b32_e32 v1, 1, v0
	v_mov_b32_e32 v31, v2
	v_add_co_u32_e64 v2, s[16:17], -1, v1
	v_addc_co_u32_e64 v3, s[16:17], 0, -1, s[16:17]
	v_cmp_ne_u32_e64 s[16:17], 0, v1
	v_lshlrev_b32_e32 v20, 30, v0
	v_xor_b32_e32 v1, s17, v3
	v_xor_b32_e32 v2, s16, v2
	v_cmp_gt_i64_e64 s[16:17], 0, v[19:20]
	v_not_b32_e32 v3, v20
	v_mov_b32_e32 v30, v5
	v_ashrrev_i32_e32 v3, 31, v3
	v_mov_b32_e32 v29, v4
	v_and_b32_e32 v2, exec_lo, v2
	v_xor_b32_e32 v5, s17, v3
	v_xor_b32_e32 v3, s16, v3
	v_lshlrev_b32_e32 v20, 29, v0
	v_and_b32_e32 v2, v2, v3
	v_cmp_gt_i64_e64 s[16:17], 0, v[19:20]
	v_not_b32_e32 v3, v20
	v_and_b32_e32 v1, exec_hi, v1
	v_ashrrev_i32_e32 v3, 31, v3
	v_and_b32_e32 v1, v1, v5
	v_xor_b32_e32 v5, s17, v3
	v_xor_b32_e32 v3, s16, v3
	v_lshlrev_b32_e32 v20, 28, v0
	v_and_b32_e32 v2, v2, v3
	v_cmp_gt_i64_e64 s[16:17], 0, v[19:20]
	v_not_b32_e32 v3, v20
	v_ashrrev_i32_e32 v3, 31, v3
	v_and_b32_e32 v1, v1, v5
	v_xor_b32_e32 v5, s17, v3
	v_xor_b32_e32 v3, s16, v3
	v_lshlrev_b32_e32 v20, 27, v0
	v_and_b32_e32 v2, v2, v3
	v_cmp_gt_i64_e64 s[16:17], 0, v[19:20]
	v_not_b32_e32 v3, v20
	;; [unrolled: 8-line block ×4, first 2 shown]
	v_ashrrev_i32_e32 v3, 31, v3
	v_lshlrev_b32_e32 v20, 24, v0
	v_lshl_add_u32 v4, v0, 2, v40
	v_and_b32_e32 v1, v1, v5
	v_xor_b32_e32 v5, s17, v3
	v_xor_b32_e32 v3, s16, v3
	v_cmp_gt_i64_e64 s[16:17], 0, v[19:20]
	v_not_b32_e32 v0, v20
	v_ashrrev_i32_e32 v0, 31, v0
	v_and_b32_e32 v2, v2, v3
	v_xor_b32_e32 v3, s17, v0
	v_xor_b32_e32 v0, s16, v0
	v_and_b32_e32 v1, v1, v5
	v_and_b32_e32 v0, v2, v0
	;; [unrolled: 1-line block ×3, first 2 shown]
	v_mbcnt_lo_u32_b32 v2, v0, 0
	v_mbcnt_hi_u32_b32 v5, v1, v2
	v_cmp_ne_u64_e64 s[16:17], 0, v[0:1]
	v_mov_b32_e32 v28, v7
	v_mov_b32_e32 v26, v9
	;; [unrolled: 1-line block ×5, first 2 shown]
	v_cmp_eq_u32_e64 s[18:19], 0, v5
	v_mov_b32_e32 v27, v6
	v_mov_b32_e32 v25, v8
	v_mov_b32_e32 v23, v10
	v_mov_b32_e32 v21, v12
	v_mov_b32_e32 v16, v14
	s_and_b64 s[18:19], s[18:19], s[16:17]
	ds_write2_b32 v38, v19, v19 offset0:1 offset1:2
	ds_write2_b32 v38, v19, v19 offset0:3 offset1:4
	s_waitcnt lgkmcnt(0)
	; wave barrier
	; wave barrier
	s_and_saveexec_b64 s[16:17], s[18:19]
; %bb.5:                                ;   in Loop: Header=BB342_4 Depth=2
	v_bcnt_u32_b32 v0, v0, 0
	v_bcnt_u32_b32 v0, v1, v0
	ds_write_b32 v4, v0 offset:4
; %bb.6:                                ;   in Loop: Header=BB342_4 Depth=2
	s_or_b64 exec, exec, s[16:17]
	v_lshrrev_b32_e32 v1, s33, v31
	v_lshrrev_b32_e32 v0, s29, v32
	v_and_b32_e32 v1, s34, v1
	v_and_b32_e32 v0, s31, v0
	v_lshlrev_b32_e32 v1, s30, v1
	v_cndmask_b32_e64 v0, 0, v0, s[14:15]
	v_cndmask_b32_e32 v1, 0, v1, vcc
	v_or_b32_e32 v0, v0, v1
	v_and_b32_e32 v1, 1, v0
	v_add_co_u32_e64 v2, s[16:17], -1, v1
	v_addc_co_u32_e64 v3, s[16:17], 0, -1, s[16:17]
	v_cmp_ne_u32_e64 s[16:17], 0, v1
	v_lshlrev_b32_e32 v20, 30, v0
	v_xor_b32_e32 v1, s17, v3
	v_xor_b32_e32 v2, s16, v2
	v_cmp_gt_i64_e64 s[16:17], 0, v[19:20]
	v_not_b32_e32 v3, v20
	v_ashrrev_i32_e32 v3, 31, v3
	v_and_b32_e32 v2, exec_lo, v2
	v_xor_b32_e32 v8, s17, v3
	v_xor_b32_e32 v3, s16, v3
	v_lshlrev_b32_e32 v20, 29, v0
	v_and_b32_e32 v2, v2, v3
	v_cmp_gt_i64_e64 s[16:17], 0, v[19:20]
	v_not_b32_e32 v3, v20
	v_and_b32_e32 v1, exec_hi, v1
	v_ashrrev_i32_e32 v3, 31, v3
	v_and_b32_e32 v1, v1, v8
	v_xor_b32_e32 v8, s17, v3
	v_xor_b32_e32 v3, s16, v3
	v_lshlrev_b32_e32 v20, 28, v0
	v_and_b32_e32 v2, v2, v3
	v_cmp_gt_i64_e64 s[16:17], 0, v[19:20]
	v_not_b32_e32 v3, v20
	v_ashrrev_i32_e32 v3, 31, v3
	v_and_b32_e32 v1, v1, v8
	v_xor_b32_e32 v8, s17, v3
	v_xor_b32_e32 v3, s16, v3
	v_lshlrev_b32_e32 v20, 27, v0
	v_and_b32_e32 v2, v2, v3
	v_cmp_gt_i64_e64 s[16:17], 0, v[19:20]
	v_not_b32_e32 v3, v20
	;; [unrolled: 8-line block ×4, first 2 shown]
	v_ashrrev_i32_e32 v3, 31, v3
	v_lshlrev_b32_e32 v20, 24, v0
	v_lshl_add_u32 v7, v0, 2, v40
	v_and_b32_e32 v1, v1, v8
	v_xor_b32_e32 v8, s17, v3
	v_xor_b32_e32 v3, s16, v3
	v_cmp_gt_i64_e64 s[16:17], 0, v[19:20]
	v_not_b32_e32 v0, v20
	v_ashrrev_i32_e32 v0, 31, v0
	v_and_b32_e32 v2, v2, v3
	v_xor_b32_e32 v3, s17, v0
	v_xor_b32_e32 v0, s16, v0
	; wave barrier
	ds_read_b32 v6, v7 offset:4
	v_and_b32_e32 v1, v1, v8
	v_and_b32_e32 v0, v2, v0
	;; [unrolled: 1-line block ×3, first 2 shown]
	v_mbcnt_lo_u32_b32 v2, v0, 0
	v_mbcnt_hi_u32_b32 v8, v1, v2
	v_cmp_ne_u64_e64 s[16:17], 0, v[0:1]
	v_cmp_eq_u32_e64 s[18:19], 0, v8
	s_and_b64 s[18:19], s[18:19], s[16:17]
	; wave barrier
	s_and_saveexec_b64 s[16:17], s[18:19]
	s_cbranch_execz .LBB342_8
; %bb.7:                                ;   in Loop: Header=BB342_4 Depth=2
	v_bcnt_u32_b32 v0, v0, 0
	v_bcnt_u32_b32 v0, v1, v0
	s_waitcnt lgkmcnt(0)
	v_add_u32_e32 v0, v6, v0
	ds_write_b32 v7, v0 offset:4
.LBB342_8:                              ;   in Loop: Header=BB342_4 Depth=2
	s_or_b64 exec, exec, s[16:17]
	v_lshrrev_b32_e32 v1, s33, v29
	v_lshrrev_b32_e32 v0, s29, v30
	v_and_b32_e32 v1, s34, v1
	v_and_b32_e32 v0, s31, v0
	v_lshlrev_b32_e32 v1, s30, v1
	v_cndmask_b32_e64 v0, 0, v0, s[14:15]
	v_cndmask_b32_e32 v1, 0, v1, vcc
	v_or_b32_e32 v0, v0, v1
	v_and_b32_e32 v1, 1, v0
	v_add_co_u32_e64 v2, s[16:17], -1, v1
	v_addc_co_u32_e64 v3, s[16:17], 0, -1, s[16:17]
	v_cmp_ne_u32_e64 s[16:17], 0, v1
	v_lshlrev_b32_e32 v20, 30, v0
	v_xor_b32_e32 v1, s17, v3
	v_xor_b32_e32 v2, s16, v2
	v_cmp_gt_i64_e64 s[16:17], 0, v[19:20]
	v_not_b32_e32 v3, v20
	v_ashrrev_i32_e32 v3, 31, v3
	v_and_b32_e32 v2, exec_lo, v2
	v_xor_b32_e32 v11, s17, v3
	v_xor_b32_e32 v3, s16, v3
	v_lshlrev_b32_e32 v20, 29, v0
	v_and_b32_e32 v2, v2, v3
	v_cmp_gt_i64_e64 s[16:17], 0, v[19:20]
	v_not_b32_e32 v3, v20
	v_and_b32_e32 v1, exec_hi, v1
	v_ashrrev_i32_e32 v3, 31, v3
	v_and_b32_e32 v1, v1, v11
	v_xor_b32_e32 v11, s17, v3
	v_xor_b32_e32 v3, s16, v3
	v_lshlrev_b32_e32 v20, 28, v0
	v_and_b32_e32 v2, v2, v3
	v_cmp_gt_i64_e64 s[16:17], 0, v[19:20]
	v_not_b32_e32 v3, v20
	v_ashrrev_i32_e32 v3, 31, v3
	v_and_b32_e32 v1, v1, v11
	v_xor_b32_e32 v11, s17, v3
	v_xor_b32_e32 v3, s16, v3
	v_lshlrev_b32_e32 v20, 27, v0
	v_and_b32_e32 v2, v2, v3
	v_cmp_gt_i64_e64 s[16:17], 0, v[19:20]
	v_not_b32_e32 v3, v20
	;; [unrolled: 8-line block ×4, first 2 shown]
	v_ashrrev_i32_e32 v3, 31, v3
	v_lshlrev_b32_e32 v20, 24, v0
	v_lshl_add_u32 v10, v0, 2, v40
	v_and_b32_e32 v1, v1, v11
	v_xor_b32_e32 v11, s17, v3
	v_xor_b32_e32 v3, s16, v3
	v_cmp_gt_i64_e64 s[16:17], 0, v[19:20]
	v_not_b32_e32 v0, v20
	v_ashrrev_i32_e32 v0, 31, v0
	v_and_b32_e32 v2, v2, v3
	v_xor_b32_e32 v3, s17, v0
	v_xor_b32_e32 v0, s16, v0
	; wave barrier
	ds_read_b32 v9, v10 offset:4
	v_and_b32_e32 v1, v1, v11
	v_and_b32_e32 v0, v2, v0
	v_and_b32_e32 v1, v1, v3
	v_mbcnt_lo_u32_b32 v2, v0, 0
	v_mbcnt_hi_u32_b32 v11, v1, v2
	v_cmp_ne_u64_e64 s[16:17], 0, v[0:1]
	v_cmp_eq_u32_e64 s[18:19], 0, v11
	s_and_b64 s[18:19], s[18:19], s[16:17]
	; wave barrier
	s_and_saveexec_b64 s[16:17], s[18:19]
	s_cbranch_execz .LBB342_10
; %bb.9:                                ;   in Loop: Header=BB342_4 Depth=2
	v_bcnt_u32_b32 v0, v0, 0
	v_bcnt_u32_b32 v0, v1, v0
	s_waitcnt lgkmcnt(0)
	v_add_u32_e32 v0, v9, v0
	ds_write_b32 v10, v0 offset:4
.LBB342_10:                             ;   in Loop: Header=BB342_4 Depth=2
	s_or_b64 exec, exec, s[16:17]
	v_lshrrev_b32_e32 v1, s33, v27
	v_lshrrev_b32_e32 v0, s29, v28
	v_and_b32_e32 v1, s34, v1
	v_and_b32_e32 v0, s31, v0
	v_lshlrev_b32_e32 v1, s30, v1
	v_cndmask_b32_e64 v0, 0, v0, s[14:15]
	v_cndmask_b32_e32 v1, 0, v1, vcc
	v_or_b32_e32 v0, v0, v1
	v_and_b32_e32 v1, 1, v0
	v_add_co_u32_e64 v2, s[16:17], -1, v1
	v_addc_co_u32_e64 v3, s[16:17], 0, -1, s[16:17]
	v_cmp_ne_u32_e64 s[16:17], 0, v1
	v_lshlrev_b32_e32 v20, 30, v0
	v_xor_b32_e32 v1, s17, v3
	v_xor_b32_e32 v2, s16, v2
	v_cmp_gt_i64_e64 s[16:17], 0, v[19:20]
	v_not_b32_e32 v3, v20
	v_ashrrev_i32_e32 v3, 31, v3
	v_and_b32_e32 v2, exec_lo, v2
	v_xor_b32_e32 v14, s17, v3
	v_xor_b32_e32 v3, s16, v3
	v_lshlrev_b32_e32 v20, 29, v0
	v_and_b32_e32 v2, v2, v3
	v_cmp_gt_i64_e64 s[16:17], 0, v[19:20]
	v_not_b32_e32 v3, v20
	v_and_b32_e32 v1, exec_hi, v1
	v_ashrrev_i32_e32 v3, 31, v3
	v_and_b32_e32 v1, v1, v14
	v_xor_b32_e32 v14, s17, v3
	v_xor_b32_e32 v3, s16, v3
	v_lshlrev_b32_e32 v20, 28, v0
	v_and_b32_e32 v2, v2, v3
	v_cmp_gt_i64_e64 s[16:17], 0, v[19:20]
	v_not_b32_e32 v3, v20
	v_ashrrev_i32_e32 v3, 31, v3
	v_and_b32_e32 v1, v1, v14
	v_xor_b32_e32 v14, s17, v3
	v_xor_b32_e32 v3, s16, v3
	v_lshlrev_b32_e32 v20, 27, v0
	v_and_b32_e32 v2, v2, v3
	v_cmp_gt_i64_e64 s[16:17], 0, v[19:20]
	v_not_b32_e32 v3, v20
	;; [unrolled: 8-line block ×4, first 2 shown]
	v_ashrrev_i32_e32 v3, 31, v3
	v_lshlrev_b32_e32 v20, 24, v0
	v_lshl_add_u32 v13, v0, 2, v40
	v_and_b32_e32 v1, v1, v14
	v_xor_b32_e32 v14, s17, v3
	v_xor_b32_e32 v3, s16, v3
	v_cmp_gt_i64_e64 s[16:17], 0, v[19:20]
	v_not_b32_e32 v0, v20
	v_ashrrev_i32_e32 v0, 31, v0
	v_and_b32_e32 v2, v2, v3
	v_xor_b32_e32 v3, s17, v0
	v_xor_b32_e32 v0, s16, v0
	; wave barrier
	ds_read_b32 v12, v13 offset:4
	v_and_b32_e32 v1, v1, v14
	v_and_b32_e32 v0, v2, v0
	;; [unrolled: 1-line block ×3, first 2 shown]
	v_mbcnt_lo_u32_b32 v2, v0, 0
	v_mbcnt_hi_u32_b32 v14, v1, v2
	v_cmp_ne_u64_e64 s[16:17], 0, v[0:1]
	v_cmp_eq_u32_e64 s[18:19], 0, v14
	s_and_b64 s[18:19], s[18:19], s[16:17]
	; wave barrier
	s_and_saveexec_b64 s[16:17], s[18:19]
	s_cbranch_execz .LBB342_12
; %bb.11:                               ;   in Loop: Header=BB342_4 Depth=2
	v_bcnt_u32_b32 v0, v0, 0
	v_bcnt_u32_b32 v0, v1, v0
	s_waitcnt lgkmcnt(0)
	v_add_u32_e32 v0, v12, v0
	ds_write_b32 v13, v0 offset:4
.LBB342_12:                             ;   in Loop: Header=BB342_4 Depth=2
	s_or_b64 exec, exec, s[16:17]
	v_lshrrev_b32_e32 v1, s33, v25
	v_lshrrev_b32_e32 v0, s29, v26
	v_and_b32_e32 v1, s34, v1
	v_and_b32_e32 v0, s31, v0
	v_lshlrev_b32_e32 v1, s30, v1
	v_cndmask_b32_e64 v0, 0, v0, s[14:15]
	v_cndmask_b32_e32 v1, 0, v1, vcc
	v_or_b32_e32 v0, v0, v1
	v_and_b32_e32 v1, 1, v0
	v_add_co_u32_e64 v2, s[16:17], -1, v1
	v_addc_co_u32_e64 v3, s[16:17], 0, -1, s[16:17]
	v_cmp_ne_u32_e64 s[16:17], 0, v1
	v_lshlrev_b32_e32 v20, 30, v0
	v_xor_b32_e32 v1, s17, v3
	v_xor_b32_e32 v2, s16, v2
	v_cmp_gt_i64_e64 s[16:17], 0, v[19:20]
	v_not_b32_e32 v3, v20
	v_ashrrev_i32_e32 v3, 31, v3
	v_and_b32_e32 v1, exec_hi, v1
	v_xor_b32_e32 v20, s17, v3
	v_and_b32_e32 v2, exec_lo, v2
	v_xor_b32_e32 v3, s16, v3
	v_and_b32_e32 v1, v1, v20
	v_lshlrev_b32_e32 v20, 29, v0
	v_and_b32_e32 v2, v2, v3
	v_cmp_gt_i64_e64 s[16:17], 0, v[19:20]
	v_not_b32_e32 v3, v20
	v_ashrrev_i32_e32 v3, 31, v3
	v_xor_b32_e32 v20, s17, v3
	v_xor_b32_e32 v3, s16, v3
	v_and_b32_e32 v1, v1, v20
	v_lshlrev_b32_e32 v20, 28, v0
	v_and_b32_e32 v2, v2, v3
	v_cmp_gt_i64_e64 s[16:17], 0, v[19:20]
	v_not_b32_e32 v3, v20
	v_ashrrev_i32_e32 v3, 31, v3
	v_xor_b32_e32 v20, s17, v3
	;; [unrolled: 8-line block ×5, first 2 shown]
	v_and_b32_e32 v1, v1, v20
	v_lshlrev_b32_e32 v20, 24, v0
	v_lshl_add_u32 v18, v0, 2, v40
	v_xor_b32_e32 v3, s16, v3
	v_cmp_gt_i64_e64 s[16:17], 0, v[19:20]
	v_not_b32_e32 v0, v20
	v_ashrrev_i32_e32 v0, 31, v0
	v_and_b32_e32 v2, v2, v3
	v_xor_b32_e32 v3, s17, v0
	v_xor_b32_e32 v0, s16, v0
	; wave barrier
	ds_read_b32 v15, v18 offset:4
	v_and_b32_e32 v0, v2, v0
	v_and_b32_e32 v1, v1, v3
	v_mbcnt_lo_u32_b32 v2, v0, 0
	v_mbcnt_hi_u32_b32 v42, v1, v2
	v_cmp_ne_u64_e64 s[16:17], 0, v[0:1]
	v_cmp_eq_u32_e64 s[18:19], 0, v42
	s_and_b64 s[18:19], s[18:19], s[16:17]
	; wave barrier
	s_and_saveexec_b64 s[16:17], s[18:19]
	s_cbranch_execz .LBB342_14
; %bb.13:                               ;   in Loop: Header=BB342_4 Depth=2
	v_bcnt_u32_b32 v0, v0, 0
	v_bcnt_u32_b32 v0, v1, v0
	s_waitcnt lgkmcnt(0)
	v_add_u32_e32 v0, v15, v0
	ds_write_b32 v18, v0 offset:4
.LBB342_14:                             ;   in Loop: Header=BB342_4 Depth=2
	s_or_b64 exec, exec, s[16:17]
	v_lshrrev_b32_e32 v1, s33, v23
	v_lshrrev_b32_e32 v0, s29, v24
	v_and_b32_e32 v1, s34, v1
	v_and_b32_e32 v0, s31, v0
	v_lshlrev_b32_e32 v1, s30, v1
	v_cndmask_b32_e64 v0, 0, v0, s[14:15]
	v_cndmask_b32_e32 v1, 0, v1, vcc
	v_or_b32_e32 v0, v0, v1
	v_and_b32_e32 v1, 1, v0
	v_add_co_u32_e64 v2, s[16:17], -1, v1
	v_addc_co_u32_e64 v3, s[16:17], 0, -1, s[16:17]
	v_cmp_ne_u32_e64 s[16:17], 0, v1
	v_lshlrev_b32_e32 v20, 30, v0
	v_xor_b32_e32 v1, s17, v3
	v_xor_b32_e32 v2, s16, v2
	v_cmp_gt_i64_e64 s[16:17], 0, v[19:20]
	v_not_b32_e32 v3, v20
	v_ashrrev_i32_e32 v3, 31, v3
	v_and_b32_e32 v1, exec_hi, v1
	v_xor_b32_e32 v20, s17, v3
	v_and_b32_e32 v2, exec_lo, v2
	v_xor_b32_e32 v3, s16, v3
	v_and_b32_e32 v1, v1, v20
	v_lshlrev_b32_e32 v20, 29, v0
	v_and_b32_e32 v2, v2, v3
	v_cmp_gt_i64_e64 s[16:17], 0, v[19:20]
	v_not_b32_e32 v3, v20
	v_ashrrev_i32_e32 v3, 31, v3
	v_xor_b32_e32 v20, s17, v3
	v_xor_b32_e32 v3, s16, v3
	v_and_b32_e32 v1, v1, v20
	v_lshlrev_b32_e32 v20, 28, v0
	v_and_b32_e32 v2, v2, v3
	v_cmp_gt_i64_e64 s[16:17], 0, v[19:20]
	v_not_b32_e32 v3, v20
	v_ashrrev_i32_e32 v3, 31, v3
	v_xor_b32_e32 v20, s17, v3
	v_xor_b32_e32 v3, s16, v3
	v_and_b32_e32 v1, v1, v20
	v_lshlrev_b32_e32 v20, 27, v0
	v_and_b32_e32 v2, v2, v3
	v_cmp_gt_i64_e64 s[16:17], 0, v[19:20]
	v_not_b32_e32 v3, v20
	v_ashrrev_i32_e32 v3, 31, v3
	v_xor_b32_e32 v20, s17, v3
	v_xor_b32_e32 v3, s16, v3
	v_and_b32_e32 v1, v1, v20
	v_lshlrev_b32_e32 v20, 26, v0
	v_and_b32_e32 v2, v2, v3
	v_cmp_gt_i64_e64 s[16:17], 0, v[19:20]
	v_not_b32_e32 v3, v20
	v_ashrrev_i32_e32 v3, 31, v3
	v_xor_b32_e32 v20, s17, v3
	v_xor_b32_e32 v3, s16, v3
	v_and_b32_e32 v1, v1, v20
	v_lshlrev_b32_e32 v20, 25, v0
	v_and_b32_e32 v2, v2, v3
	v_cmp_gt_i64_e64 s[16:17], 0, v[19:20]
	v_not_b32_e32 v3, v20
	v_ashrrev_i32_e32 v3, 31, v3
	v_xor_b32_e32 v20, s17, v3
	v_and_b32_e32 v1, v1, v20
	v_lshlrev_b32_e32 v20, 24, v0
	v_lshl_add_u32 v44, v0, 2, v40
	v_xor_b32_e32 v3, s16, v3
	v_cmp_gt_i64_e64 s[16:17], 0, v[19:20]
	v_not_b32_e32 v0, v20
	v_ashrrev_i32_e32 v0, 31, v0
	v_and_b32_e32 v2, v2, v3
	v_xor_b32_e32 v3, s17, v0
	v_xor_b32_e32 v0, s16, v0
	; wave barrier
	ds_read_b32 v43, v44 offset:4
	v_and_b32_e32 v0, v2, v0
	v_and_b32_e32 v1, v1, v3
	v_mbcnt_lo_u32_b32 v2, v0, 0
	v_mbcnt_hi_u32_b32 v45, v1, v2
	v_cmp_ne_u64_e64 s[16:17], 0, v[0:1]
	v_cmp_eq_u32_e64 s[18:19], 0, v45
	s_and_b64 s[18:19], s[18:19], s[16:17]
	; wave barrier
	s_and_saveexec_b64 s[16:17], s[18:19]
	s_cbranch_execz .LBB342_16
; %bb.15:                               ;   in Loop: Header=BB342_4 Depth=2
	v_bcnt_u32_b32 v0, v0, 0
	v_bcnt_u32_b32 v0, v1, v0
	s_waitcnt lgkmcnt(0)
	v_add_u32_e32 v0, v43, v0
	ds_write_b32 v44, v0 offset:4
.LBB342_16:                             ;   in Loop: Header=BB342_4 Depth=2
	s_or_b64 exec, exec, s[16:17]
	v_lshrrev_b32_e32 v1, s33, v21
	v_lshrrev_b32_e32 v0, s29, v22
	v_and_b32_e32 v1, s34, v1
	v_and_b32_e32 v0, s31, v0
	v_lshlrev_b32_e32 v1, s30, v1
	v_cndmask_b32_e64 v0, 0, v0, s[14:15]
	v_cndmask_b32_e32 v1, 0, v1, vcc
	v_or_b32_e32 v0, v0, v1
	v_and_b32_e32 v1, 1, v0
	v_add_co_u32_e64 v2, s[16:17], -1, v1
	v_addc_co_u32_e64 v3, s[16:17], 0, -1, s[16:17]
	v_cmp_ne_u32_e64 s[16:17], 0, v1
	v_lshlrev_b32_e32 v20, 30, v0
	v_xor_b32_e32 v1, s17, v3
	v_xor_b32_e32 v2, s16, v2
	v_cmp_gt_i64_e64 s[16:17], 0, v[19:20]
	v_not_b32_e32 v3, v20
	v_ashrrev_i32_e32 v3, 31, v3
	v_and_b32_e32 v1, exec_hi, v1
	v_xor_b32_e32 v20, s17, v3
	v_and_b32_e32 v2, exec_lo, v2
	v_xor_b32_e32 v3, s16, v3
	v_and_b32_e32 v1, v1, v20
	v_lshlrev_b32_e32 v20, 29, v0
	v_and_b32_e32 v2, v2, v3
	v_cmp_gt_i64_e64 s[16:17], 0, v[19:20]
	v_not_b32_e32 v3, v20
	v_ashrrev_i32_e32 v3, 31, v3
	v_xor_b32_e32 v20, s17, v3
	v_xor_b32_e32 v3, s16, v3
	v_and_b32_e32 v1, v1, v20
	v_lshlrev_b32_e32 v20, 28, v0
	v_and_b32_e32 v2, v2, v3
	v_cmp_gt_i64_e64 s[16:17], 0, v[19:20]
	v_not_b32_e32 v3, v20
	v_ashrrev_i32_e32 v3, 31, v3
	v_xor_b32_e32 v20, s17, v3
	;; [unrolled: 8-line block ×5, first 2 shown]
	v_and_b32_e32 v1, v1, v20
	v_lshlrev_b32_e32 v20, 24, v0
	v_lshl_add_u32 v47, v0, 2, v40
	v_xor_b32_e32 v3, s16, v3
	v_cmp_gt_i64_e64 s[16:17], 0, v[19:20]
	v_not_b32_e32 v0, v20
	v_ashrrev_i32_e32 v0, 31, v0
	v_and_b32_e32 v2, v2, v3
	v_xor_b32_e32 v3, s17, v0
	v_xor_b32_e32 v0, s16, v0
	; wave barrier
	ds_read_b32 v46, v47 offset:4
	v_and_b32_e32 v0, v2, v0
	v_and_b32_e32 v1, v1, v3
	v_mbcnt_lo_u32_b32 v2, v0, 0
	v_mbcnt_hi_u32_b32 v48, v1, v2
	v_cmp_ne_u64_e64 s[16:17], 0, v[0:1]
	v_cmp_eq_u32_e64 s[18:19], 0, v48
	s_and_b64 s[18:19], s[18:19], s[16:17]
	; wave barrier
	s_and_saveexec_b64 s[16:17], s[18:19]
	s_cbranch_execz .LBB342_18
; %bb.17:                               ;   in Loop: Header=BB342_4 Depth=2
	v_bcnt_u32_b32 v0, v0, 0
	v_bcnt_u32_b32 v0, v1, v0
	s_waitcnt lgkmcnt(0)
	v_add_u32_e32 v0, v46, v0
	ds_write_b32 v47, v0 offset:4
.LBB342_18:                             ;   in Loop: Header=BB342_4 Depth=2
	s_or_b64 exec, exec, s[16:17]
	v_lshrrev_b32_e32 v1, s33, v16
	v_lshrrev_b32_e32 v0, s29, v17
	v_and_b32_e32 v1, s34, v1
	v_and_b32_e32 v0, s31, v0
	v_lshlrev_b32_e32 v1, s30, v1
	v_cndmask_b32_e64 v0, 0, v0, s[14:15]
	v_cndmask_b32_e32 v1, 0, v1, vcc
	v_or_b32_e32 v0, v0, v1
	v_and_b32_e32 v1, 1, v0
	v_add_co_u32_e32 v2, vcc, -1, v1
	v_addc_co_u32_e64 v3, s[14:15], 0, -1, vcc
	v_cmp_ne_u32_e32 vcc, 0, v1
	v_lshlrev_b32_e32 v20, 30, v0
	v_xor_b32_e32 v1, vcc_hi, v3
	v_xor_b32_e32 v2, vcc_lo, v2
	v_cmp_gt_i64_e32 vcc, 0, v[19:20]
	v_not_b32_e32 v3, v20
	v_ashrrev_i32_e32 v3, 31, v3
	v_and_b32_e32 v1, exec_hi, v1
	v_xor_b32_e32 v20, vcc_hi, v3
	v_and_b32_e32 v2, exec_lo, v2
	v_xor_b32_e32 v3, vcc_lo, v3
	v_and_b32_e32 v1, v1, v20
	v_lshlrev_b32_e32 v20, 29, v0
	v_and_b32_e32 v2, v2, v3
	v_cmp_gt_i64_e32 vcc, 0, v[19:20]
	v_not_b32_e32 v3, v20
	v_ashrrev_i32_e32 v3, 31, v3
	v_xor_b32_e32 v20, vcc_hi, v3
	v_xor_b32_e32 v3, vcc_lo, v3
	v_and_b32_e32 v1, v1, v20
	v_lshlrev_b32_e32 v20, 28, v0
	v_and_b32_e32 v2, v2, v3
	v_cmp_gt_i64_e32 vcc, 0, v[19:20]
	v_not_b32_e32 v3, v20
	v_ashrrev_i32_e32 v3, 31, v3
	v_xor_b32_e32 v20, vcc_hi, v3
	;; [unrolled: 8-line block ×5, first 2 shown]
	v_and_b32_e32 v1, v1, v20
	v_lshlrev_b32_e32 v20, 24, v0
	v_lshl_add_u32 v50, v0, 2, v40
	v_xor_b32_e32 v3, vcc_lo, v3
	v_cmp_gt_i64_e32 vcc, 0, v[19:20]
	v_not_b32_e32 v0, v20
	v_ashrrev_i32_e32 v0, 31, v0
	v_and_b32_e32 v2, v2, v3
	v_xor_b32_e32 v3, vcc_hi, v0
	v_xor_b32_e32 v0, vcc_lo, v0
	; wave barrier
	ds_read_b32 v49, v50 offset:4
	v_and_b32_e32 v0, v2, v0
	v_and_b32_e32 v1, v1, v3
	v_mbcnt_lo_u32_b32 v2, v0, 0
	v_mbcnt_hi_u32_b32 v51, v1, v2
	v_cmp_ne_u64_e32 vcc, 0, v[0:1]
	v_cmp_eq_u32_e64 s[14:15], 0, v51
	s_and_b64 s[16:17], s[14:15], vcc
	; wave barrier
	s_and_saveexec_b64 s[14:15], s[16:17]
	s_cbranch_execz .LBB342_20
; %bb.19:                               ;   in Loop: Header=BB342_4 Depth=2
	v_bcnt_u32_b32 v0, v0, 0
	v_bcnt_u32_b32 v0, v1, v0
	s_waitcnt lgkmcnt(0)
	v_add_u32_e32 v0, v49, v0
	ds_write_b32 v50, v0 offset:4
.LBB342_20:                             ;   in Loop: Header=BB342_4 Depth=2
	s_or_b64 exec, exec, s[14:15]
	; wave barrier
	s_waitcnt lgkmcnt(0)
	; wave barrier
	ds_read2_b32 v[2:3], v38 offset0:1 offset1:2
	ds_read2_b32 v[0:1], v38 offset0:3 offset1:4
	s_waitcnt lgkmcnt(1)
	v_add_u32_e32 v20, v3, v2
	s_waitcnt lgkmcnt(0)
	v_add3_u32 v1, v20, v0, v1
	s_nop 1
	v_mov_b32_dpp v20, v1 row_shr:1 row_mask:0xf bank_mask:0xf
	v_cndmask_b32_e64 v20, v20, 0, s[0:1]
	v_add_u32_e32 v1, v20, v1
	s_nop 1
	v_mov_b32_dpp v20, v1 row_shr:2 row_mask:0xf bank_mask:0xf
	v_cndmask_b32_e64 v20, 0, v20, s[2:3]
	v_add_u32_e32 v1, v1, v20
	;; [unrolled: 4-line block ×4, first 2 shown]
	s_nop 1
	v_mov_b32_dpp v20, v1 row_bcast:15 row_mask:0xf bank_mask:0xf
	v_cndmask_b32_e64 v20, v20, 0, s[8:9]
	v_add_u32_e32 v1, v1, v20
	s_nop 1
	v_mov_b32_dpp v20, v1 row_bcast:31 row_mask:0xf bank_mask:0xf
	v_cndmask_b32_e64 v20, 0, v20, s[10:11]
	v_add_u32_e32 v1, v1, v20
	s_and_saveexec_b64 s[14:15], s[12:13]
; %bb.21:                               ;   in Loop: Header=BB342_4 Depth=2
	ds_write_b32 v19, v1
; %bb.22:                               ;   in Loop: Header=BB342_4 Depth=2
	s_or_b64 exec, exec, s[14:15]
	ds_bpermute_b32 v1, v39, v1
	s_waitcnt lgkmcnt(0)
	; wave barrier
	v_lshlrev_b32_e32 v5, 3, v5
	s_cmp_gt_u32 s29, 55
	v_cndmask_b32_e64 v1, v1, 0, s[20:21]
	v_add_u32_e32 v2, v1, v2
	v_add_u32_e32 v3, v2, v3
	;; [unrolled: 1-line block ×3, first 2 shown]
	ds_write2_b32 v38, v1, v2 offset0:1 offset1:2
	ds_write2_b32 v38, v3, v0 offset0:3 offset1:4
	s_waitcnt lgkmcnt(0)
	; wave barrier
	ds_read_b32 v0, v4 offset:4
	ds_read_b32 v1, v7 offset:4
	;; [unrolled: 1-line block ×8, first 2 shown]
	s_waitcnt lgkmcnt(7)
	v_lshl_add_u32 v18, v0, 3, v5
	v_lshlrev_b32_e32 v0, 3, v8
	v_lshlrev_b32_e32 v5, 3, v6
	s_waitcnt lgkmcnt(6)
	v_lshlrev_b32_e32 v1, 3, v1
	v_add3_u32 v20, v0, v5, v1
	v_lshlrev_b32_e32 v0, 3, v11
	v_lshlrev_b32_e32 v1, 3, v9
	s_waitcnt lgkmcnt(5)
	v_lshlrev_b32_e32 v2, 3, v2
	v_add3_u32 v44, v0, v1, v2
	;; [unrolled: 5-line block ×7, first 2 shown]
	s_mov_b64 s[14:15], -1
                                        ; implicit-def: $vgpr0_vgpr1
                                        ; implicit-def: $vgpr4_vgpr5
                                        ; implicit-def: $vgpr8_vgpr9
                                        ; implicit-def: $vgpr12_vgpr13
	s_cbranch_scc1 .LBB342_3
; %bb.23:                               ;   in Loop: Header=BB342_4 Depth=2
	; wave barrier
	ds_write_b64 v18, v[33:34]
	ds_write_b64 v20, v[31:32]
	;; [unrolled: 1-line block ×8, first 2 shown]
	s_waitcnt lgkmcnt(0)
	; wave barrier
	ds_read2st64_b64 v[0:3], v37 offset1:1
	ds_read2st64_b64 v[4:7], v37 offset0:2 offset1:3
	ds_read2st64_b64 v[8:11], v37 offset0:4 offset1:5
	;; [unrolled: 1-line block ×3, first 2 shown]
	s_add_i32 s28, s28, -8
	s_add_i32 s24, s24, 8
	s_add_i32 s29, s29, 8
	s_mov_b64 s[14:15], 0
	s_waitcnt lgkmcnt(0)
	; wave barrier
	s_branch .LBB342_3
.LBB342_24:
	s_add_u32 s0, s22, s26
	s_addc_u32 s1, s23, s27
	global_store_dwordx2 v35, v[7:8], s[0:1]
	global_store_dwordx2 v35, v[9:10], s[0:1] offset:512
	global_store_dwordx2 v35, v[3:4], s[0:1] offset:1024
	;; [unrolled: 1-line block ×7, first 2 shown]
	s_endpgm
	.section	.rodata,"a",@progbits
	.p2align	6, 0x0
	.amdhsa_kernel _Z16sort_keys_kernelI22helper_blocked_stripedN15benchmark_utils11custom_typeIiiEELj64ELj8ELj10EEvPKT0_PS4_
		.amdhsa_group_segment_fixed_size 4096
		.amdhsa_private_segment_fixed_size 0
		.amdhsa_kernarg_size 272
		.amdhsa_user_sgpr_count 6
		.amdhsa_user_sgpr_private_segment_buffer 1
		.amdhsa_user_sgpr_dispatch_ptr 0
		.amdhsa_user_sgpr_queue_ptr 0
		.amdhsa_user_sgpr_kernarg_segment_ptr 1
		.amdhsa_user_sgpr_dispatch_id 0
		.amdhsa_user_sgpr_flat_scratch_init 0
		.amdhsa_user_sgpr_private_segment_size 0
		.amdhsa_uses_dynamic_stack 0
		.amdhsa_system_sgpr_private_segment_wavefront_offset 0
		.amdhsa_system_sgpr_workgroup_id_x 1
		.amdhsa_system_sgpr_workgroup_id_y 0
		.amdhsa_system_sgpr_workgroup_id_z 0
		.amdhsa_system_sgpr_workgroup_info 0
		.amdhsa_system_vgpr_workitem_id 2
		.amdhsa_next_free_vgpr 52
		.amdhsa_next_free_sgpr 98
		.amdhsa_reserve_vcc 1
		.amdhsa_reserve_flat_scratch 0
		.amdhsa_float_round_mode_32 0
		.amdhsa_float_round_mode_16_64 0
		.amdhsa_float_denorm_mode_32 3
		.amdhsa_float_denorm_mode_16_64 3
		.amdhsa_dx10_clamp 1
		.amdhsa_ieee_mode 1
		.amdhsa_fp16_overflow 0
		.amdhsa_exception_fp_ieee_invalid_op 0
		.amdhsa_exception_fp_denorm_src 0
		.amdhsa_exception_fp_ieee_div_zero 0
		.amdhsa_exception_fp_ieee_overflow 0
		.amdhsa_exception_fp_ieee_underflow 0
		.amdhsa_exception_fp_ieee_inexact 0
		.amdhsa_exception_int_div_zero 0
	.end_amdhsa_kernel
	.section	.text._Z16sort_keys_kernelI22helper_blocked_stripedN15benchmark_utils11custom_typeIiiEELj64ELj8ELj10EEvPKT0_PS4_,"axG",@progbits,_Z16sort_keys_kernelI22helper_blocked_stripedN15benchmark_utils11custom_typeIiiEELj64ELj8ELj10EEvPKT0_PS4_,comdat
.Lfunc_end342:
	.size	_Z16sort_keys_kernelI22helper_blocked_stripedN15benchmark_utils11custom_typeIiiEELj64ELj8ELj10EEvPKT0_PS4_, .Lfunc_end342-_Z16sort_keys_kernelI22helper_blocked_stripedN15benchmark_utils11custom_typeIiiEELj64ELj8ELj10EEvPKT0_PS4_
                                        ; -- End function
	.set _Z16sort_keys_kernelI22helper_blocked_stripedN15benchmark_utils11custom_typeIiiEELj64ELj8ELj10EEvPKT0_PS4_.num_vgpr, 52
	.set _Z16sort_keys_kernelI22helper_blocked_stripedN15benchmark_utils11custom_typeIiiEELj64ELj8ELj10EEvPKT0_PS4_.num_agpr, 0
	.set _Z16sort_keys_kernelI22helper_blocked_stripedN15benchmark_utils11custom_typeIiiEELj64ELj8ELj10EEvPKT0_PS4_.numbered_sgpr, 35
	.set _Z16sort_keys_kernelI22helper_blocked_stripedN15benchmark_utils11custom_typeIiiEELj64ELj8ELj10EEvPKT0_PS4_.num_named_barrier, 0
	.set _Z16sort_keys_kernelI22helper_blocked_stripedN15benchmark_utils11custom_typeIiiEELj64ELj8ELj10EEvPKT0_PS4_.private_seg_size, 0
	.set _Z16sort_keys_kernelI22helper_blocked_stripedN15benchmark_utils11custom_typeIiiEELj64ELj8ELj10EEvPKT0_PS4_.uses_vcc, 1
	.set _Z16sort_keys_kernelI22helper_blocked_stripedN15benchmark_utils11custom_typeIiiEELj64ELj8ELj10EEvPKT0_PS4_.uses_flat_scratch, 0
	.set _Z16sort_keys_kernelI22helper_blocked_stripedN15benchmark_utils11custom_typeIiiEELj64ELj8ELj10EEvPKT0_PS4_.has_dyn_sized_stack, 0
	.set _Z16sort_keys_kernelI22helper_blocked_stripedN15benchmark_utils11custom_typeIiiEELj64ELj8ELj10EEvPKT0_PS4_.has_recursion, 0
	.set _Z16sort_keys_kernelI22helper_blocked_stripedN15benchmark_utils11custom_typeIiiEELj64ELj8ELj10EEvPKT0_PS4_.has_indirect_call, 0
	.section	.AMDGPU.csdata,"",@progbits
; Kernel info:
; codeLenInByte = 5004
; TotalNumSgprs: 39
; NumVgprs: 52
; ScratchSize: 0
; MemoryBound: 0
; FloatMode: 240
; IeeeMode: 1
; LDSByteSize: 4096 bytes/workgroup (compile time only)
; SGPRBlocks: 12
; VGPRBlocks: 12
; NumSGPRsForWavesPerEU: 102
; NumVGPRsForWavesPerEU: 52
; Occupancy: 4
; WaveLimiterHint : 1
; COMPUTE_PGM_RSRC2:SCRATCH_EN: 0
; COMPUTE_PGM_RSRC2:USER_SGPR: 6
; COMPUTE_PGM_RSRC2:TRAP_HANDLER: 0
; COMPUTE_PGM_RSRC2:TGID_X_EN: 1
; COMPUTE_PGM_RSRC2:TGID_Y_EN: 0
; COMPUTE_PGM_RSRC2:TGID_Z_EN: 0
; COMPUTE_PGM_RSRC2:TIDIG_COMP_CNT: 2
	.section	.text._Z17sort_pairs_kernelI22helper_blocked_stripedN15benchmark_utils11custom_typeIiiEELj64ELj8ELj10EEvPKT0_PS4_,"axG",@progbits,_Z17sort_pairs_kernelI22helper_blocked_stripedN15benchmark_utils11custom_typeIiiEELj64ELj8ELj10EEvPKT0_PS4_,comdat
	.protected	_Z17sort_pairs_kernelI22helper_blocked_stripedN15benchmark_utils11custom_typeIiiEELj64ELj8ELj10EEvPKT0_PS4_ ; -- Begin function _Z17sort_pairs_kernelI22helper_blocked_stripedN15benchmark_utils11custom_typeIiiEELj64ELj8ELj10EEvPKT0_PS4_
	.globl	_Z17sort_pairs_kernelI22helper_blocked_stripedN15benchmark_utils11custom_typeIiiEELj64ELj8ELj10EEvPKT0_PS4_
	.p2align	8
	.type	_Z17sort_pairs_kernelI22helper_blocked_stripedN15benchmark_utils11custom_typeIiiEELj64ELj8ELj10EEvPKT0_PS4_,@function
_Z17sort_pairs_kernelI22helper_blocked_stripedN15benchmark_utils11custom_typeIiiEELj64ELj8ELj10EEvPKT0_PS4_: ; @_Z17sort_pairs_kernelI22helper_blocked_stripedN15benchmark_utils11custom_typeIiiEELj64ELj8ELj10EEvPKT0_PS4_
; %bb.0:
	s_load_dwordx4 s[20:23], s[4:5], 0x0
	s_load_dword s18, s[4:5], 0x1c
	s_lshl_b32 s26, s6, 9
	s_mov_b32 s27, 0
	s_lshl_b64 s[24:25], s[26:27], 3
	s_waitcnt lgkmcnt(0)
	s_add_u32 s0, s20, s24
	s_addc_u32 s1, s21, s25
	v_lshlrev_b32_e32 v19, 6, v0
	global_load_dwordx4 v[3:6], v19, s[0:1]
	global_load_dwordx4 v[7:10], v19, s[0:1] offset:16
	global_load_dwordx4 v[11:14], v19, s[0:1] offset:32
	;; [unrolled: 1-line block ×3, first 2 shown]
	v_mbcnt_lo_u32_b32 v19, -1, 0
	v_mbcnt_hi_u32_b32 v19, -1, v19
	v_subrev_co_u32_e64 v22, s[14:15], 1, v19
	v_and_b32_e32 v23, 64, v19
	v_cmp_lt_i32_e64 s[16:17], v22, v23
	v_lshlrev_b32_e32 v69, 6, v19
	v_lshlrev_b32_e32 v70, 3, v19
	v_and_b32_e32 v20, 15, v19
	v_and_b32_e32 v21, 16, v19
	v_cmp_lt_u32_e64 s[2:3], 31, v19
	v_cndmask_b32_e64 v19, v22, v19, s[16:17]
	s_lshr_b32 s16, s18, 16
	s_and_b32 s17, s18, 0xffff
	v_mad_u32_u24 v1, v2, s16, v1
	v_lshlrev_b32_e32 v67, 3, v0
	v_lshlrev_b32_e32 v68, 4, v0
	v_cmp_eq_u32_e64 s[0:1], 63, v0
	v_cmp_eq_u32_e32 vcc, 0, v0
	v_mad_u32_u24 v0, v1, s17, v0
	v_sub_u32_e32 v36, 0, v67
	v_lshrrev_b32_e32 v0, 4, v0
	v_mov_b32_e32 v35, 0
	v_cmp_eq_u32_e64 s[4:5], 0, v20
	v_cmp_lt_u32_e64 s[6:7], 1, v20
	v_cmp_lt_u32_e64 s[8:9], 3, v20
	;; [unrolled: 1-line block ×3, first 2 shown]
	v_cmp_eq_u32_e64 s[12:13], 0, v21
	v_lshlrev_b32_e32 v71, 2, v19
	s_or_b64 s[20:21], vcc, s[14:15]
	v_and_b32_e32 v72, 0xffffffc, v0
	v_add_u32_e32 v73, v68, v36
	s_waitcnt vmcnt(3)
	v_add_u32_e32 v20, 1, v4
	v_add_u32_e32 v19, 1, v3
	v_add_u32_e32 v22, 1, v6
	v_add_u32_e32 v21, 1, v5
	s_waitcnt vmcnt(2)
	v_add_u32_e32 v24, 1, v8
	v_add_u32_e32 v23, 1, v7
	v_add_u32_e32 v26, 1, v10
	;; [unrolled: 5-line block ×4, first 2 shown]
	v_add_u32_e32 v33, 1, v17
	s_branch .LBB343_2
.LBB343_1:                              ;   in Loop: Header=BB343_2 Depth=1
	; wave barrier
	ds_write_b64 v34, v[65:66]
	ds_write_b64 v36, v[63:64]
	;; [unrolled: 1-line block ×8, first 2 shown]
	s_waitcnt lgkmcnt(0)
	; wave barrier
	ds_read2st64_b64 v[3:6], v73 offset1:1
	ds_read2st64_b64 v[7:10], v73 offset0:2 offset1:3
	ds_read2st64_b64 v[11:14], v73 offset0:4 offset1:5
	;; [unrolled: 1-line block ×3, first 2 shown]
	s_waitcnt lgkmcnt(0)
	; wave barrier
	ds_write_b64 v34, v[49:50]
	ds_write_b64 v36, v[47:48]
	;; [unrolled: 1-line block ×8, first 2 shown]
	s_waitcnt lgkmcnt(0)
	; wave barrier
	ds_read2st64_b64 v[19:22], v73 offset1:1
	ds_read2st64_b64 v[23:26], v73 offset0:2 offset1:3
	ds_read2st64_b64 v[27:30], v73 offset0:4 offset1:5
	ds_read2st64_b64 v[31:34], v73 offset0:6 offset1:7
	s_add_i32 s27, s27, 1
	v_xor_b32_e32 v3, 0x80000000, v3
	v_xor_b32_e32 v4, 0x80000000, v4
	;; [unrolled: 1-line block ×15, first 2 shown]
	s_cmp_lg_u32 s27, 10
	v_xor_b32_e32 v18, 0x80000000, v18
	s_cbranch_scc0 .LBB343_24
.LBB343_2:                              ; =>This Loop Header: Depth=1
                                        ;     Child Loop BB343_4 Depth 2
	v_xor_b32_e32 v1, 0x80000000, v4
	v_xor_b32_e32 v0, 0x80000000, v3
	v_xor_b32_e32 v3, 0x80000000, v6
	v_xor_b32_e32 v2, 0x80000000, v5
	v_xor_b32_e32 v5, 0x80000000, v8
	v_xor_b32_e32 v4, 0x80000000, v7
	v_xor_b32_e32 v7, 0x80000000, v10
	v_xor_b32_e32 v6, 0x80000000, v9
	v_xor_b32_e32 v9, 0x80000000, v12
	v_xor_b32_e32 v8, 0x80000000, v11
	v_xor_b32_e32 v11, 0x80000000, v14
	v_xor_b32_e32 v10, 0x80000000, v13
	v_xor_b32_e32 v13, 0x80000000, v16
	v_xor_b32_e32 v12, 0x80000000, v15
	v_xor_b32_e32 v15, 0x80000000, v18
	v_xor_b32_e32 v14, 0x80000000, v17
	ds_write2_b64 v69, v[0:1], v[2:3] offset1:1
	ds_write2_b64 v69, v[4:5], v[6:7] offset0:2 offset1:3
	ds_write2_b64 v69, v[8:9], v[10:11] offset0:4 offset1:5
	ds_write2_b64 v69, v[12:13], v[14:15] offset0:6 offset1:7
	; wave barrier
	ds_read2st64_b64 v[0:3], v70 offset1:1
	ds_read2st64_b64 v[4:7], v70 offset0:2 offset1:3
	ds_read2st64_b64 v[8:11], v70 offset0:4 offset1:5
	ds_read2st64_b64 v[12:15], v70 offset0:6 offset1:7
	; wave barrier
	s_waitcnt lgkmcnt(11)
	ds_write2_b64 v69, v[19:20], v[21:22] offset1:1
	s_waitcnt lgkmcnt(11)
	ds_write2_b64 v69, v[23:24], v[25:26] offset0:2 offset1:3
	s_waitcnt lgkmcnt(11)
	ds_write2_b64 v69, v[27:28], v[29:30] offset0:4 offset1:5
	;; [unrolled: 2-line block ×3, first 2 shown]
	; wave barrier
	ds_read2st64_b64 v[16:19], v70 offset1:1
	ds_read2st64_b64 v[20:23], v70 offset0:2 offset1:3
	ds_read2st64_b64 v[24:27], v70 offset0:4 offset1:5
	;; [unrolled: 1-line block ×3, first 2 shown]
	s_mov_b32 s26, 8
	s_mov_b32 s28, 32
	s_mov_b32 s29, 0
	s_waitcnt lgkmcnt(0)
	; wave barrier
	s_branch .LBB343_4
.LBB343_3:                              ;   in Loop: Header=BB343_4 Depth=2
	s_andn2_b64 vcc, exec, s[14:15]
	s_cbranch_vccz .LBB343_1
.LBB343_4:                              ;   Parent Loop BB343_2 Depth=1
                                        ; =>  This Inner Loop Header: Depth=2
	s_min_i32 s16, s26, 32
	s_cmp_lt_u32 s29, 32
	s_cselect_b64 s[14:15], -1, 0
	s_cmp_gt_u32 s29, 31
	s_cselect_b64 vcc, -1, 0
	s_sub_i32 s16, s16, 32
	s_add_i32 s17, s16, s28
	s_lshl_b32 s17, -1, s17
	s_not_b32 s17, s17
	s_cmp_lg_u32 s16, s29
	s_cselect_b32 s31, s17, -1
	s_max_i32 s30, s28, 0
	s_max_i32 s16, s29, 32
	s_sub_i32 s33, s16, 32
	s_sub_i32 s16, s16, s30
	;; [unrolled: 1-line block ×3, first 2 shown]
	s_min_i32 s16, s16, 32
	s_sub_i32 s16, s16, s33
	s_lshl_b32 s17, -1, s16
	v_mov_b32_e32 v66, v1
	s_not_b32 s17, s17
	v_mov_b32_e32 v65, v0
	s_cmp_lg_u32 s16, 32
	s_cselect_b32 s34, s17, -1
	v_lshrrev_b32_e32 v1, s33, v65
	v_lshrrev_b32_e32 v0, s29, v66
	v_and_b32_e32 v1, s34, v1
	v_and_b32_e32 v0, s31, v0
	v_lshlrev_b32_e32 v1, s30, v1
	v_cndmask_b32_e64 v0, 0, v0, s[14:15]
	v_cndmask_b32_e32 v1, 0, v1, vcc
	v_or_b32_e32 v0, v0, v1
	v_mov_b32_e32 v64, v3
	v_and_b32_e32 v1, 1, v0
	v_mov_b32_e32 v63, v2
	v_add_co_u32_e64 v2, s[16:17], -1, v1
	v_addc_co_u32_e64 v3, s[16:17], 0, -1, s[16:17]
	v_cmp_ne_u32_e64 s[16:17], 0, v1
	v_lshlrev_b32_e32 v36, 30, v0
	v_xor_b32_e32 v1, s17, v3
	v_xor_b32_e32 v2, s16, v2
	v_cmp_gt_i64_e64 s[16:17], 0, v[35:36]
	v_not_b32_e32 v3, v36
	v_mov_b32_e32 v62, v5
	v_ashrrev_i32_e32 v3, 31, v3
	v_mov_b32_e32 v61, v4
	v_and_b32_e32 v2, exec_lo, v2
	v_xor_b32_e32 v5, s17, v3
	v_xor_b32_e32 v3, s16, v3
	v_lshlrev_b32_e32 v36, 29, v0
	v_and_b32_e32 v2, v2, v3
	v_cmp_gt_i64_e64 s[16:17], 0, v[35:36]
	v_not_b32_e32 v3, v36
	v_and_b32_e32 v1, exec_hi, v1
	v_ashrrev_i32_e32 v3, 31, v3
	v_and_b32_e32 v1, v1, v5
	v_xor_b32_e32 v5, s17, v3
	v_xor_b32_e32 v3, s16, v3
	v_lshlrev_b32_e32 v36, 28, v0
	v_and_b32_e32 v2, v2, v3
	v_cmp_gt_i64_e64 s[16:17], 0, v[35:36]
	v_not_b32_e32 v3, v36
	v_ashrrev_i32_e32 v3, 31, v3
	v_and_b32_e32 v1, v1, v5
	v_xor_b32_e32 v5, s17, v3
	v_xor_b32_e32 v3, s16, v3
	v_lshlrev_b32_e32 v36, 27, v0
	v_and_b32_e32 v2, v2, v3
	v_cmp_gt_i64_e64 s[16:17], 0, v[35:36]
	v_not_b32_e32 v3, v36
	;; [unrolled: 8-line block ×4, first 2 shown]
	v_ashrrev_i32_e32 v3, 31, v3
	v_lshlrev_b32_e32 v36, 24, v0
	v_lshl_add_u32 v4, v0, 2, v72
	v_and_b32_e32 v1, v1, v5
	v_xor_b32_e32 v5, s17, v3
	v_xor_b32_e32 v3, s16, v3
	v_cmp_gt_i64_e64 s[16:17], 0, v[35:36]
	v_not_b32_e32 v0, v36
	v_ashrrev_i32_e32 v0, 31, v0
	v_and_b32_e32 v2, v2, v3
	v_xor_b32_e32 v3, s17, v0
	v_xor_b32_e32 v0, s16, v0
	v_and_b32_e32 v1, v1, v5
	v_and_b32_e32 v0, v2, v0
	;; [unrolled: 1-line block ×3, first 2 shown]
	v_mbcnt_lo_u32_b32 v2, v0, 0
	v_mbcnt_hi_u32_b32 v5, v1, v2
	v_cmp_ne_u64_e64 s[16:17], 0, v[0:1]
	v_mov_b32_e32 v50, v17
	v_mov_b32_e32 v48, v19
	;; [unrolled: 1-line block ×13, first 2 shown]
	v_cmp_eq_u32_e64 s[18:19], 0, v5
	v_mov_b32_e32 v49, v16
	v_mov_b32_e32 v47, v18
	;; [unrolled: 1-line block ×13, first 2 shown]
	s_and_b64 s[18:19], s[18:19], s[16:17]
	ds_write2_b32 v68, v35, v35 offset0:1 offset1:2
	ds_write2_b32 v68, v35, v35 offset0:3 offset1:4
	s_waitcnt lgkmcnt(0)
	; wave barrier
	; wave barrier
	s_and_saveexec_b64 s[16:17], s[18:19]
; %bb.5:                                ;   in Loop: Header=BB343_4 Depth=2
	v_bcnt_u32_b32 v0, v0, 0
	v_bcnt_u32_b32 v0, v1, v0
	ds_write_b32 v4, v0 offset:4
; %bb.6:                                ;   in Loop: Header=BB343_4 Depth=2
	s_or_b64 exec, exec, s[16:17]
	v_lshrrev_b32_e32 v1, s33, v63
	v_lshrrev_b32_e32 v0, s29, v64
	v_and_b32_e32 v1, s34, v1
	v_and_b32_e32 v0, s31, v0
	v_lshlrev_b32_e32 v1, s30, v1
	v_cndmask_b32_e64 v0, 0, v0, s[14:15]
	v_cndmask_b32_e32 v1, 0, v1, vcc
	v_or_b32_e32 v0, v0, v1
	v_and_b32_e32 v1, 1, v0
	v_add_co_u32_e64 v2, s[16:17], -1, v1
	v_addc_co_u32_e64 v3, s[16:17], 0, -1, s[16:17]
	v_cmp_ne_u32_e64 s[16:17], 0, v1
	v_lshlrev_b32_e32 v36, 30, v0
	v_xor_b32_e32 v1, s17, v3
	v_xor_b32_e32 v2, s16, v2
	v_cmp_gt_i64_e64 s[16:17], 0, v[35:36]
	v_not_b32_e32 v3, v36
	v_ashrrev_i32_e32 v3, 31, v3
	v_and_b32_e32 v2, exec_lo, v2
	v_xor_b32_e32 v8, s17, v3
	v_xor_b32_e32 v3, s16, v3
	v_lshlrev_b32_e32 v36, 29, v0
	v_and_b32_e32 v2, v2, v3
	v_cmp_gt_i64_e64 s[16:17], 0, v[35:36]
	v_not_b32_e32 v3, v36
	v_and_b32_e32 v1, exec_hi, v1
	v_ashrrev_i32_e32 v3, 31, v3
	v_and_b32_e32 v1, v1, v8
	v_xor_b32_e32 v8, s17, v3
	v_xor_b32_e32 v3, s16, v3
	v_lshlrev_b32_e32 v36, 28, v0
	v_and_b32_e32 v2, v2, v3
	v_cmp_gt_i64_e64 s[16:17], 0, v[35:36]
	v_not_b32_e32 v3, v36
	v_ashrrev_i32_e32 v3, 31, v3
	v_and_b32_e32 v1, v1, v8
	v_xor_b32_e32 v8, s17, v3
	v_xor_b32_e32 v3, s16, v3
	v_lshlrev_b32_e32 v36, 27, v0
	v_and_b32_e32 v2, v2, v3
	v_cmp_gt_i64_e64 s[16:17], 0, v[35:36]
	v_not_b32_e32 v3, v36
	;; [unrolled: 8-line block ×4, first 2 shown]
	v_ashrrev_i32_e32 v3, 31, v3
	v_lshlrev_b32_e32 v36, 24, v0
	v_lshl_add_u32 v7, v0, 2, v72
	v_and_b32_e32 v1, v1, v8
	v_xor_b32_e32 v8, s17, v3
	v_xor_b32_e32 v3, s16, v3
	v_cmp_gt_i64_e64 s[16:17], 0, v[35:36]
	v_not_b32_e32 v0, v36
	v_ashrrev_i32_e32 v0, 31, v0
	v_and_b32_e32 v2, v2, v3
	v_xor_b32_e32 v3, s17, v0
	v_xor_b32_e32 v0, s16, v0
	; wave barrier
	ds_read_b32 v6, v7 offset:4
	v_and_b32_e32 v1, v1, v8
	v_and_b32_e32 v0, v2, v0
	;; [unrolled: 1-line block ×3, first 2 shown]
	v_mbcnt_lo_u32_b32 v2, v0, 0
	v_mbcnt_hi_u32_b32 v8, v1, v2
	v_cmp_ne_u64_e64 s[16:17], 0, v[0:1]
	v_cmp_eq_u32_e64 s[18:19], 0, v8
	s_and_b64 s[18:19], s[18:19], s[16:17]
	; wave barrier
	s_and_saveexec_b64 s[16:17], s[18:19]
	s_cbranch_execz .LBB343_8
; %bb.7:                                ;   in Loop: Header=BB343_4 Depth=2
	v_bcnt_u32_b32 v0, v0, 0
	v_bcnt_u32_b32 v0, v1, v0
	s_waitcnt lgkmcnt(0)
	v_add_u32_e32 v0, v6, v0
	ds_write_b32 v7, v0 offset:4
.LBB343_8:                              ;   in Loop: Header=BB343_4 Depth=2
	s_or_b64 exec, exec, s[16:17]
	v_lshrrev_b32_e32 v1, s33, v61
	v_lshrrev_b32_e32 v0, s29, v62
	v_and_b32_e32 v1, s34, v1
	v_and_b32_e32 v0, s31, v0
	v_lshlrev_b32_e32 v1, s30, v1
	v_cndmask_b32_e64 v0, 0, v0, s[14:15]
	v_cndmask_b32_e32 v1, 0, v1, vcc
	v_or_b32_e32 v0, v0, v1
	v_and_b32_e32 v1, 1, v0
	v_add_co_u32_e64 v2, s[16:17], -1, v1
	v_addc_co_u32_e64 v3, s[16:17], 0, -1, s[16:17]
	v_cmp_ne_u32_e64 s[16:17], 0, v1
	v_lshlrev_b32_e32 v36, 30, v0
	v_xor_b32_e32 v1, s17, v3
	v_xor_b32_e32 v2, s16, v2
	v_cmp_gt_i64_e64 s[16:17], 0, v[35:36]
	v_not_b32_e32 v3, v36
	v_ashrrev_i32_e32 v3, 31, v3
	v_and_b32_e32 v2, exec_lo, v2
	v_xor_b32_e32 v11, s17, v3
	v_xor_b32_e32 v3, s16, v3
	v_lshlrev_b32_e32 v36, 29, v0
	v_and_b32_e32 v2, v2, v3
	v_cmp_gt_i64_e64 s[16:17], 0, v[35:36]
	v_not_b32_e32 v3, v36
	v_and_b32_e32 v1, exec_hi, v1
	v_ashrrev_i32_e32 v3, 31, v3
	v_and_b32_e32 v1, v1, v11
	v_xor_b32_e32 v11, s17, v3
	v_xor_b32_e32 v3, s16, v3
	v_lshlrev_b32_e32 v36, 28, v0
	v_and_b32_e32 v2, v2, v3
	v_cmp_gt_i64_e64 s[16:17], 0, v[35:36]
	v_not_b32_e32 v3, v36
	v_ashrrev_i32_e32 v3, 31, v3
	v_and_b32_e32 v1, v1, v11
	v_xor_b32_e32 v11, s17, v3
	v_xor_b32_e32 v3, s16, v3
	v_lshlrev_b32_e32 v36, 27, v0
	v_and_b32_e32 v2, v2, v3
	v_cmp_gt_i64_e64 s[16:17], 0, v[35:36]
	v_not_b32_e32 v3, v36
	;; [unrolled: 8-line block ×4, first 2 shown]
	v_ashrrev_i32_e32 v3, 31, v3
	v_lshlrev_b32_e32 v36, 24, v0
	v_lshl_add_u32 v10, v0, 2, v72
	v_and_b32_e32 v1, v1, v11
	v_xor_b32_e32 v11, s17, v3
	v_xor_b32_e32 v3, s16, v3
	v_cmp_gt_i64_e64 s[16:17], 0, v[35:36]
	v_not_b32_e32 v0, v36
	v_ashrrev_i32_e32 v0, 31, v0
	v_and_b32_e32 v2, v2, v3
	v_xor_b32_e32 v3, s17, v0
	v_xor_b32_e32 v0, s16, v0
	; wave barrier
	ds_read_b32 v9, v10 offset:4
	v_and_b32_e32 v1, v1, v11
	v_and_b32_e32 v0, v2, v0
	;; [unrolled: 1-line block ×3, first 2 shown]
	v_mbcnt_lo_u32_b32 v2, v0, 0
	v_mbcnt_hi_u32_b32 v11, v1, v2
	v_cmp_ne_u64_e64 s[16:17], 0, v[0:1]
	v_cmp_eq_u32_e64 s[18:19], 0, v11
	s_and_b64 s[18:19], s[18:19], s[16:17]
	; wave barrier
	s_and_saveexec_b64 s[16:17], s[18:19]
	s_cbranch_execz .LBB343_10
; %bb.9:                                ;   in Loop: Header=BB343_4 Depth=2
	v_bcnt_u32_b32 v0, v0, 0
	v_bcnt_u32_b32 v0, v1, v0
	s_waitcnt lgkmcnt(0)
	v_add_u32_e32 v0, v9, v0
	ds_write_b32 v10, v0 offset:4
.LBB343_10:                             ;   in Loop: Header=BB343_4 Depth=2
	s_or_b64 exec, exec, s[16:17]
	v_lshrrev_b32_e32 v1, s33, v59
	v_lshrrev_b32_e32 v0, s29, v60
	v_and_b32_e32 v1, s34, v1
	v_and_b32_e32 v0, s31, v0
	v_lshlrev_b32_e32 v1, s30, v1
	v_cndmask_b32_e64 v0, 0, v0, s[14:15]
	v_cndmask_b32_e32 v1, 0, v1, vcc
	v_or_b32_e32 v0, v0, v1
	v_and_b32_e32 v1, 1, v0
	v_add_co_u32_e64 v2, s[16:17], -1, v1
	v_addc_co_u32_e64 v3, s[16:17], 0, -1, s[16:17]
	v_cmp_ne_u32_e64 s[16:17], 0, v1
	v_lshlrev_b32_e32 v36, 30, v0
	v_xor_b32_e32 v1, s17, v3
	v_xor_b32_e32 v2, s16, v2
	v_cmp_gt_i64_e64 s[16:17], 0, v[35:36]
	v_not_b32_e32 v3, v36
	v_ashrrev_i32_e32 v3, 31, v3
	v_and_b32_e32 v2, exec_lo, v2
	v_xor_b32_e32 v14, s17, v3
	v_xor_b32_e32 v3, s16, v3
	v_lshlrev_b32_e32 v36, 29, v0
	v_and_b32_e32 v2, v2, v3
	v_cmp_gt_i64_e64 s[16:17], 0, v[35:36]
	v_not_b32_e32 v3, v36
	v_and_b32_e32 v1, exec_hi, v1
	v_ashrrev_i32_e32 v3, 31, v3
	v_and_b32_e32 v1, v1, v14
	v_xor_b32_e32 v14, s17, v3
	v_xor_b32_e32 v3, s16, v3
	v_lshlrev_b32_e32 v36, 28, v0
	v_and_b32_e32 v2, v2, v3
	v_cmp_gt_i64_e64 s[16:17], 0, v[35:36]
	v_not_b32_e32 v3, v36
	v_ashrrev_i32_e32 v3, 31, v3
	v_and_b32_e32 v1, v1, v14
	v_xor_b32_e32 v14, s17, v3
	v_xor_b32_e32 v3, s16, v3
	v_lshlrev_b32_e32 v36, 27, v0
	v_and_b32_e32 v2, v2, v3
	v_cmp_gt_i64_e64 s[16:17], 0, v[35:36]
	v_not_b32_e32 v3, v36
	;; [unrolled: 8-line block ×4, first 2 shown]
	v_ashrrev_i32_e32 v3, 31, v3
	v_lshlrev_b32_e32 v36, 24, v0
	v_lshl_add_u32 v13, v0, 2, v72
	v_and_b32_e32 v1, v1, v14
	v_xor_b32_e32 v14, s17, v3
	v_xor_b32_e32 v3, s16, v3
	v_cmp_gt_i64_e64 s[16:17], 0, v[35:36]
	v_not_b32_e32 v0, v36
	v_ashrrev_i32_e32 v0, 31, v0
	v_and_b32_e32 v2, v2, v3
	v_xor_b32_e32 v3, s17, v0
	v_xor_b32_e32 v0, s16, v0
	; wave barrier
	ds_read_b32 v12, v13 offset:4
	v_and_b32_e32 v1, v1, v14
	v_and_b32_e32 v0, v2, v0
	;; [unrolled: 1-line block ×3, first 2 shown]
	v_mbcnt_lo_u32_b32 v2, v0, 0
	v_mbcnt_hi_u32_b32 v14, v1, v2
	v_cmp_ne_u64_e64 s[16:17], 0, v[0:1]
	v_cmp_eq_u32_e64 s[18:19], 0, v14
	s_and_b64 s[18:19], s[18:19], s[16:17]
	; wave barrier
	s_and_saveexec_b64 s[16:17], s[18:19]
	s_cbranch_execz .LBB343_12
; %bb.11:                               ;   in Loop: Header=BB343_4 Depth=2
	v_bcnt_u32_b32 v0, v0, 0
	v_bcnt_u32_b32 v0, v1, v0
	s_waitcnt lgkmcnt(0)
	v_add_u32_e32 v0, v12, v0
	ds_write_b32 v13, v0 offset:4
.LBB343_12:                             ;   in Loop: Header=BB343_4 Depth=2
	s_or_b64 exec, exec, s[16:17]
	v_lshrrev_b32_e32 v1, s33, v57
	v_lshrrev_b32_e32 v0, s29, v58
	v_and_b32_e32 v1, s34, v1
	v_and_b32_e32 v0, s31, v0
	v_lshlrev_b32_e32 v1, s30, v1
	v_cndmask_b32_e64 v0, 0, v0, s[14:15]
	v_cndmask_b32_e32 v1, 0, v1, vcc
	v_or_b32_e32 v0, v0, v1
	v_and_b32_e32 v1, 1, v0
	v_add_co_u32_e64 v2, s[16:17], -1, v1
	v_addc_co_u32_e64 v3, s[16:17], 0, -1, s[16:17]
	v_cmp_ne_u32_e64 s[16:17], 0, v1
	v_lshlrev_b32_e32 v36, 30, v0
	v_xor_b32_e32 v1, s17, v3
	v_xor_b32_e32 v2, s16, v2
	v_cmp_gt_i64_e64 s[16:17], 0, v[35:36]
	v_not_b32_e32 v3, v36
	v_ashrrev_i32_e32 v3, 31, v3
	v_and_b32_e32 v2, exec_lo, v2
	v_xor_b32_e32 v17, s17, v3
	v_xor_b32_e32 v3, s16, v3
	v_lshlrev_b32_e32 v36, 29, v0
	v_and_b32_e32 v2, v2, v3
	v_cmp_gt_i64_e64 s[16:17], 0, v[35:36]
	v_not_b32_e32 v3, v36
	v_and_b32_e32 v1, exec_hi, v1
	v_ashrrev_i32_e32 v3, 31, v3
	v_and_b32_e32 v1, v1, v17
	v_xor_b32_e32 v17, s17, v3
	v_xor_b32_e32 v3, s16, v3
	v_lshlrev_b32_e32 v36, 28, v0
	v_and_b32_e32 v2, v2, v3
	v_cmp_gt_i64_e64 s[16:17], 0, v[35:36]
	v_not_b32_e32 v3, v36
	v_ashrrev_i32_e32 v3, 31, v3
	v_and_b32_e32 v1, v1, v17
	v_xor_b32_e32 v17, s17, v3
	v_xor_b32_e32 v3, s16, v3
	v_lshlrev_b32_e32 v36, 27, v0
	v_and_b32_e32 v2, v2, v3
	v_cmp_gt_i64_e64 s[16:17], 0, v[35:36]
	v_not_b32_e32 v3, v36
	;; [unrolled: 8-line block ×4, first 2 shown]
	v_ashrrev_i32_e32 v3, 31, v3
	v_lshlrev_b32_e32 v36, 24, v0
	v_lshl_add_u32 v16, v0, 2, v72
	v_and_b32_e32 v1, v1, v17
	v_xor_b32_e32 v17, s17, v3
	v_xor_b32_e32 v3, s16, v3
	v_cmp_gt_i64_e64 s[16:17], 0, v[35:36]
	v_not_b32_e32 v0, v36
	v_ashrrev_i32_e32 v0, 31, v0
	v_and_b32_e32 v2, v2, v3
	v_xor_b32_e32 v3, s17, v0
	v_xor_b32_e32 v0, s16, v0
	; wave barrier
	ds_read_b32 v15, v16 offset:4
	v_and_b32_e32 v1, v1, v17
	v_and_b32_e32 v0, v2, v0
	;; [unrolled: 1-line block ×3, first 2 shown]
	v_mbcnt_lo_u32_b32 v2, v0, 0
	v_mbcnt_hi_u32_b32 v17, v1, v2
	v_cmp_ne_u64_e64 s[16:17], 0, v[0:1]
	v_cmp_eq_u32_e64 s[18:19], 0, v17
	s_and_b64 s[18:19], s[18:19], s[16:17]
	; wave barrier
	s_and_saveexec_b64 s[16:17], s[18:19]
	s_cbranch_execz .LBB343_14
; %bb.13:                               ;   in Loop: Header=BB343_4 Depth=2
	v_bcnt_u32_b32 v0, v0, 0
	v_bcnt_u32_b32 v0, v1, v0
	s_waitcnt lgkmcnt(0)
	v_add_u32_e32 v0, v15, v0
	ds_write_b32 v16, v0 offset:4
.LBB343_14:                             ;   in Loop: Header=BB343_4 Depth=2
	s_or_b64 exec, exec, s[16:17]
	v_lshrrev_b32_e32 v1, s33, v55
	v_lshrrev_b32_e32 v0, s29, v56
	v_and_b32_e32 v1, s34, v1
	v_and_b32_e32 v0, s31, v0
	v_lshlrev_b32_e32 v1, s30, v1
	v_cndmask_b32_e64 v0, 0, v0, s[14:15]
	v_cndmask_b32_e32 v1, 0, v1, vcc
	v_or_b32_e32 v0, v0, v1
	v_and_b32_e32 v1, 1, v0
	v_add_co_u32_e64 v2, s[16:17], -1, v1
	v_addc_co_u32_e64 v3, s[16:17], 0, -1, s[16:17]
	v_cmp_ne_u32_e64 s[16:17], 0, v1
	v_lshlrev_b32_e32 v36, 30, v0
	v_xor_b32_e32 v1, s17, v3
	v_xor_b32_e32 v2, s16, v2
	v_cmp_gt_i64_e64 s[16:17], 0, v[35:36]
	v_not_b32_e32 v3, v36
	v_ashrrev_i32_e32 v3, 31, v3
	v_and_b32_e32 v2, exec_lo, v2
	v_xor_b32_e32 v20, s17, v3
	v_xor_b32_e32 v3, s16, v3
	v_lshlrev_b32_e32 v36, 29, v0
	v_and_b32_e32 v2, v2, v3
	v_cmp_gt_i64_e64 s[16:17], 0, v[35:36]
	v_not_b32_e32 v3, v36
	v_and_b32_e32 v1, exec_hi, v1
	v_ashrrev_i32_e32 v3, 31, v3
	v_and_b32_e32 v1, v1, v20
	v_xor_b32_e32 v20, s17, v3
	v_xor_b32_e32 v3, s16, v3
	v_lshlrev_b32_e32 v36, 28, v0
	v_and_b32_e32 v2, v2, v3
	v_cmp_gt_i64_e64 s[16:17], 0, v[35:36]
	v_not_b32_e32 v3, v36
	v_ashrrev_i32_e32 v3, 31, v3
	v_and_b32_e32 v1, v1, v20
	v_xor_b32_e32 v20, s17, v3
	v_xor_b32_e32 v3, s16, v3
	v_lshlrev_b32_e32 v36, 27, v0
	v_and_b32_e32 v2, v2, v3
	v_cmp_gt_i64_e64 s[16:17], 0, v[35:36]
	v_not_b32_e32 v3, v36
	;; [unrolled: 8-line block ×4, first 2 shown]
	v_ashrrev_i32_e32 v3, 31, v3
	v_lshlrev_b32_e32 v36, 24, v0
	v_lshl_add_u32 v19, v0, 2, v72
	v_and_b32_e32 v1, v1, v20
	v_xor_b32_e32 v20, s17, v3
	v_xor_b32_e32 v3, s16, v3
	v_cmp_gt_i64_e64 s[16:17], 0, v[35:36]
	v_not_b32_e32 v0, v36
	v_ashrrev_i32_e32 v0, 31, v0
	v_and_b32_e32 v2, v2, v3
	v_xor_b32_e32 v3, s17, v0
	v_xor_b32_e32 v0, s16, v0
	; wave barrier
	ds_read_b32 v18, v19 offset:4
	v_and_b32_e32 v1, v1, v20
	v_and_b32_e32 v0, v2, v0
	;; [unrolled: 1-line block ×3, first 2 shown]
	v_mbcnt_lo_u32_b32 v2, v0, 0
	v_mbcnt_hi_u32_b32 v20, v1, v2
	v_cmp_ne_u64_e64 s[16:17], 0, v[0:1]
	v_cmp_eq_u32_e64 s[18:19], 0, v20
	s_and_b64 s[18:19], s[18:19], s[16:17]
	; wave barrier
	s_and_saveexec_b64 s[16:17], s[18:19]
	s_cbranch_execz .LBB343_16
; %bb.15:                               ;   in Loop: Header=BB343_4 Depth=2
	v_bcnt_u32_b32 v0, v0, 0
	v_bcnt_u32_b32 v0, v1, v0
	s_waitcnt lgkmcnt(0)
	v_add_u32_e32 v0, v18, v0
	ds_write_b32 v19, v0 offset:4
.LBB343_16:                             ;   in Loop: Header=BB343_4 Depth=2
	s_or_b64 exec, exec, s[16:17]
	v_lshrrev_b32_e32 v1, s33, v53
	v_lshrrev_b32_e32 v0, s29, v54
	v_and_b32_e32 v1, s34, v1
	v_and_b32_e32 v0, s31, v0
	v_lshlrev_b32_e32 v1, s30, v1
	v_cndmask_b32_e64 v0, 0, v0, s[14:15]
	v_cndmask_b32_e32 v1, 0, v1, vcc
	v_or_b32_e32 v0, v0, v1
	v_and_b32_e32 v1, 1, v0
	v_add_co_u32_e64 v2, s[16:17], -1, v1
	v_addc_co_u32_e64 v3, s[16:17], 0, -1, s[16:17]
	v_cmp_ne_u32_e64 s[16:17], 0, v1
	v_lshlrev_b32_e32 v36, 30, v0
	v_xor_b32_e32 v1, s17, v3
	v_xor_b32_e32 v2, s16, v2
	v_cmp_gt_i64_e64 s[16:17], 0, v[35:36]
	v_not_b32_e32 v3, v36
	v_ashrrev_i32_e32 v3, 31, v3
	v_and_b32_e32 v2, exec_lo, v2
	v_xor_b32_e32 v23, s17, v3
	v_xor_b32_e32 v3, s16, v3
	v_lshlrev_b32_e32 v36, 29, v0
	v_and_b32_e32 v2, v2, v3
	v_cmp_gt_i64_e64 s[16:17], 0, v[35:36]
	v_not_b32_e32 v3, v36
	v_and_b32_e32 v1, exec_hi, v1
	v_ashrrev_i32_e32 v3, 31, v3
	v_and_b32_e32 v1, v1, v23
	v_xor_b32_e32 v23, s17, v3
	v_xor_b32_e32 v3, s16, v3
	v_lshlrev_b32_e32 v36, 28, v0
	v_and_b32_e32 v2, v2, v3
	v_cmp_gt_i64_e64 s[16:17], 0, v[35:36]
	v_not_b32_e32 v3, v36
	v_ashrrev_i32_e32 v3, 31, v3
	v_and_b32_e32 v1, v1, v23
	v_xor_b32_e32 v23, s17, v3
	v_xor_b32_e32 v3, s16, v3
	v_lshlrev_b32_e32 v36, 27, v0
	v_and_b32_e32 v2, v2, v3
	v_cmp_gt_i64_e64 s[16:17], 0, v[35:36]
	v_not_b32_e32 v3, v36
	;; [unrolled: 8-line block ×4, first 2 shown]
	v_ashrrev_i32_e32 v3, 31, v3
	v_lshlrev_b32_e32 v36, 24, v0
	v_lshl_add_u32 v22, v0, 2, v72
	v_and_b32_e32 v1, v1, v23
	v_xor_b32_e32 v23, s17, v3
	v_xor_b32_e32 v3, s16, v3
	v_cmp_gt_i64_e64 s[16:17], 0, v[35:36]
	v_not_b32_e32 v0, v36
	v_ashrrev_i32_e32 v0, 31, v0
	v_and_b32_e32 v2, v2, v3
	v_xor_b32_e32 v3, s17, v0
	v_xor_b32_e32 v0, s16, v0
	; wave barrier
	ds_read_b32 v21, v22 offset:4
	v_and_b32_e32 v1, v1, v23
	v_and_b32_e32 v0, v2, v0
	;; [unrolled: 1-line block ×3, first 2 shown]
	v_mbcnt_lo_u32_b32 v2, v0, 0
	v_mbcnt_hi_u32_b32 v23, v1, v2
	v_cmp_ne_u64_e64 s[16:17], 0, v[0:1]
	v_cmp_eq_u32_e64 s[18:19], 0, v23
	s_and_b64 s[18:19], s[18:19], s[16:17]
	; wave barrier
	s_and_saveexec_b64 s[16:17], s[18:19]
	s_cbranch_execz .LBB343_18
; %bb.17:                               ;   in Loop: Header=BB343_4 Depth=2
	v_bcnt_u32_b32 v0, v0, 0
	v_bcnt_u32_b32 v0, v1, v0
	s_waitcnt lgkmcnt(0)
	v_add_u32_e32 v0, v21, v0
	ds_write_b32 v22, v0 offset:4
.LBB343_18:                             ;   in Loop: Header=BB343_4 Depth=2
	s_or_b64 exec, exec, s[16:17]
	v_lshrrev_b32_e32 v1, s33, v51
	v_lshrrev_b32_e32 v0, s29, v52
	v_and_b32_e32 v1, s34, v1
	v_and_b32_e32 v0, s31, v0
	v_lshlrev_b32_e32 v1, s30, v1
	v_cndmask_b32_e64 v0, 0, v0, s[14:15]
	v_cndmask_b32_e32 v1, 0, v1, vcc
	v_or_b32_e32 v0, v0, v1
	v_and_b32_e32 v1, 1, v0
	v_add_co_u32_e32 v2, vcc, -1, v1
	v_addc_co_u32_e64 v3, s[14:15], 0, -1, vcc
	v_cmp_ne_u32_e32 vcc, 0, v1
	v_lshlrev_b32_e32 v36, 30, v0
	v_xor_b32_e32 v1, vcc_hi, v3
	v_xor_b32_e32 v2, vcc_lo, v2
	v_cmp_gt_i64_e32 vcc, 0, v[35:36]
	v_not_b32_e32 v3, v36
	v_ashrrev_i32_e32 v3, 31, v3
	v_and_b32_e32 v2, exec_lo, v2
	v_xor_b32_e32 v26, vcc_hi, v3
	v_xor_b32_e32 v3, vcc_lo, v3
	v_lshlrev_b32_e32 v36, 29, v0
	v_and_b32_e32 v2, v2, v3
	v_cmp_gt_i64_e32 vcc, 0, v[35:36]
	v_not_b32_e32 v3, v36
	v_and_b32_e32 v1, exec_hi, v1
	v_ashrrev_i32_e32 v3, 31, v3
	v_and_b32_e32 v1, v1, v26
	v_xor_b32_e32 v26, vcc_hi, v3
	v_xor_b32_e32 v3, vcc_lo, v3
	v_lshlrev_b32_e32 v36, 28, v0
	v_and_b32_e32 v2, v2, v3
	v_cmp_gt_i64_e32 vcc, 0, v[35:36]
	v_not_b32_e32 v3, v36
	v_ashrrev_i32_e32 v3, 31, v3
	v_and_b32_e32 v1, v1, v26
	v_xor_b32_e32 v26, vcc_hi, v3
	v_xor_b32_e32 v3, vcc_lo, v3
	v_lshlrev_b32_e32 v36, 27, v0
	v_and_b32_e32 v2, v2, v3
	v_cmp_gt_i64_e32 vcc, 0, v[35:36]
	v_not_b32_e32 v3, v36
	;; [unrolled: 8-line block ×4, first 2 shown]
	v_ashrrev_i32_e32 v3, 31, v3
	v_lshlrev_b32_e32 v36, 24, v0
	v_lshl_add_u32 v25, v0, 2, v72
	v_and_b32_e32 v1, v1, v26
	v_xor_b32_e32 v26, vcc_hi, v3
	v_xor_b32_e32 v3, vcc_lo, v3
	v_cmp_gt_i64_e32 vcc, 0, v[35:36]
	v_not_b32_e32 v0, v36
	v_ashrrev_i32_e32 v0, 31, v0
	v_and_b32_e32 v2, v2, v3
	v_xor_b32_e32 v3, vcc_hi, v0
	v_xor_b32_e32 v0, vcc_lo, v0
	; wave barrier
	ds_read_b32 v24, v25 offset:4
	v_and_b32_e32 v1, v1, v26
	v_and_b32_e32 v0, v2, v0
	;; [unrolled: 1-line block ×3, first 2 shown]
	v_mbcnt_lo_u32_b32 v2, v0, 0
	v_mbcnt_hi_u32_b32 v26, v1, v2
	v_cmp_ne_u64_e32 vcc, 0, v[0:1]
	v_cmp_eq_u32_e64 s[14:15], 0, v26
	s_and_b64 s[16:17], s[14:15], vcc
	; wave barrier
	s_and_saveexec_b64 s[14:15], s[16:17]
	s_cbranch_execz .LBB343_20
; %bb.19:                               ;   in Loop: Header=BB343_4 Depth=2
	v_bcnt_u32_b32 v0, v0, 0
	v_bcnt_u32_b32 v0, v1, v0
	s_waitcnt lgkmcnt(0)
	v_add_u32_e32 v0, v24, v0
	ds_write_b32 v25, v0 offset:4
.LBB343_20:                             ;   in Loop: Header=BB343_4 Depth=2
	s_or_b64 exec, exec, s[14:15]
	; wave barrier
	s_waitcnt lgkmcnt(0)
	; wave barrier
	ds_read2_b32 v[2:3], v68 offset0:1 offset1:2
	ds_read2_b32 v[0:1], v68 offset0:3 offset1:4
	s_waitcnt lgkmcnt(1)
	v_add_u32_e32 v27, v3, v2
	s_waitcnt lgkmcnt(0)
	v_add3_u32 v1, v27, v0, v1
	s_nop 1
	v_mov_b32_dpp v27, v1 row_shr:1 row_mask:0xf bank_mask:0xf
	v_cndmask_b32_e64 v27, v27, 0, s[4:5]
	v_add_u32_e32 v1, v27, v1
	s_nop 1
	v_mov_b32_dpp v27, v1 row_shr:2 row_mask:0xf bank_mask:0xf
	v_cndmask_b32_e64 v27, 0, v27, s[6:7]
	v_add_u32_e32 v1, v1, v27
	;; [unrolled: 4-line block ×4, first 2 shown]
	s_nop 1
	v_mov_b32_dpp v27, v1 row_bcast:15 row_mask:0xf bank_mask:0xf
	v_cndmask_b32_e64 v27, v27, 0, s[12:13]
	v_add_u32_e32 v1, v1, v27
	s_nop 1
	v_mov_b32_dpp v27, v1 row_bcast:31 row_mask:0xf bank_mask:0xf
	v_cndmask_b32_e64 v27, 0, v27, s[2:3]
	v_add_u32_e32 v1, v1, v27
	s_and_saveexec_b64 s[14:15], s[0:1]
; %bb.21:                               ;   in Loop: Header=BB343_4 Depth=2
	ds_write_b32 v35, v1
; %bb.22:                               ;   in Loop: Header=BB343_4 Depth=2
	s_or_b64 exec, exec, s[14:15]
	ds_bpermute_b32 v1, v71, v1
	s_waitcnt lgkmcnt(0)
	; wave barrier
	v_lshlrev_b32_e32 v5, 3, v5
	s_cmp_gt_u32 s29, 55
	v_cndmask_b32_e64 v1, v1, 0, s[20:21]
	v_add_u32_e32 v2, v1, v2
	v_add_u32_e32 v3, v2, v3
	;; [unrolled: 1-line block ×3, first 2 shown]
	ds_write2_b32 v68, v1, v2 offset0:1 offset1:2
	ds_write2_b32 v68, v3, v0 offset0:3 offset1:4
	s_waitcnt lgkmcnt(0)
	; wave barrier
	ds_read_b32 v0, v4 offset:4
	ds_read_b32 v1, v7 offset:4
	;; [unrolled: 1-line block ×8, first 2 shown]
	s_waitcnt lgkmcnt(7)
	v_lshl_add_u32 v34, v0, 3, v5
	v_lshlrev_b32_e32 v0, 3, v8
	v_lshlrev_b32_e32 v5, 3, v6
	s_waitcnt lgkmcnt(6)
	v_lshlrev_b32_e32 v1, 3, v1
	v_add3_u32 v36, v0, v5, v1
	v_lshlrev_b32_e32 v0, 3, v11
	v_lshlrev_b32_e32 v1, 3, v9
	s_waitcnt lgkmcnt(5)
	v_lshlrev_b32_e32 v2, 3, v2
	v_add3_u32 v74, v0, v1, v2
	;; [unrolled: 5-line block ×7, first 2 shown]
	s_mov_b64 s[14:15], -1
                                        ; implicit-def: $vgpr16_vgpr17
                                        ; implicit-def: $vgpr20_vgpr21
                                        ; implicit-def: $vgpr24_vgpr25
                                        ; implicit-def: $vgpr28_vgpr29
                                        ; implicit-def: $vgpr0_vgpr1
                                        ; implicit-def: $vgpr4_vgpr5
                                        ; implicit-def: $vgpr8_vgpr9
                                        ; implicit-def: $vgpr12_vgpr13
	s_cbranch_scc1 .LBB343_3
; %bb.23:                               ;   in Loop: Header=BB343_4 Depth=2
	; wave barrier
	ds_write_b64 v34, v[65:66]
	ds_write_b64 v36, v[63:64]
	ds_write_b64 v74, v[61:62]
	ds_write_b64 v75, v[59:60]
	ds_write_b64 v76, v[57:58]
	ds_write_b64 v77, v[55:56]
	ds_write_b64 v78, v[53:54]
	ds_write_b64 v79, v[51:52]
	s_waitcnt lgkmcnt(0)
	; wave barrier
	ds_read2st64_b64 v[0:3], v70 offset1:1
	ds_read2st64_b64 v[4:7], v70 offset0:2 offset1:3
	ds_read2st64_b64 v[8:11], v70 offset0:4 offset1:5
	;; [unrolled: 1-line block ×3, first 2 shown]
	s_waitcnt lgkmcnt(0)
	; wave barrier
	ds_write_b64 v34, v[49:50]
	ds_write_b64 v36, v[47:48]
	;; [unrolled: 1-line block ×8, first 2 shown]
	s_waitcnt lgkmcnt(0)
	; wave barrier
	ds_read2st64_b64 v[16:19], v70 offset1:1
	ds_read2st64_b64 v[20:23], v70 offset0:2 offset1:3
	ds_read2st64_b64 v[24:27], v70 offset0:4 offset1:5
	;; [unrolled: 1-line block ×3, first 2 shown]
	s_add_i32 s28, s28, -8
	s_add_i32 s26, s26, 8
	s_add_i32 s29, s29, 8
	s_mov_b64 s[14:15], 0
	s_waitcnt lgkmcnt(0)
	; wave barrier
	s_branch .LBB343_3
.LBB343_24:
	s_add_u32 s0, s22, s24
	s_waitcnt lgkmcnt(3)
	v_add_u32_e32 v0, v3, v19
	v_add_u32_e32 v1, v4, v20
	s_addc_u32 s1, s23, s25
	v_add_u32_e32 v2, v5, v21
	v_add_u32_e32 v3, v6, v22
	s_waitcnt lgkmcnt(2)
	v_add_u32_e32 v4, v7, v23
	v_add_u32_e32 v5, v8, v24
	v_add_u32_e32 v6, v9, v25
	v_add_u32_e32 v7, v10, v26
	s_waitcnt lgkmcnt(1)
	v_add_u32_e32 v8, v11, v27
	v_add_u32_e32 v9, v12, v28
	;; [unrolled: 5-line block ×3, first 2 shown]
	v_add_u32_e32 v14, v17, v33
	v_add_u32_e32 v15, v18, v34
	global_store_dwordx2 v67, v[0:1], s[0:1]
	global_store_dwordx2 v67, v[2:3], s[0:1] offset:512
	global_store_dwordx2 v67, v[4:5], s[0:1] offset:1024
	;; [unrolled: 1-line block ×7, first 2 shown]
	s_endpgm
	.section	.rodata,"a",@progbits
	.p2align	6, 0x0
	.amdhsa_kernel _Z17sort_pairs_kernelI22helper_blocked_stripedN15benchmark_utils11custom_typeIiiEELj64ELj8ELj10EEvPKT0_PS4_
		.amdhsa_group_segment_fixed_size 4096
		.amdhsa_private_segment_fixed_size 0
		.amdhsa_kernarg_size 272
		.amdhsa_user_sgpr_count 6
		.amdhsa_user_sgpr_private_segment_buffer 1
		.amdhsa_user_sgpr_dispatch_ptr 0
		.amdhsa_user_sgpr_queue_ptr 0
		.amdhsa_user_sgpr_kernarg_segment_ptr 1
		.amdhsa_user_sgpr_dispatch_id 0
		.amdhsa_user_sgpr_flat_scratch_init 0
		.amdhsa_user_sgpr_private_segment_size 0
		.amdhsa_uses_dynamic_stack 0
		.amdhsa_system_sgpr_private_segment_wavefront_offset 0
		.amdhsa_system_sgpr_workgroup_id_x 1
		.amdhsa_system_sgpr_workgroup_id_y 0
		.amdhsa_system_sgpr_workgroup_id_z 0
		.amdhsa_system_sgpr_workgroup_info 0
		.amdhsa_system_vgpr_workitem_id 2
		.amdhsa_next_free_vgpr 80
		.amdhsa_next_free_sgpr 98
		.amdhsa_reserve_vcc 1
		.amdhsa_reserve_flat_scratch 0
		.amdhsa_float_round_mode_32 0
		.amdhsa_float_round_mode_16_64 0
		.amdhsa_float_denorm_mode_32 3
		.amdhsa_float_denorm_mode_16_64 3
		.amdhsa_dx10_clamp 1
		.amdhsa_ieee_mode 1
		.amdhsa_fp16_overflow 0
		.amdhsa_exception_fp_ieee_invalid_op 0
		.amdhsa_exception_fp_denorm_src 0
		.amdhsa_exception_fp_ieee_div_zero 0
		.amdhsa_exception_fp_ieee_overflow 0
		.amdhsa_exception_fp_ieee_underflow 0
		.amdhsa_exception_fp_ieee_inexact 0
		.amdhsa_exception_int_div_zero 0
	.end_amdhsa_kernel
	.section	.text._Z17sort_pairs_kernelI22helper_blocked_stripedN15benchmark_utils11custom_typeIiiEELj64ELj8ELj10EEvPKT0_PS4_,"axG",@progbits,_Z17sort_pairs_kernelI22helper_blocked_stripedN15benchmark_utils11custom_typeIiiEELj64ELj8ELj10EEvPKT0_PS4_,comdat
.Lfunc_end343:
	.size	_Z17sort_pairs_kernelI22helper_blocked_stripedN15benchmark_utils11custom_typeIiiEELj64ELj8ELj10EEvPKT0_PS4_, .Lfunc_end343-_Z17sort_pairs_kernelI22helper_blocked_stripedN15benchmark_utils11custom_typeIiiEELj64ELj8ELj10EEvPKT0_PS4_
                                        ; -- End function
	.set _Z17sort_pairs_kernelI22helper_blocked_stripedN15benchmark_utils11custom_typeIiiEELj64ELj8ELj10EEvPKT0_PS4_.num_vgpr, 80
	.set _Z17sort_pairs_kernelI22helper_blocked_stripedN15benchmark_utils11custom_typeIiiEELj64ELj8ELj10EEvPKT0_PS4_.num_agpr, 0
	.set _Z17sort_pairs_kernelI22helper_blocked_stripedN15benchmark_utils11custom_typeIiiEELj64ELj8ELj10EEvPKT0_PS4_.numbered_sgpr, 35
	.set _Z17sort_pairs_kernelI22helper_blocked_stripedN15benchmark_utils11custom_typeIiiEELj64ELj8ELj10EEvPKT0_PS4_.num_named_barrier, 0
	.set _Z17sort_pairs_kernelI22helper_blocked_stripedN15benchmark_utils11custom_typeIiiEELj64ELj8ELj10EEvPKT0_PS4_.private_seg_size, 0
	.set _Z17sort_pairs_kernelI22helper_blocked_stripedN15benchmark_utils11custom_typeIiiEELj64ELj8ELj10EEvPKT0_PS4_.uses_vcc, 1
	.set _Z17sort_pairs_kernelI22helper_blocked_stripedN15benchmark_utils11custom_typeIiiEELj64ELj8ELj10EEvPKT0_PS4_.uses_flat_scratch, 0
	.set _Z17sort_pairs_kernelI22helper_blocked_stripedN15benchmark_utils11custom_typeIiiEELj64ELj8ELj10EEvPKT0_PS4_.has_dyn_sized_stack, 0
	.set _Z17sort_pairs_kernelI22helper_blocked_stripedN15benchmark_utils11custom_typeIiiEELj64ELj8ELj10EEvPKT0_PS4_.has_recursion, 0
	.set _Z17sort_pairs_kernelI22helper_blocked_stripedN15benchmark_utils11custom_typeIiiEELj64ELj8ELj10EEvPKT0_PS4_.has_indirect_call, 0
	.section	.AMDGPU.csdata,"",@progbits
; Kernel info:
; codeLenInByte = 5488
; TotalNumSgprs: 39
; NumVgprs: 80
; ScratchSize: 0
; MemoryBound: 0
; FloatMode: 240
; IeeeMode: 1
; LDSByteSize: 4096 bytes/workgroup (compile time only)
; SGPRBlocks: 12
; VGPRBlocks: 19
; NumSGPRsForWavesPerEU: 102
; NumVGPRsForWavesPerEU: 80
; Occupancy: 3
; WaveLimiterHint : 1
; COMPUTE_PGM_RSRC2:SCRATCH_EN: 0
; COMPUTE_PGM_RSRC2:USER_SGPR: 6
; COMPUTE_PGM_RSRC2:TRAP_HANDLER: 0
; COMPUTE_PGM_RSRC2:TGID_X_EN: 1
; COMPUTE_PGM_RSRC2:TGID_Y_EN: 0
; COMPUTE_PGM_RSRC2:TGID_Z_EN: 0
; COMPUTE_PGM_RSRC2:TIDIG_COMP_CNT: 2
	.section	.text._Z16sort_keys_kernelI22helper_blocked_stripedN15benchmark_utils11custom_typeIiiEELj128ELj1ELj10EEvPKT0_PS4_,"axG",@progbits,_Z16sort_keys_kernelI22helper_blocked_stripedN15benchmark_utils11custom_typeIiiEELj128ELj1ELj10EEvPKT0_PS4_,comdat
	.protected	_Z16sort_keys_kernelI22helper_blocked_stripedN15benchmark_utils11custom_typeIiiEELj128ELj1ELj10EEvPKT0_PS4_ ; -- Begin function _Z16sort_keys_kernelI22helper_blocked_stripedN15benchmark_utils11custom_typeIiiEELj128ELj1ELj10EEvPKT0_PS4_
	.globl	_Z16sort_keys_kernelI22helper_blocked_stripedN15benchmark_utils11custom_typeIiiEELj128ELj1ELj10EEvPKT0_PS4_
	.p2align	8
	.type	_Z16sort_keys_kernelI22helper_blocked_stripedN15benchmark_utils11custom_typeIiiEELj128ELj1ELj10EEvPKT0_PS4_,@function
_Z16sort_keys_kernelI22helper_blocked_stripedN15benchmark_utils11custom_typeIiiEELj128ELj1ELj10EEvPKT0_PS4_: ; @_Z16sort_keys_kernelI22helper_blocked_stripedN15benchmark_utils11custom_typeIiiEELj128ELj1ELj10EEvPKT0_PS4_
; %bb.0:
	s_load_dwordx4 s[24:27], s[4:5], 0x0
	s_load_dword s22, s[4:5], 0x1c
	s_lshl_b32 s30, s6, 7
	s_mov_b32 s31, 0
	s_lshl_b64 s[28:29], s[30:31], 3
	s_waitcnt lgkmcnt(0)
	s_add_u32 s0, s24, s28
	s_addc_u32 s1, s25, s29
	v_lshlrev_b32_e32 v3, 3, v0
	global_load_dwordx2 v[3:4], v3, s[0:1]
	v_mbcnt_lo_u32_b32 v6, -1, 0
	v_mbcnt_hi_u32_b32 v6, -1, v6
	s_lshr_b32 s23, s22, 16
	v_and_b32_e32 v7, 64, v0
	v_subrev_co_u32_e64 v24, s[6:7], 1, v6
	v_and_b32_e32 v25, 64, v6
	s_and_b32 s22, s22, 0xffff
	v_mad_u32_u24 v1, v2, s23, v1
	v_lshlrev_b32_e32 v21, 4, v0
	v_lshrrev_b32_e32 v8, 4, v0
	s_mov_b32 s34, s31
	v_and_b32_e32 v9, 15, v6
	v_and_b32_e32 v10, 16, v6
	v_or_b32_e32 v12, 63, v7
	s_mov_b32 s30, s31
	v_cmp_lt_i32_e64 s[20:21], v24, v25
	v_mad_u32_u24 v1, v1, s22, v0
	v_lshlrev_b32_e32 v11, 2, v0
	s_mov_b32 s35, s31
	v_and_b32_e32 v22, 4, v8
	v_mad_i32_i24 v23, v0, -12, v21
	v_and_b32_e32 v26, 1, v6
	v_lshlrev_b32_e32 v27, 3, v7
	v_mov_b32_e32 v7, s34
	v_cmp_eq_u32_e64 s[8:9], 0, v9
	v_cmp_lt_u32_e64 s[10:11], 1, v9
	v_cmp_lt_u32_e64 s[12:13], 3, v9
	;; [unrolled: 1-line block ×3, first 2 shown]
	v_cmp_eq_u32_e64 s[16:17], 0, v10
	v_cmp_eq_u32_e64 s[18:19], v0, v12
	v_cndmask_b32_e64 v12, v24, v6, s[20:21]
	v_mov_b32_e32 v9, s30
	v_lshrrev_b32_e32 v1, 4, v1
	v_mov_b32_e32 v5, 0
	s_mov_b32 s33, 10
	s_movk_i32 s36, 0xff
	v_mov_b32_e32 v13, 3
	v_mov_b32_e32 v14, 1
	;; [unrolled: 1-line block ×8, first 2 shown]
	v_cmp_gt_u32_e32 vcc, 2, v0
	v_cmp_lt_u32_e64 s[0:1], 63, v0
	v_cmp_eq_u32_e64 s[2:3], 0, v0
	v_cmp_lt_u32_e64 s[4:5], 31, v6
	v_mov_b32_e32 v8, s35
	v_cmp_eq_u32_e64 s[20:21], 0, v26
	v_add_u32_e32 v24, -4, v22
	v_lshl_add_u32 v25, v6, 3, v27
	v_mov_b32_e32 v10, s31
	v_add_u32_e32 v26, v23, v11
	v_lshlrev_b32_e32 v27, 2, v12
	v_and_b32_e32 v28, 0xffffffc, v1
	v_mov_b32_e32 v29, 24
	s_waitcnt vmcnt(0)
	v_xor_b32_e32 v11, 0x80000000, v3
	v_xor_b32_e32 v12, 0x80000000, v4
	s_branch .LBB344_2
.LBB344_1:                              ;   in Loop: Header=BB344_2 Depth=1
	s_or_b64 exec, exec, s[22:23]
	s_waitcnt lgkmcnt(0)
	v_add_u32_e32 v4, v31, v4
	ds_bpermute_b32 v4, v27, v4
	s_add_i32 s33, s33, -1
	s_cmp_eq_u32 s33, 0
	s_waitcnt lgkmcnt(0)
	v_cndmask_b32_e64 v4, v4, v31, s[6:7]
	v_cndmask_b32_e64 v31, v4, 0, s[2:3]
	v_add_u32_e32 v32, v31, v1
	v_add_u32_e32 v1, v32, v2
	;; [unrolled: 1-line block ×3, first 2 shown]
	ds_write2_b64 v21, v[31:32], v[1:2] offset0:1 offset1:2
	s_waitcnt lgkmcnt(0)
	s_barrier
	ds_read_b32 v1, v30 offset:8
	v_lshlrev_b32_e32 v2, 3, v6
	s_waitcnt lgkmcnt(0)
	s_barrier
	v_lshl_add_u32 v1, v1, 3, v2
	ds_write_b64 v1, v[11:12]
	s_waitcnt lgkmcnt(0)
	s_barrier
	ds_read_b64 v[11:12], v26
	s_cbranch_scc1 .LBB344_66
.LBB344_2:                              ; =>This Inner Loop Header: Depth=1
	s_waitcnt lgkmcnt(0)
	v_and_b32_e32 v1, 1, v12
	v_add_co_u32_e64 v2, s[22:23], -1, v1
	v_addc_co_u32_e64 v4, s[22:23], 0, -1, s[22:23]
	v_cmp_ne_u32_e64 s[22:23], 0, v1
	v_lshlrev_b32_e32 v6, 30, v12
	v_xor_b32_e32 v1, s23, v4
	v_xor_b32_e32 v2, s22, v2
	v_cmp_gt_i64_e64 s[22:23], 0, v[5:6]
	v_not_b32_e32 v4, v6
	v_ashrrev_i32_e32 v4, 31, v4
	v_and_b32_e32 v1, exec_hi, v1
	v_xor_b32_e32 v6, s23, v4
	v_and_b32_e32 v2, exec_lo, v2
	v_xor_b32_e32 v4, s22, v4
	v_and_b32_e32 v1, v1, v6
	v_lshlrev_b32_e32 v6, 29, v12
	v_and_b32_e32 v2, v2, v4
	v_cmp_gt_i64_e64 s[22:23], 0, v[5:6]
	v_not_b32_e32 v4, v6
	v_ashrrev_i32_e32 v4, 31, v4
	v_xor_b32_e32 v6, s23, v4
	v_xor_b32_e32 v4, s22, v4
	v_and_b32_e32 v1, v1, v6
	v_lshlrev_b32_e32 v6, 28, v12
	v_and_b32_e32 v2, v2, v4
	v_cmp_gt_i64_e64 s[22:23], 0, v[5:6]
	v_not_b32_e32 v4, v6
	v_ashrrev_i32_e32 v4, 31, v4
	v_xor_b32_e32 v6, s23, v4
	;; [unrolled: 8-line block ×6, first 2 shown]
	v_xor_b32_e32 v30, s22, v2
	v_and_b32_e32 v2, v1, v6
	v_and_b32_e32 v1, v4, v30
	v_mbcnt_lo_u32_b32 v4, v1, 0
	v_mbcnt_hi_u32_b32 v6, v2, v4
	v_cmp_ne_u64_e64 s[22:23], 0, v[1:2]
	v_lshlrev_b32_sdwa v3, v13, v12 dst_sel:DWORD dst_unused:UNUSED_PAD src0_sel:DWORD src1_sel:BYTE_0
	v_cmp_eq_u32_e64 s[24:25], 0, v6
	s_and_b64 s[24:25], s[24:25], s[22:23]
	v_add_u32_e32 v30, v28, v3
	ds_write2_b64 v21, v[9:10], v[7:8] offset0:1 offset1:2
	s_waitcnt lgkmcnt(0)
	s_barrier
	; wave barrier
	s_and_saveexec_b64 s[22:23], s[24:25]
; %bb.3:                                ;   in Loop: Header=BB344_2 Depth=1
	v_bcnt_u32_b32 v1, v1, 0
	v_bcnt_u32_b32 v1, v2, v1
	ds_write_b32 v30, v1 offset:8
; %bb.4:                                ;   in Loop: Header=BB344_2 Depth=1
	s_or_b64 exec, exec, s[22:23]
	; wave barrier
	s_waitcnt lgkmcnt(0)
	s_barrier
	ds_read2_b64 v[1:4], v21 offset0:1 offset1:2
	s_waitcnt lgkmcnt(0)
	v_add_u32_e32 v31, v2, v1
	v_add3_u32 v4, v31, v3, v4
	s_nop 1
	v_mov_b32_dpp v31, v4 row_shr:1 row_mask:0xf bank_mask:0xf
	v_cndmask_b32_e64 v31, v31, 0, s[8:9]
	v_add_u32_e32 v4, v31, v4
	s_nop 1
	v_mov_b32_dpp v31, v4 row_shr:2 row_mask:0xf bank_mask:0xf
	v_cndmask_b32_e64 v31, 0, v31, s[10:11]
	v_add_u32_e32 v4, v4, v31
	;; [unrolled: 4-line block ×4, first 2 shown]
	s_nop 1
	v_mov_b32_dpp v31, v4 row_bcast:15 row_mask:0xf bank_mask:0xf
	v_cndmask_b32_e64 v31, v31, 0, s[16:17]
	v_add_u32_e32 v4, v4, v31
	s_nop 1
	v_mov_b32_dpp v31, v4 row_bcast:31 row_mask:0xf bank_mask:0xf
	v_cndmask_b32_e64 v31, 0, v31, s[4:5]
	v_add_u32_e32 v4, v4, v31
	s_and_saveexec_b64 s[22:23], s[18:19]
; %bb.5:                                ;   in Loop: Header=BB344_2 Depth=1
	ds_write_b32 v22, v4
; %bb.6:                                ;   in Loop: Header=BB344_2 Depth=1
	s_or_b64 exec, exec, s[22:23]
	s_waitcnt lgkmcnt(0)
	s_barrier
	s_and_saveexec_b64 s[22:23], vcc
	s_cbranch_execz .LBB344_8
; %bb.7:                                ;   in Loop: Header=BB344_2 Depth=1
	ds_read_b32 v31, v23
	s_waitcnt lgkmcnt(0)
	s_nop 0
	v_mov_b32_dpp v32, v31 row_shr:1 row_mask:0xf bank_mask:0xf
	v_cndmask_b32_e64 v32, v32, 0, s[20:21]
	v_add_u32_e32 v31, v32, v31
	ds_write_b32 v23, v31
.LBB344_8:                              ;   in Loop: Header=BB344_2 Depth=1
	s_or_b64 exec, exec, s[22:23]
	v_mov_b32_e32 v31, 0
	s_waitcnt lgkmcnt(0)
	s_barrier
	s_and_saveexec_b64 s[22:23], s[0:1]
; %bb.9:                                ;   in Loop: Header=BB344_2 Depth=1
	ds_read_b32 v31, v24
; %bb.10:                               ;   in Loop: Header=BB344_2 Depth=1
	s_or_b64 exec, exec, s[22:23]
	s_waitcnt lgkmcnt(0)
	v_add_u32_e32 v4, v31, v4
	ds_bpermute_b32 v4, v27, v4
	s_waitcnt lgkmcnt(0)
	v_cndmask_b32_e64 v4, v4, v31, s[6:7]
	v_cndmask_b32_e64 v31, v4, 0, s[2:3]
	v_add_u32_e32 v32, v31, v1
	v_add_u32_e32 v1, v32, v2
	;; [unrolled: 1-line block ×3, first 2 shown]
	ds_write2_b64 v21, v[31:32], v[1:2] offset0:1 offset1:2
	s_waitcnt lgkmcnt(0)
	s_barrier
	ds_read_b32 v1, v30 offset:8
	v_lshlrev_b32_e32 v2, 3, v6
	s_waitcnt lgkmcnt(0)
	s_barrier
	v_lshl_add_u32 v1, v1, 3, v2
	ds_write_b64 v1, v[11:12]
	s_waitcnt lgkmcnt(0)
	s_barrier
	ds_read_b64 v[11:12], v25
	v_mov_b32_e32 v1, s30
	v_mov_b32_e32 v3, s34
	;; [unrolled: 1-line block ×4, first 2 shown]
	s_waitcnt lgkmcnt(0)
	s_barrier
	ds_write2_b64 v21, v[1:2], v[3:4] offset0:1 offset1:2
	v_lshrrev_b32_e32 v1, 8, v12
	v_and_b32_e32 v2, 1, v1
	v_add_co_u32_e64 v4, s[22:23], -1, v2
	v_addc_co_u32_e64 v6, s[22:23], 0, -1, s[22:23]
	v_cmp_ne_u32_e64 s[22:23], 0, v2
	v_xor_b32_e32 v2, s23, v6
	v_lshlrev_b32_e32 v6, 30, v1
	v_xor_b32_e32 v4, s22, v4
	v_cmp_gt_i64_e64 s[22:23], 0, v[5:6]
	v_not_b32_e32 v6, v6
	v_ashrrev_i32_e32 v6, 31, v6
	v_and_b32_e32 v4, exec_lo, v4
	v_xor_b32_e32 v30, s23, v6
	v_xor_b32_e32 v6, s22, v6
	v_and_b32_e32 v4, v4, v6
	v_lshlrev_b32_e32 v6, 29, v1
	v_cmp_gt_i64_e64 s[22:23], 0, v[5:6]
	v_not_b32_e32 v6, v6
	v_and_b32_e32 v2, exec_hi, v2
	v_ashrrev_i32_e32 v6, 31, v6
	v_and_b32_e32 v2, v2, v30
	v_xor_b32_e32 v30, s23, v6
	v_xor_b32_e32 v6, s22, v6
	v_and_b32_e32 v4, v4, v6
	v_lshlrev_b32_e32 v6, 28, v1
	v_cmp_gt_i64_e64 s[22:23], 0, v[5:6]
	v_not_b32_e32 v6, v6
	v_ashrrev_i32_e32 v6, 31, v6
	v_and_b32_e32 v2, v2, v30
	v_xor_b32_e32 v30, s23, v6
	v_xor_b32_e32 v6, s22, v6
	v_and_b32_e32 v4, v4, v6
	v_lshlrev_b32_e32 v6, 27, v1
	v_cmp_gt_i64_e64 s[22:23], 0, v[5:6]
	v_not_b32_e32 v6, v6
	;; [unrolled: 8-line block ×4, first 2 shown]
	v_ashrrev_i32_e32 v6, 31, v6
	v_and_b32_e32 v2, v2, v30
	v_xor_b32_e32 v30, s23, v6
	v_xor_b32_e32 v6, s22, v6
	v_and_b32_e32 v4, v4, v6
	v_lshlrev_b32_e32 v6, 24, v1
	v_lshlrev_b32_sdwa v3, v13, v1 dst_sel:DWORD dst_unused:UNUSED_PAD src0_sel:DWORD src1_sel:BYTE_0
	v_cmp_gt_i64_e64 s[22:23], 0, v[5:6]
	v_not_b32_e32 v1, v6
	v_ashrrev_i32_e32 v1, 31, v1
	v_xor_b32_e32 v6, s23, v1
	v_xor_b32_e32 v1, s22, v1
	v_and_b32_e32 v2, v2, v30
	v_and_b32_e32 v1, v4, v1
	;; [unrolled: 1-line block ×3, first 2 shown]
	v_mbcnt_lo_u32_b32 v4, v1, 0
	v_mbcnt_hi_u32_b32 v6, v2, v4
	v_cmp_ne_u64_e64 s[22:23], 0, v[1:2]
	v_cmp_eq_u32_e64 s[24:25], 0, v6
	s_and_b64 s[24:25], s[24:25], s[22:23]
	v_add_u32_e32 v30, v28, v3
	s_waitcnt lgkmcnt(0)
	s_barrier
	; wave barrier
	s_and_saveexec_b64 s[22:23], s[24:25]
; %bb.11:                               ;   in Loop: Header=BB344_2 Depth=1
	v_bcnt_u32_b32 v1, v1, 0
	v_bcnt_u32_b32 v1, v2, v1
	ds_write_b32 v30, v1 offset:8
; %bb.12:                               ;   in Loop: Header=BB344_2 Depth=1
	s_or_b64 exec, exec, s[22:23]
	; wave barrier
	s_waitcnt lgkmcnt(0)
	s_barrier
	ds_read2_b64 v[1:4], v21 offset0:1 offset1:2
	s_waitcnt lgkmcnt(0)
	v_add_u32_e32 v31, v2, v1
	v_add3_u32 v4, v31, v3, v4
	s_nop 1
	v_mov_b32_dpp v31, v4 row_shr:1 row_mask:0xf bank_mask:0xf
	v_cndmask_b32_e64 v31, v31, 0, s[8:9]
	v_add_u32_e32 v4, v31, v4
	s_nop 1
	v_mov_b32_dpp v31, v4 row_shr:2 row_mask:0xf bank_mask:0xf
	v_cndmask_b32_e64 v31, 0, v31, s[10:11]
	v_add_u32_e32 v4, v4, v31
	;; [unrolled: 4-line block ×4, first 2 shown]
	s_nop 1
	v_mov_b32_dpp v31, v4 row_bcast:15 row_mask:0xf bank_mask:0xf
	v_cndmask_b32_e64 v31, v31, 0, s[16:17]
	v_add_u32_e32 v4, v4, v31
	s_nop 1
	v_mov_b32_dpp v31, v4 row_bcast:31 row_mask:0xf bank_mask:0xf
	v_cndmask_b32_e64 v31, 0, v31, s[4:5]
	v_add_u32_e32 v4, v4, v31
	s_and_saveexec_b64 s[22:23], s[18:19]
; %bb.13:                               ;   in Loop: Header=BB344_2 Depth=1
	ds_write_b32 v22, v4
; %bb.14:                               ;   in Loop: Header=BB344_2 Depth=1
	s_or_b64 exec, exec, s[22:23]
	s_waitcnt lgkmcnt(0)
	s_barrier
	s_and_saveexec_b64 s[22:23], vcc
	s_cbranch_execz .LBB344_16
; %bb.15:                               ;   in Loop: Header=BB344_2 Depth=1
	ds_read_b32 v31, v23
	s_waitcnt lgkmcnt(0)
	s_nop 0
	v_mov_b32_dpp v32, v31 row_shr:1 row_mask:0xf bank_mask:0xf
	v_cndmask_b32_e64 v32, v32, 0, s[20:21]
	v_add_u32_e32 v31, v32, v31
	ds_write_b32 v23, v31
.LBB344_16:                             ;   in Loop: Header=BB344_2 Depth=1
	s_or_b64 exec, exec, s[22:23]
	v_mov_b32_e32 v31, 0
	s_waitcnt lgkmcnt(0)
	s_barrier
	s_and_saveexec_b64 s[22:23], s[0:1]
; %bb.17:                               ;   in Loop: Header=BB344_2 Depth=1
	ds_read_b32 v31, v24
; %bb.18:                               ;   in Loop: Header=BB344_2 Depth=1
	s_or_b64 exec, exec, s[22:23]
	s_waitcnt lgkmcnt(0)
	v_add_u32_e32 v4, v31, v4
	ds_bpermute_b32 v4, v27, v4
	s_waitcnt lgkmcnt(0)
	v_cndmask_b32_e64 v4, v4, v31, s[6:7]
	v_cndmask_b32_e64 v31, v4, 0, s[2:3]
	v_add_u32_e32 v32, v31, v1
	v_add_u32_e32 v1, v32, v2
	;; [unrolled: 1-line block ×3, first 2 shown]
	ds_write2_b64 v21, v[31:32], v[1:2] offset0:1 offset1:2
	s_waitcnt lgkmcnt(0)
	s_barrier
	ds_read_b32 v1, v30 offset:8
	v_lshlrev_b32_e32 v2, 3, v6
	s_waitcnt lgkmcnt(0)
	s_barrier
	v_lshl_add_u32 v1, v1, 3, v2
	ds_write_b64 v1, v[11:12]
	s_waitcnt lgkmcnt(0)
	s_barrier
	ds_read_b64 v[11:12], v25
	v_mov_b32_e32 v1, s30
	v_mov_b32_e32 v3, s34
	;; [unrolled: 1-line block ×4, first 2 shown]
	s_waitcnt lgkmcnt(0)
	s_barrier
	ds_write2_b64 v21, v[1:2], v[3:4] offset0:1 offset1:2
	v_and_b32_sdwa v1, v12, s36 dst_sel:DWORD dst_unused:UNUSED_PAD src0_sel:WORD_1 src1_sel:DWORD
	v_lshlrev_b32_e32 v3, 3, v1
	v_and_b32_sdwa v1, v12, v14 dst_sel:DWORD dst_unused:UNUSED_PAD src0_sel:WORD_1 src1_sel:DWORD
	v_add_co_u32_e64 v2, s[22:23], -1, v1
	v_addc_co_u32_e64 v4, s[22:23], 0, -1, s[22:23]
	v_cmp_ne_u32_e64 s[22:23], 0, v1
	v_lshlrev_b32_sdwa v6, v15, v12 dst_sel:DWORD dst_unused:UNUSED_PAD src0_sel:DWORD src1_sel:WORD_1
	v_xor_b32_e32 v1, s23, v4
	v_xor_b32_e32 v2, s22, v2
	v_cmp_gt_i64_e64 s[22:23], 0, v[5:6]
	v_not_b32_e32 v4, v6
	v_ashrrev_i32_e32 v4, 31, v4
	v_and_b32_e32 v1, exec_hi, v1
	v_xor_b32_e32 v6, s23, v4
	v_and_b32_e32 v2, exec_lo, v2
	v_xor_b32_e32 v4, s22, v4
	v_and_b32_e32 v1, v1, v6
	v_lshlrev_b32_sdwa v6, v16, v12 dst_sel:DWORD dst_unused:UNUSED_PAD src0_sel:DWORD src1_sel:WORD_1
	v_and_b32_e32 v2, v2, v4
	v_cmp_gt_i64_e64 s[22:23], 0, v[5:6]
	v_not_b32_e32 v4, v6
	v_ashrrev_i32_e32 v4, 31, v4
	v_xor_b32_e32 v6, s23, v4
	v_xor_b32_e32 v4, s22, v4
	v_and_b32_e32 v1, v1, v6
	v_lshlrev_b32_sdwa v6, v17, v12 dst_sel:DWORD dst_unused:UNUSED_PAD src0_sel:DWORD src1_sel:WORD_1
	v_and_b32_e32 v2, v2, v4
	v_cmp_gt_i64_e64 s[22:23], 0, v[5:6]
	v_not_b32_e32 v4, v6
	v_ashrrev_i32_e32 v4, 31, v4
	v_xor_b32_e32 v6, s23, v4
	v_xor_b32_e32 v4, s22, v4
	v_and_b32_e32 v1, v1, v6
	v_lshlrev_b32_sdwa v6, v18, v12 dst_sel:DWORD dst_unused:UNUSED_PAD src0_sel:DWORD src1_sel:WORD_1
	v_and_b32_e32 v2, v2, v4
	v_cmp_gt_i64_e64 s[22:23], 0, v[5:6]
	v_not_b32_e32 v4, v6
	v_ashrrev_i32_e32 v4, 31, v4
	v_xor_b32_e32 v6, s23, v4
	v_xor_b32_e32 v4, s22, v4
	v_and_b32_e32 v1, v1, v6
	v_lshlrev_b32_sdwa v6, v19, v12 dst_sel:DWORD dst_unused:UNUSED_PAD src0_sel:DWORD src1_sel:WORD_1
	v_and_b32_e32 v2, v2, v4
	v_cmp_gt_i64_e64 s[22:23], 0, v[5:6]
	v_not_b32_e32 v4, v6
	v_ashrrev_i32_e32 v4, 31, v4
	v_xor_b32_e32 v6, s23, v4
	v_xor_b32_e32 v4, s22, v4
	v_and_b32_e32 v1, v1, v6
	v_lshlrev_b32_sdwa v6, v20, v12 dst_sel:DWORD dst_unused:UNUSED_PAD src0_sel:DWORD src1_sel:WORD_1
	v_and_b32_e32 v2, v2, v4
	v_cmp_gt_i64_e64 s[22:23], 0, v[5:6]
	v_not_b32_e32 v4, v6
	v_ashrrev_i32_e32 v4, 31, v4
	v_xor_b32_e32 v6, s23, v4
	v_xor_b32_e32 v4, s22, v4
	v_and_b32_e32 v1, v1, v6
	v_lshlrev_b32_sdwa v6, v29, v12 dst_sel:DWORD dst_unused:UNUSED_PAD src0_sel:DWORD src1_sel:WORD_1
	v_and_b32_e32 v4, v2, v4
	v_cmp_gt_i64_e64 s[22:23], 0, v[5:6]
	v_not_b32_e32 v2, v6
	v_ashrrev_i32_e32 v2, 31, v2
	v_xor_b32_e32 v6, s23, v2
	v_xor_b32_e32 v30, s22, v2
	v_and_b32_e32 v2, v1, v6
	v_and_b32_e32 v1, v4, v30
	v_mbcnt_lo_u32_b32 v4, v1, 0
	v_mbcnt_hi_u32_b32 v6, v2, v4
	v_cmp_ne_u64_e64 s[22:23], 0, v[1:2]
	v_cmp_eq_u32_e64 s[24:25], 0, v6
	s_and_b64 s[24:25], s[24:25], s[22:23]
	v_add_u32_e32 v30, v28, v3
	s_waitcnt lgkmcnt(0)
	s_barrier
	; wave barrier
	s_and_saveexec_b64 s[22:23], s[24:25]
; %bb.19:                               ;   in Loop: Header=BB344_2 Depth=1
	v_bcnt_u32_b32 v1, v1, 0
	v_bcnt_u32_b32 v1, v2, v1
	ds_write_b32 v30, v1 offset:8
; %bb.20:                               ;   in Loop: Header=BB344_2 Depth=1
	s_or_b64 exec, exec, s[22:23]
	; wave barrier
	s_waitcnt lgkmcnt(0)
	s_barrier
	ds_read2_b64 v[1:4], v21 offset0:1 offset1:2
	s_waitcnt lgkmcnt(0)
	v_add_u32_e32 v31, v2, v1
	v_add3_u32 v4, v31, v3, v4
	s_nop 1
	v_mov_b32_dpp v31, v4 row_shr:1 row_mask:0xf bank_mask:0xf
	v_cndmask_b32_e64 v31, v31, 0, s[8:9]
	v_add_u32_e32 v4, v31, v4
	s_nop 1
	v_mov_b32_dpp v31, v4 row_shr:2 row_mask:0xf bank_mask:0xf
	v_cndmask_b32_e64 v31, 0, v31, s[10:11]
	v_add_u32_e32 v4, v4, v31
	;; [unrolled: 4-line block ×4, first 2 shown]
	s_nop 1
	v_mov_b32_dpp v31, v4 row_bcast:15 row_mask:0xf bank_mask:0xf
	v_cndmask_b32_e64 v31, v31, 0, s[16:17]
	v_add_u32_e32 v4, v4, v31
	s_nop 1
	v_mov_b32_dpp v31, v4 row_bcast:31 row_mask:0xf bank_mask:0xf
	v_cndmask_b32_e64 v31, 0, v31, s[4:5]
	v_add_u32_e32 v4, v4, v31
	s_and_saveexec_b64 s[22:23], s[18:19]
; %bb.21:                               ;   in Loop: Header=BB344_2 Depth=1
	ds_write_b32 v22, v4
; %bb.22:                               ;   in Loop: Header=BB344_2 Depth=1
	s_or_b64 exec, exec, s[22:23]
	s_waitcnt lgkmcnt(0)
	s_barrier
	s_and_saveexec_b64 s[22:23], vcc
	s_cbranch_execz .LBB344_24
; %bb.23:                               ;   in Loop: Header=BB344_2 Depth=1
	ds_read_b32 v31, v23
	s_waitcnt lgkmcnt(0)
	s_nop 0
	v_mov_b32_dpp v32, v31 row_shr:1 row_mask:0xf bank_mask:0xf
	v_cndmask_b32_e64 v32, v32, 0, s[20:21]
	v_add_u32_e32 v31, v32, v31
	ds_write_b32 v23, v31
.LBB344_24:                             ;   in Loop: Header=BB344_2 Depth=1
	s_or_b64 exec, exec, s[22:23]
	v_mov_b32_e32 v31, 0
	s_waitcnt lgkmcnt(0)
	s_barrier
	s_and_saveexec_b64 s[22:23], s[0:1]
; %bb.25:                               ;   in Loop: Header=BB344_2 Depth=1
	ds_read_b32 v31, v24
; %bb.26:                               ;   in Loop: Header=BB344_2 Depth=1
	s_or_b64 exec, exec, s[22:23]
	s_waitcnt lgkmcnt(0)
	v_add_u32_e32 v4, v31, v4
	ds_bpermute_b32 v4, v27, v4
	s_waitcnt lgkmcnt(0)
	v_cndmask_b32_e64 v4, v4, v31, s[6:7]
	v_cndmask_b32_e64 v31, v4, 0, s[2:3]
	v_add_u32_e32 v32, v31, v1
	v_add_u32_e32 v1, v32, v2
	;; [unrolled: 1-line block ×3, first 2 shown]
	ds_write2_b64 v21, v[31:32], v[1:2] offset0:1 offset1:2
	s_waitcnt lgkmcnt(0)
	s_barrier
	ds_read_b32 v1, v30 offset:8
	v_lshlrev_b32_e32 v2, 3, v6
	s_waitcnt lgkmcnt(0)
	s_barrier
	v_lshl_add_u32 v1, v1, 3, v2
	ds_write_b64 v1, v[11:12]
	s_waitcnt lgkmcnt(0)
	s_barrier
	ds_read_b64 v[11:12], v25
	v_mov_b32_e32 v1, s30
	v_mov_b32_e32 v3, s34
	;; [unrolled: 1-line block ×4, first 2 shown]
	s_waitcnt lgkmcnt(0)
	s_barrier
	ds_write2_b64 v21, v[1:2], v[3:4] offset0:1 offset1:2
	v_and_b32_sdwa v1, v12, v14 dst_sel:DWORD dst_unused:UNUSED_PAD src0_sel:BYTE_3 src1_sel:DWORD
	v_add_co_u32_e64 v2, s[22:23], -1, v1
	v_addc_co_u32_e64 v4, s[22:23], 0, -1, s[22:23]
	v_cmp_ne_u32_e64 s[22:23], 0, v1
	v_lshlrev_b32_sdwa v6, v15, v12 dst_sel:DWORD dst_unused:UNUSED_PAD src0_sel:DWORD src1_sel:BYTE_3
	v_xor_b32_e32 v1, s23, v4
	v_xor_b32_e32 v2, s22, v2
	v_cmp_gt_i64_e64 s[22:23], 0, v[5:6]
	v_not_b32_e32 v4, v6
	v_ashrrev_i32_e32 v4, 31, v4
	v_and_b32_e32 v1, exec_hi, v1
	v_xor_b32_e32 v6, s23, v4
	v_and_b32_e32 v2, exec_lo, v2
	v_xor_b32_e32 v4, s22, v4
	v_and_b32_e32 v1, v1, v6
	v_lshlrev_b32_sdwa v6, v16, v12 dst_sel:DWORD dst_unused:UNUSED_PAD src0_sel:DWORD src1_sel:BYTE_3
	v_and_b32_e32 v2, v2, v4
	v_cmp_gt_i64_e64 s[22:23], 0, v[5:6]
	v_not_b32_e32 v4, v6
	v_ashrrev_i32_e32 v4, 31, v4
	v_xor_b32_e32 v6, s23, v4
	v_xor_b32_e32 v4, s22, v4
	v_and_b32_e32 v1, v1, v6
	v_lshlrev_b32_sdwa v6, v17, v12 dst_sel:DWORD dst_unused:UNUSED_PAD src0_sel:DWORD src1_sel:BYTE_3
	v_and_b32_e32 v2, v2, v4
	v_cmp_gt_i64_e64 s[22:23], 0, v[5:6]
	v_not_b32_e32 v4, v6
	v_ashrrev_i32_e32 v4, 31, v4
	v_xor_b32_e32 v6, s23, v4
	;; [unrolled: 8-line block ×6, first 2 shown]
	v_xor_b32_e32 v30, s22, v2
	v_and_b32_e32 v2, v1, v6
	v_and_b32_e32 v1, v4, v30
	v_mbcnt_lo_u32_b32 v4, v1, 0
	v_mbcnt_hi_u32_b32 v6, v2, v4
	v_cmp_ne_u64_e64 s[22:23], 0, v[1:2]
	v_lshlrev_b32_sdwa v3, v13, v12 dst_sel:DWORD dst_unused:UNUSED_PAD src0_sel:DWORD src1_sel:BYTE_3
	v_cmp_eq_u32_e64 s[24:25], 0, v6
	s_and_b64 s[24:25], s[24:25], s[22:23]
	v_add_u32_e32 v30, v28, v3
	s_waitcnt lgkmcnt(0)
	s_barrier
	; wave barrier
	s_and_saveexec_b64 s[22:23], s[24:25]
; %bb.27:                               ;   in Loop: Header=BB344_2 Depth=1
	v_bcnt_u32_b32 v1, v1, 0
	v_bcnt_u32_b32 v1, v2, v1
	ds_write_b32 v30, v1 offset:8
; %bb.28:                               ;   in Loop: Header=BB344_2 Depth=1
	s_or_b64 exec, exec, s[22:23]
	; wave barrier
	s_waitcnt lgkmcnt(0)
	s_barrier
	ds_read2_b64 v[1:4], v21 offset0:1 offset1:2
	s_waitcnt lgkmcnt(0)
	v_add_u32_e32 v31, v2, v1
	v_add3_u32 v4, v31, v3, v4
	s_nop 1
	v_mov_b32_dpp v31, v4 row_shr:1 row_mask:0xf bank_mask:0xf
	v_cndmask_b32_e64 v31, v31, 0, s[8:9]
	v_add_u32_e32 v4, v31, v4
	s_nop 1
	v_mov_b32_dpp v31, v4 row_shr:2 row_mask:0xf bank_mask:0xf
	v_cndmask_b32_e64 v31, 0, v31, s[10:11]
	v_add_u32_e32 v4, v4, v31
	;; [unrolled: 4-line block ×4, first 2 shown]
	s_nop 1
	v_mov_b32_dpp v31, v4 row_bcast:15 row_mask:0xf bank_mask:0xf
	v_cndmask_b32_e64 v31, v31, 0, s[16:17]
	v_add_u32_e32 v4, v4, v31
	s_nop 1
	v_mov_b32_dpp v31, v4 row_bcast:31 row_mask:0xf bank_mask:0xf
	v_cndmask_b32_e64 v31, 0, v31, s[4:5]
	v_add_u32_e32 v4, v4, v31
	s_and_saveexec_b64 s[22:23], s[18:19]
; %bb.29:                               ;   in Loop: Header=BB344_2 Depth=1
	ds_write_b32 v22, v4
; %bb.30:                               ;   in Loop: Header=BB344_2 Depth=1
	s_or_b64 exec, exec, s[22:23]
	s_waitcnt lgkmcnt(0)
	s_barrier
	s_and_saveexec_b64 s[22:23], vcc
	s_cbranch_execz .LBB344_32
; %bb.31:                               ;   in Loop: Header=BB344_2 Depth=1
	ds_read_b32 v31, v23
	s_waitcnt lgkmcnt(0)
	s_nop 0
	v_mov_b32_dpp v32, v31 row_shr:1 row_mask:0xf bank_mask:0xf
	v_cndmask_b32_e64 v32, v32, 0, s[20:21]
	v_add_u32_e32 v31, v32, v31
	ds_write_b32 v23, v31
.LBB344_32:                             ;   in Loop: Header=BB344_2 Depth=1
	s_or_b64 exec, exec, s[22:23]
	v_mov_b32_e32 v31, 0
	s_waitcnt lgkmcnt(0)
	s_barrier
	s_and_saveexec_b64 s[22:23], s[0:1]
; %bb.33:                               ;   in Loop: Header=BB344_2 Depth=1
	ds_read_b32 v31, v24
; %bb.34:                               ;   in Loop: Header=BB344_2 Depth=1
	s_or_b64 exec, exec, s[22:23]
	s_waitcnt lgkmcnt(0)
	v_add_u32_e32 v4, v31, v4
	ds_bpermute_b32 v4, v27, v4
	s_waitcnt lgkmcnt(0)
	v_cndmask_b32_e64 v4, v4, v31, s[6:7]
	v_cndmask_b32_e64 v31, v4, 0, s[2:3]
	v_add_u32_e32 v32, v31, v1
	v_add_u32_e32 v1, v32, v2
	v_add_u32_e32 v2, v1, v3
	ds_write2_b64 v21, v[31:32], v[1:2] offset0:1 offset1:2
	s_waitcnt lgkmcnt(0)
	s_barrier
	ds_read_b32 v1, v30 offset:8
	v_lshlrev_b32_e32 v2, 3, v6
	s_waitcnt lgkmcnt(0)
	s_barrier
	v_lshl_add_u32 v1, v1, 3, v2
	ds_write_b64 v1, v[11:12]
	s_waitcnt lgkmcnt(0)
	s_barrier
	ds_read_b64 v[11:12], v25
	v_mov_b32_e32 v1, s30
	v_mov_b32_e32 v3, s34
	;; [unrolled: 1-line block ×4, first 2 shown]
	s_waitcnt lgkmcnt(0)
	s_barrier
	ds_write2_b64 v21, v[1:2], v[3:4] offset0:1 offset1:2
	v_and_b32_e32 v1, 1, v11
	v_add_co_u32_e64 v2, s[22:23], -1, v1
	v_addc_co_u32_e64 v4, s[22:23], 0, -1, s[22:23]
	v_cmp_ne_u32_e64 s[22:23], 0, v1
	v_lshlrev_b32_e32 v6, 30, v11
	v_xor_b32_e32 v1, s23, v4
	v_xor_b32_e32 v2, s22, v2
	v_cmp_gt_i64_e64 s[22:23], 0, v[5:6]
	v_not_b32_e32 v4, v6
	v_ashrrev_i32_e32 v4, 31, v4
	v_and_b32_e32 v1, exec_hi, v1
	v_xor_b32_e32 v6, s23, v4
	v_and_b32_e32 v2, exec_lo, v2
	v_xor_b32_e32 v4, s22, v4
	v_and_b32_e32 v1, v1, v6
	v_lshlrev_b32_e32 v6, 29, v11
	v_and_b32_e32 v2, v2, v4
	v_cmp_gt_i64_e64 s[22:23], 0, v[5:6]
	v_not_b32_e32 v4, v6
	v_ashrrev_i32_e32 v4, 31, v4
	v_xor_b32_e32 v6, s23, v4
	v_xor_b32_e32 v4, s22, v4
	v_and_b32_e32 v1, v1, v6
	v_lshlrev_b32_e32 v6, 28, v11
	v_and_b32_e32 v2, v2, v4
	v_cmp_gt_i64_e64 s[22:23], 0, v[5:6]
	v_not_b32_e32 v4, v6
	v_ashrrev_i32_e32 v4, 31, v4
	v_xor_b32_e32 v6, s23, v4
	;; [unrolled: 8-line block ×6, first 2 shown]
	v_xor_b32_e32 v30, s22, v2
	v_and_b32_e32 v2, v1, v6
	v_and_b32_e32 v1, v4, v30
	v_mbcnt_lo_u32_b32 v4, v1, 0
	v_mbcnt_hi_u32_b32 v6, v2, v4
	v_cmp_ne_u64_e64 s[22:23], 0, v[1:2]
	v_lshlrev_b32_sdwa v3, v13, v11 dst_sel:DWORD dst_unused:UNUSED_PAD src0_sel:DWORD src1_sel:BYTE_0
	v_cmp_eq_u32_e64 s[24:25], 0, v6
	s_and_b64 s[24:25], s[24:25], s[22:23]
	v_add_u32_e32 v30, v28, v3
	s_waitcnt lgkmcnt(0)
	s_barrier
	; wave barrier
	s_and_saveexec_b64 s[22:23], s[24:25]
; %bb.35:                               ;   in Loop: Header=BB344_2 Depth=1
	v_bcnt_u32_b32 v1, v1, 0
	v_bcnt_u32_b32 v1, v2, v1
	ds_write_b32 v30, v1 offset:8
; %bb.36:                               ;   in Loop: Header=BB344_2 Depth=1
	s_or_b64 exec, exec, s[22:23]
	; wave barrier
	s_waitcnt lgkmcnt(0)
	s_barrier
	ds_read2_b64 v[1:4], v21 offset0:1 offset1:2
	s_waitcnt lgkmcnt(0)
	v_add_u32_e32 v31, v2, v1
	v_add3_u32 v4, v31, v3, v4
	s_nop 1
	v_mov_b32_dpp v31, v4 row_shr:1 row_mask:0xf bank_mask:0xf
	v_cndmask_b32_e64 v31, v31, 0, s[8:9]
	v_add_u32_e32 v4, v31, v4
	s_nop 1
	v_mov_b32_dpp v31, v4 row_shr:2 row_mask:0xf bank_mask:0xf
	v_cndmask_b32_e64 v31, 0, v31, s[10:11]
	v_add_u32_e32 v4, v4, v31
	;; [unrolled: 4-line block ×4, first 2 shown]
	s_nop 1
	v_mov_b32_dpp v31, v4 row_bcast:15 row_mask:0xf bank_mask:0xf
	v_cndmask_b32_e64 v31, v31, 0, s[16:17]
	v_add_u32_e32 v4, v4, v31
	s_nop 1
	v_mov_b32_dpp v31, v4 row_bcast:31 row_mask:0xf bank_mask:0xf
	v_cndmask_b32_e64 v31, 0, v31, s[4:5]
	v_add_u32_e32 v4, v4, v31
	s_and_saveexec_b64 s[22:23], s[18:19]
; %bb.37:                               ;   in Loop: Header=BB344_2 Depth=1
	ds_write_b32 v22, v4
; %bb.38:                               ;   in Loop: Header=BB344_2 Depth=1
	s_or_b64 exec, exec, s[22:23]
	s_waitcnt lgkmcnt(0)
	s_barrier
	s_and_saveexec_b64 s[22:23], vcc
	s_cbranch_execz .LBB344_40
; %bb.39:                               ;   in Loop: Header=BB344_2 Depth=1
	ds_read_b32 v31, v23
	s_waitcnt lgkmcnt(0)
	s_nop 0
	v_mov_b32_dpp v32, v31 row_shr:1 row_mask:0xf bank_mask:0xf
	v_cndmask_b32_e64 v32, v32, 0, s[20:21]
	v_add_u32_e32 v31, v32, v31
	ds_write_b32 v23, v31
.LBB344_40:                             ;   in Loop: Header=BB344_2 Depth=1
	s_or_b64 exec, exec, s[22:23]
	v_mov_b32_e32 v31, 0
	s_waitcnt lgkmcnt(0)
	s_barrier
	s_and_saveexec_b64 s[22:23], s[0:1]
; %bb.41:                               ;   in Loop: Header=BB344_2 Depth=1
	ds_read_b32 v31, v24
; %bb.42:                               ;   in Loop: Header=BB344_2 Depth=1
	s_or_b64 exec, exec, s[22:23]
	s_waitcnt lgkmcnt(0)
	v_add_u32_e32 v4, v31, v4
	ds_bpermute_b32 v4, v27, v4
	s_waitcnt lgkmcnt(0)
	v_cndmask_b32_e64 v4, v4, v31, s[6:7]
	v_cndmask_b32_e64 v31, v4, 0, s[2:3]
	v_add_u32_e32 v32, v31, v1
	v_add_u32_e32 v1, v32, v2
	;; [unrolled: 1-line block ×3, first 2 shown]
	ds_write2_b64 v21, v[31:32], v[1:2] offset0:1 offset1:2
	s_waitcnt lgkmcnt(0)
	s_barrier
	ds_read_b32 v1, v30 offset:8
	v_lshlrev_b32_e32 v2, 3, v6
	s_waitcnt lgkmcnt(0)
	s_barrier
	v_lshl_add_u32 v1, v1, 3, v2
	ds_write_b64 v1, v[11:12]
	s_waitcnt lgkmcnt(0)
	s_barrier
	ds_read_b64 v[11:12], v25
	v_mov_b32_e32 v1, s30
	v_mov_b32_e32 v3, s34
	;; [unrolled: 1-line block ×4, first 2 shown]
	s_waitcnt lgkmcnt(0)
	s_barrier
	ds_write2_b64 v21, v[1:2], v[3:4] offset0:1 offset1:2
	v_lshrrev_b32_e32 v1, 8, v11
	v_and_b32_e32 v2, 1, v1
	v_add_co_u32_e64 v4, s[22:23], -1, v2
	v_addc_co_u32_e64 v6, s[22:23], 0, -1, s[22:23]
	v_cmp_ne_u32_e64 s[22:23], 0, v2
	v_xor_b32_e32 v2, s23, v6
	v_lshlrev_b32_e32 v6, 30, v1
	v_xor_b32_e32 v4, s22, v4
	v_cmp_gt_i64_e64 s[22:23], 0, v[5:6]
	v_not_b32_e32 v6, v6
	v_ashrrev_i32_e32 v6, 31, v6
	v_and_b32_e32 v4, exec_lo, v4
	v_xor_b32_e32 v30, s23, v6
	v_xor_b32_e32 v6, s22, v6
	v_and_b32_e32 v4, v4, v6
	v_lshlrev_b32_e32 v6, 29, v1
	v_cmp_gt_i64_e64 s[22:23], 0, v[5:6]
	v_not_b32_e32 v6, v6
	v_and_b32_e32 v2, exec_hi, v2
	v_ashrrev_i32_e32 v6, 31, v6
	v_and_b32_e32 v2, v2, v30
	v_xor_b32_e32 v30, s23, v6
	v_xor_b32_e32 v6, s22, v6
	v_and_b32_e32 v4, v4, v6
	v_lshlrev_b32_e32 v6, 28, v1
	v_cmp_gt_i64_e64 s[22:23], 0, v[5:6]
	v_not_b32_e32 v6, v6
	v_ashrrev_i32_e32 v6, 31, v6
	v_and_b32_e32 v2, v2, v30
	v_xor_b32_e32 v30, s23, v6
	v_xor_b32_e32 v6, s22, v6
	v_and_b32_e32 v4, v4, v6
	v_lshlrev_b32_e32 v6, 27, v1
	v_cmp_gt_i64_e64 s[22:23], 0, v[5:6]
	v_not_b32_e32 v6, v6
	;; [unrolled: 8-line block ×4, first 2 shown]
	v_ashrrev_i32_e32 v6, 31, v6
	v_and_b32_e32 v2, v2, v30
	v_xor_b32_e32 v30, s23, v6
	v_xor_b32_e32 v6, s22, v6
	v_and_b32_e32 v4, v4, v6
	v_lshlrev_b32_e32 v6, 24, v1
	v_lshlrev_b32_sdwa v3, v13, v1 dst_sel:DWORD dst_unused:UNUSED_PAD src0_sel:DWORD src1_sel:BYTE_0
	v_cmp_gt_i64_e64 s[22:23], 0, v[5:6]
	v_not_b32_e32 v1, v6
	v_ashrrev_i32_e32 v1, 31, v1
	v_xor_b32_e32 v6, s23, v1
	v_xor_b32_e32 v1, s22, v1
	v_and_b32_e32 v2, v2, v30
	v_and_b32_e32 v1, v4, v1
	;; [unrolled: 1-line block ×3, first 2 shown]
	v_mbcnt_lo_u32_b32 v4, v1, 0
	v_mbcnt_hi_u32_b32 v6, v2, v4
	v_cmp_ne_u64_e64 s[22:23], 0, v[1:2]
	v_cmp_eq_u32_e64 s[24:25], 0, v6
	s_and_b64 s[24:25], s[24:25], s[22:23]
	v_add_u32_e32 v30, v28, v3
	s_waitcnt lgkmcnt(0)
	s_barrier
	; wave barrier
	s_and_saveexec_b64 s[22:23], s[24:25]
; %bb.43:                               ;   in Loop: Header=BB344_2 Depth=1
	v_bcnt_u32_b32 v1, v1, 0
	v_bcnt_u32_b32 v1, v2, v1
	ds_write_b32 v30, v1 offset:8
; %bb.44:                               ;   in Loop: Header=BB344_2 Depth=1
	s_or_b64 exec, exec, s[22:23]
	; wave barrier
	s_waitcnt lgkmcnt(0)
	s_barrier
	ds_read2_b64 v[1:4], v21 offset0:1 offset1:2
	s_waitcnt lgkmcnt(0)
	v_add_u32_e32 v31, v2, v1
	v_add3_u32 v4, v31, v3, v4
	s_nop 1
	v_mov_b32_dpp v31, v4 row_shr:1 row_mask:0xf bank_mask:0xf
	v_cndmask_b32_e64 v31, v31, 0, s[8:9]
	v_add_u32_e32 v4, v31, v4
	s_nop 1
	v_mov_b32_dpp v31, v4 row_shr:2 row_mask:0xf bank_mask:0xf
	v_cndmask_b32_e64 v31, 0, v31, s[10:11]
	v_add_u32_e32 v4, v4, v31
	;; [unrolled: 4-line block ×4, first 2 shown]
	s_nop 1
	v_mov_b32_dpp v31, v4 row_bcast:15 row_mask:0xf bank_mask:0xf
	v_cndmask_b32_e64 v31, v31, 0, s[16:17]
	v_add_u32_e32 v4, v4, v31
	s_nop 1
	v_mov_b32_dpp v31, v4 row_bcast:31 row_mask:0xf bank_mask:0xf
	v_cndmask_b32_e64 v31, 0, v31, s[4:5]
	v_add_u32_e32 v4, v4, v31
	s_and_saveexec_b64 s[22:23], s[18:19]
; %bb.45:                               ;   in Loop: Header=BB344_2 Depth=1
	ds_write_b32 v22, v4
; %bb.46:                               ;   in Loop: Header=BB344_2 Depth=1
	s_or_b64 exec, exec, s[22:23]
	s_waitcnt lgkmcnt(0)
	s_barrier
	s_and_saveexec_b64 s[22:23], vcc
	s_cbranch_execz .LBB344_48
; %bb.47:                               ;   in Loop: Header=BB344_2 Depth=1
	ds_read_b32 v31, v23
	s_waitcnt lgkmcnt(0)
	s_nop 0
	v_mov_b32_dpp v32, v31 row_shr:1 row_mask:0xf bank_mask:0xf
	v_cndmask_b32_e64 v32, v32, 0, s[20:21]
	v_add_u32_e32 v31, v32, v31
	ds_write_b32 v23, v31
.LBB344_48:                             ;   in Loop: Header=BB344_2 Depth=1
	s_or_b64 exec, exec, s[22:23]
	v_mov_b32_e32 v31, 0
	s_waitcnt lgkmcnt(0)
	s_barrier
	s_and_saveexec_b64 s[22:23], s[0:1]
; %bb.49:                               ;   in Loop: Header=BB344_2 Depth=1
	ds_read_b32 v31, v24
; %bb.50:                               ;   in Loop: Header=BB344_2 Depth=1
	s_or_b64 exec, exec, s[22:23]
	s_waitcnt lgkmcnt(0)
	v_add_u32_e32 v4, v31, v4
	ds_bpermute_b32 v4, v27, v4
	s_waitcnt lgkmcnt(0)
	v_cndmask_b32_e64 v4, v4, v31, s[6:7]
	v_cndmask_b32_e64 v31, v4, 0, s[2:3]
	v_add_u32_e32 v32, v31, v1
	v_add_u32_e32 v1, v32, v2
	;; [unrolled: 1-line block ×3, first 2 shown]
	ds_write2_b64 v21, v[31:32], v[1:2] offset0:1 offset1:2
	s_waitcnt lgkmcnt(0)
	s_barrier
	ds_read_b32 v1, v30 offset:8
	v_lshlrev_b32_e32 v2, 3, v6
	s_waitcnt lgkmcnt(0)
	s_barrier
	v_lshl_add_u32 v1, v1, 3, v2
	ds_write_b64 v1, v[11:12]
	s_waitcnt lgkmcnt(0)
	s_barrier
	ds_read_b64 v[11:12], v25
	v_mov_b32_e32 v1, s30
	v_mov_b32_e32 v3, s34
	;; [unrolled: 1-line block ×4, first 2 shown]
	s_waitcnt lgkmcnt(0)
	s_barrier
	ds_write2_b64 v21, v[1:2], v[3:4] offset0:1 offset1:2
	v_and_b32_sdwa v1, v11, s36 dst_sel:DWORD dst_unused:UNUSED_PAD src0_sel:WORD_1 src1_sel:DWORD
	v_lshlrev_b32_e32 v3, 3, v1
	v_and_b32_sdwa v1, v11, v14 dst_sel:DWORD dst_unused:UNUSED_PAD src0_sel:WORD_1 src1_sel:DWORD
	v_add_co_u32_e64 v2, s[22:23], -1, v1
	v_addc_co_u32_e64 v4, s[22:23], 0, -1, s[22:23]
	v_cmp_ne_u32_e64 s[22:23], 0, v1
	v_lshlrev_b32_sdwa v6, v15, v11 dst_sel:DWORD dst_unused:UNUSED_PAD src0_sel:DWORD src1_sel:WORD_1
	v_xor_b32_e32 v1, s23, v4
	v_xor_b32_e32 v2, s22, v2
	v_cmp_gt_i64_e64 s[22:23], 0, v[5:6]
	v_not_b32_e32 v4, v6
	v_ashrrev_i32_e32 v4, 31, v4
	v_and_b32_e32 v1, exec_hi, v1
	v_xor_b32_e32 v6, s23, v4
	v_and_b32_e32 v2, exec_lo, v2
	v_xor_b32_e32 v4, s22, v4
	v_and_b32_e32 v1, v1, v6
	v_lshlrev_b32_sdwa v6, v16, v11 dst_sel:DWORD dst_unused:UNUSED_PAD src0_sel:DWORD src1_sel:WORD_1
	v_and_b32_e32 v2, v2, v4
	v_cmp_gt_i64_e64 s[22:23], 0, v[5:6]
	v_not_b32_e32 v4, v6
	v_ashrrev_i32_e32 v4, 31, v4
	v_xor_b32_e32 v6, s23, v4
	v_xor_b32_e32 v4, s22, v4
	v_and_b32_e32 v1, v1, v6
	v_lshlrev_b32_sdwa v6, v17, v11 dst_sel:DWORD dst_unused:UNUSED_PAD src0_sel:DWORD src1_sel:WORD_1
	v_and_b32_e32 v2, v2, v4
	v_cmp_gt_i64_e64 s[22:23], 0, v[5:6]
	v_not_b32_e32 v4, v6
	v_ashrrev_i32_e32 v4, 31, v4
	v_xor_b32_e32 v6, s23, v4
	;; [unrolled: 8-line block ×6, first 2 shown]
	v_xor_b32_e32 v30, s22, v2
	v_and_b32_e32 v2, v1, v6
	v_and_b32_e32 v1, v4, v30
	v_mbcnt_lo_u32_b32 v4, v1, 0
	v_mbcnt_hi_u32_b32 v6, v2, v4
	v_cmp_ne_u64_e64 s[22:23], 0, v[1:2]
	v_cmp_eq_u32_e64 s[24:25], 0, v6
	s_and_b64 s[24:25], s[24:25], s[22:23]
	v_add_u32_e32 v30, v28, v3
	s_waitcnt lgkmcnt(0)
	s_barrier
	; wave barrier
	s_and_saveexec_b64 s[22:23], s[24:25]
; %bb.51:                               ;   in Loop: Header=BB344_2 Depth=1
	v_bcnt_u32_b32 v1, v1, 0
	v_bcnt_u32_b32 v1, v2, v1
	ds_write_b32 v30, v1 offset:8
; %bb.52:                               ;   in Loop: Header=BB344_2 Depth=1
	s_or_b64 exec, exec, s[22:23]
	; wave barrier
	s_waitcnt lgkmcnt(0)
	s_barrier
	ds_read2_b64 v[1:4], v21 offset0:1 offset1:2
	s_waitcnt lgkmcnt(0)
	v_add_u32_e32 v31, v2, v1
	v_add3_u32 v4, v31, v3, v4
	s_nop 1
	v_mov_b32_dpp v31, v4 row_shr:1 row_mask:0xf bank_mask:0xf
	v_cndmask_b32_e64 v31, v31, 0, s[8:9]
	v_add_u32_e32 v4, v31, v4
	s_nop 1
	v_mov_b32_dpp v31, v4 row_shr:2 row_mask:0xf bank_mask:0xf
	v_cndmask_b32_e64 v31, 0, v31, s[10:11]
	v_add_u32_e32 v4, v4, v31
	;; [unrolled: 4-line block ×4, first 2 shown]
	s_nop 1
	v_mov_b32_dpp v31, v4 row_bcast:15 row_mask:0xf bank_mask:0xf
	v_cndmask_b32_e64 v31, v31, 0, s[16:17]
	v_add_u32_e32 v4, v4, v31
	s_nop 1
	v_mov_b32_dpp v31, v4 row_bcast:31 row_mask:0xf bank_mask:0xf
	v_cndmask_b32_e64 v31, 0, v31, s[4:5]
	v_add_u32_e32 v4, v4, v31
	s_and_saveexec_b64 s[22:23], s[18:19]
; %bb.53:                               ;   in Loop: Header=BB344_2 Depth=1
	ds_write_b32 v22, v4
; %bb.54:                               ;   in Loop: Header=BB344_2 Depth=1
	s_or_b64 exec, exec, s[22:23]
	s_waitcnt lgkmcnt(0)
	s_barrier
	s_and_saveexec_b64 s[22:23], vcc
	s_cbranch_execz .LBB344_56
; %bb.55:                               ;   in Loop: Header=BB344_2 Depth=1
	ds_read_b32 v31, v23
	s_waitcnt lgkmcnt(0)
	s_nop 0
	v_mov_b32_dpp v32, v31 row_shr:1 row_mask:0xf bank_mask:0xf
	v_cndmask_b32_e64 v32, v32, 0, s[20:21]
	v_add_u32_e32 v31, v32, v31
	ds_write_b32 v23, v31
.LBB344_56:                             ;   in Loop: Header=BB344_2 Depth=1
	s_or_b64 exec, exec, s[22:23]
	v_mov_b32_e32 v31, 0
	s_waitcnt lgkmcnt(0)
	s_barrier
	s_and_saveexec_b64 s[22:23], s[0:1]
; %bb.57:                               ;   in Loop: Header=BB344_2 Depth=1
	ds_read_b32 v31, v24
; %bb.58:                               ;   in Loop: Header=BB344_2 Depth=1
	s_or_b64 exec, exec, s[22:23]
	s_waitcnt lgkmcnt(0)
	v_add_u32_e32 v4, v31, v4
	ds_bpermute_b32 v4, v27, v4
	s_waitcnt lgkmcnt(0)
	v_cndmask_b32_e64 v4, v4, v31, s[6:7]
	v_cndmask_b32_e64 v31, v4, 0, s[2:3]
	v_add_u32_e32 v32, v31, v1
	v_add_u32_e32 v1, v32, v2
	;; [unrolled: 1-line block ×3, first 2 shown]
	ds_write2_b64 v21, v[31:32], v[1:2] offset0:1 offset1:2
	s_waitcnt lgkmcnt(0)
	s_barrier
	ds_read_b32 v1, v30 offset:8
	v_lshlrev_b32_e32 v2, 3, v6
	s_waitcnt lgkmcnt(0)
	s_barrier
	v_lshl_add_u32 v1, v1, 3, v2
	ds_write_b64 v1, v[11:12]
	s_waitcnt lgkmcnt(0)
	s_barrier
	ds_read_b64 v[11:12], v25
	v_mov_b32_e32 v1, s30
	v_mov_b32_e32 v3, s34
	v_mov_b32_e32 v2, s31
	v_mov_b32_e32 v4, s35
	s_waitcnt lgkmcnt(0)
	s_barrier
	ds_write2_b64 v21, v[1:2], v[3:4] offset0:1 offset1:2
	v_and_b32_sdwa v1, v11, v14 dst_sel:DWORD dst_unused:UNUSED_PAD src0_sel:BYTE_3 src1_sel:DWORD
	v_add_co_u32_e64 v2, s[22:23], -1, v1
	v_addc_co_u32_e64 v4, s[22:23], 0, -1, s[22:23]
	v_cmp_ne_u32_e64 s[22:23], 0, v1
	v_lshlrev_b32_sdwa v6, v15, v11 dst_sel:DWORD dst_unused:UNUSED_PAD src0_sel:DWORD src1_sel:BYTE_3
	v_xor_b32_e32 v1, s23, v4
	v_xor_b32_e32 v2, s22, v2
	v_cmp_gt_i64_e64 s[22:23], 0, v[5:6]
	v_not_b32_e32 v4, v6
	v_ashrrev_i32_e32 v4, 31, v4
	v_and_b32_e32 v1, exec_hi, v1
	v_xor_b32_e32 v6, s23, v4
	v_and_b32_e32 v2, exec_lo, v2
	v_xor_b32_e32 v4, s22, v4
	v_and_b32_e32 v1, v1, v6
	v_lshlrev_b32_sdwa v6, v16, v11 dst_sel:DWORD dst_unused:UNUSED_PAD src0_sel:DWORD src1_sel:BYTE_3
	v_and_b32_e32 v2, v2, v4
	v_cmp_gt_i64_e64 s[22:23], 0, v[5:6]
	v_not_b32_e32 v4, v6
	v_ashrrev_i32_e32 v4, 31, v4
	v_xor_b32_e32 v6, s23, v4
	v_xor_b32_e32 v4, s22, v4
	v_and_b32_e32 v1, v1, v6
	v_lshlrev_b32_sdwa v6, v17, v11 dst_sel:DWORD dst_unused:UNUSED_PAD src0_sel:DWORD src1_sel:BYTE_3
	v_and_b32_e32 v2, v2, v4
	v_cmp_gt_i64_e64 s[22:23], 0, v[5:6]
	v_not_b32_e32 v4, v6
	v_ashrrev_i32_e32 v4, 31, v4
	v_xor_b32_e32 v6, s23, v4
	;; [unrolled: 8-line block ×6, first 2 shown]
	v_xor_b32_e32 v30, s22, v2
	v_and_b32_e32 v2, v1, v6
	v_and_b32_e32 v1, v4, v30
	v_mbcnt_lo_u32_b32 v4, v1, 0
	v_mbcnt_hi_u32_b32 v6, v2, v4
	v_cmp_ne_u64_e64 s[22:23], 0, v[1:2]
	v_lshlrev_b32_sdwa v3, v13, v11 dst_sel:DWORD dst_unused:UNUSED_PAD src0_sel:DWORD src1_sel:BYTE_3
	v_cmp_eq_u32_e64 s[24:25], 0, v6
	s_and_b64 s[24:25], s[24:25], s[22:23]
	v_add_u32_e32 v30, v28, v3
	s_waitcnt lgkmcnt(0)
	s_barrier
	; wave barrier
	s_and_saveexec_b64 s[22:23], s[24:25]
; %bb.59:                               ;   in Loop: Header=BB344_2 Depth=1
	v_bcnt_u32_b32 v1, v1, 0
	v_bcnt_u32_b32 v1, v2, v1
	ds_write_b32 v30, v1 offset:8
; %bb.60:                               ;   in Loop: Header=BB344_2 Depth=1
	s_or_b64 exec, exec, s[22:23]
	; wave barrier
	s_waitcnt lgkmcnt(0)
	s_barrier
	ds_read2_b64 v[1:4], v21 offset0:1 offset1:2
	s_waitcnt lgkmcnt(0)
	v_add_u32_e32 v31, v2, v1
	v_add3_u32 v4, v31, v3, v4
	s_nop 1
	v_mov_b32_dpp v31, v4 row_shr:1 row_mask:0xf bank_mask:0xf
	v_cndmask_b32_e64 v31, v31, 0, s[8:9]
	v_add_u32_e32 v4, v31, v4
	s_nop 1
	v_mov_b32_dpp v31, v4 row_shr:2 row_mask:0xf bank_mask:0xf
	v_cndmask_b32_e64 v31, 0, v31, s[10:11]
	v_add_u32_e32 v4, v4, v31
	s_nop 1
	v_mov_b32_dpp v31, v4 row_shr:4 row_mask:0xf bank_mask:0xf
	v_cndmask_b32_e64 v31, 0, v31, s[12:13]
	v_add_u32_e32 v4, v4, v31
	s_nop 1
	v_mov_b32_dpp v31, v4 row_shr:8 row_mask:0xf bank_mask:0xf
	v_cndmask_b32_e64 v31, 0, v31, s[14:15]
	v_add_u32_e32 v4, v4, v31
	s_nop 1
	v_mov_b32_dpp v31, v4 row_bcast:15 row_mask:0xf bank_mask:0xf
	v_cndmask_b32_e64 v31, v31, 0, s[16:17]
	v_add_u32_e32 v4, v4, v31
	s_nop 1
	v_mov_b32_dpp v31, v4 row_bcast:31 row_mask:0xf bank_mask:0xf
	v_cndmask_b32_e64 v31, 0, v31, s[4:5]
	v_add_u32_e32 v4, v4, v31
	s_and_saveexec_b64 s[22:23], s[18:19]
; %bb.61:                               ;   in Loop: Header=BB344_2 Depth=1
	ds_write_b32 v22, v4
; %bb.62:                               ;   in Loop: Header=BB344_2 Depth=1
	s_or_b64 exec, exec, s[22:23]
	s_waitcnt lgkmcnt(0)
	s_barrier
	s_and_saveexec_b64 s[22:23], vcc
	s_cbranch_execz .LBB344_64
; %bb.63:                               ;   in Loop: Header=BB344_2 Depth=1
	ds_read_b32 v31, v23
	s_waitcnt lgkmcnt(0)
	s_nop 0
	v_mov_b32_dpp v32, v31 row_shr:1 row_mask:0xf bank_mask:0xf
	v_cndmask_b32_e64 v32, v32, 0, s[20:21]
	v_add_u32_e32 v31, v32, v31
	ds_write_b32 v23, v31
.LBB344_64:                             ;   in Loop: Header=BB344_2 Depth=1
	s_or_b64 exec, exec, s[22:23]
	v_mov_b32_e32 v31, 0
	s_waitcnt lgkmcnt(0)
	s_barrier
	s_and_saveexec_b64 s[22:23], s[0:1]
	s_cbranch_execz .LBB344_1
; %bb.65:                               ;   in Loop: Header=BB344_2 Depth=1
	ds_read_b32 v31, v24
	s_branch .LBB344_1
.LBB344_66:
	s_add_u32 s0, s26, s28
	s_waitcnt lgkmcnt(0)
	v_xor_b32_e32 v2, 0x80000000, v12
	v_xor_b32_e32 v1, 0x80000000, v11
	s_addc_u32 s1, s27, s29
	v_lshlrev_b32_e32 v0, 3, v0
	global_store_dwordx2 v0, v[1:2], s[0:1]
	s_endpgm
	.section	.rodata,"a",@progbits
	.p2align	6, 0x0
	.amdhsa_kernel _Z16sort_keys_kernelI22helper_blocked_stripedN15benchmark_utils11custom_typeIiiEELj128ELj1ELj10EEvPKT0_PS4_
		.amdhsa_group_segment_fixed_size 2064
		.amdhsa_private_segment_fixed_size 0
		.amdhsa_kernarg_size 272
		.amdhsa_user_sgpr_count 6
		.amdhsa_user_sgpr_private_segment_buffer 1
		.amdhsa_user_sgpr_dispatch_ptr 0
		.amdhsa_user_sgpr_queue_ptr 0
		.amdhsa_user_sgpr_kernarg_segment_ptr 1
		.amdhsa_user_sgpr_dispatch_id 0
		.amdhsa_user_sgpr_flat_scratch_init 0
		.amdhsa_user_sgpr_private_segment_size 0
		.amdhsa_uses_dynamic_stack 0
		.amdhsa_system_sgpr_private_segment_wavefront_offset 0
		.amdhsa_system_sgpr_workgroup_id_x 1
		.amdhsa_system_sgpr_workgroup_id_y 0
		.amdhsa_system_sgpr_workgroup_id_z 0
		.amdhsa_system_sgpr_workgroup_info 0
		.amdhsa_system_vgpr_workitem_id 2
		.amdhsa_next_free_vgpr 33
		.amdhsa_next_free_sgpr 61
		.amdhsa_reserve_vcc 1
		.amdhsa_reserve_flat_scratch 0
		.amdhsa_float_round_mode_32 0
		.amdhsa_float_round_mode_16_64 0
		.amdhsa_float_denorm_mode_32 3
		.amdhsa_float_denorm_mode_16_64 3
		.amdhsa_dx10_clamp 1
		.amdhsa_ieee_mode 1
		.amdhsa_fp16_overflow 0
		.amdhsa_exception_fp_ieee_invalid_op 0
		.amdhsa_exception_fp_denorm_src 0
		.amdhsa_exception_fp_ieee_div_zero 0
		.amdhsa_exception_fp_ieee_overflow 0
		.amdhsa_exception_fp_ieee_underflow 0
		.amdhsa_exception_fp_ieee_inexact 0
		.amdhsa_exception_int_div_zero 0
	.end_amdhsa_kernel
	.section	.text._Z16sort_keys_kernelI22helper_blocked_stripedN15benchmark_utils11custom_typeIiiEELj128ELj1ELj10EEvPKT0_PS4_,"axG",@progbits,_Z16sort_keys_kernelI22helper_blocked_stripedN15benchmark_utils11custom_typeIiiEELj128ELj1ELj10EEvPKT0_PS4_,comdat
.Lfunc_end344:
	.size	_Z16sort_keys_kernelI22helper_blocked_stripedN15benchmark_utils11custom_typeIiiEELj128ELj1ELj10EEvPKT0_PS4_, .Lfunc_end344-_Z16sort_keys_kernelI22helper_blocked_stripedN15benchmark_utils11custom_typeIiiEELj128ELj1ELj10EEvPKT0_PS4_
                                        ; -- End function
	.set _Z16sort_keys_kernelI22helper_blocked_stripedN15benchmark_utils11custom_typeIiiEELj128ELj1ELj10EEvPKT0_PS4_.num_vgpr, 33
	.set _Z16sort_keys_kernelI22helper_blocked_stripedN15benchmark_utils11custom_typeIiiEELj128ELj1ELj10EEvPKT0_PS4_.num_agpr, 0
	.set _Z16sort_keys_kernelI22helper_blocked_stripedN15benchmark_utils11custom_typeIiiEELj128ELj1ELj10EEvPKT0_PS4_.numbered_sgpr, 37
	.set _Z16sort_keys_kernelI22helper_blocked_stripedN15benchmark_utils11custom_typeIiiEELj128ELj1ELj10EEvPKT0_PS4_.num_named_barrier, 0
	.set _Z16sort_keys_kernelI22helper_blocked_stripedN15benchmark_utils11custom_typeIiiEELj128ELj1ELj10EEvPKT0_PS4_.private_seg_size, 0
	.set _Z16sort_keys_kernelI22helper_blocked_stripedN15benchmark_utils11custom_typeIiiEELj128ELj1ELj10EEvPKT0_PS4_.uses_vcc, 1
	.set _Z16sort_keys_kernelI22helper_blocked_stripedN15benchmark_utils11custom_typeIiiEELj128ELj1ELj10EEvPKT0_PS4_.uses_flat_scratch, 0
	.set _Z16sort_keys_kernelI22helper_blocked_stripedN15benchmark_utils11custom_typeIiiEELj128ELj1ELj10EEvPKT0_PS4_.has_dyn_sized_stack, 0
	.set _Z16sort_keys_kernelI22helper_blocked_stripedN15benchmark_utils11custom_typeIiiEELj128ELj1ELj10EEvPKT0_PS4_.has_recursion, 0
	.set _Z16sort_keys_kernelI22helper_blocked_stripedN15benchmark_utils11custom_typeIiiEELj128ELj1ELj10EEvPKT0_PS4_.has_indirect_call, 0
	.section	.AMDGPU.csdata,"",@progbits
; Kernel info:
; codeLenInByte = 7104
; TotalNumSgprs: 41
; NumVgprs: 33
; ScratchSize: 0
; MemoryBound: 0
; FloatMode: 240
; IeeeMode: 1
; LDSByteSize: 2064 bytes/workgroup (compile time only)
; SGPRBlocks: 8
; VGPRBlocks: 8
; NumSGPRsForWavesPerEU: 65
; NumVGPRsForWavesPerEU: 33
; Occupancy: 7
; WaveLimiterHint : 0
; COMPUTE_PGM_RSRC2:SCRATCH_EN: 0
; COMPUTE_PGM_RSRC2:USER_SGPR: 6
; COMPUTE_PGM_RSRC2:TRAP_HANDLER: 0
; COMPUTE_PGM_RSRC2:TGID_X_EN: 1
; COMPUTE_PGM_RSRC2:TGID_Y_EN: 0
; COMPUTE_PGM_RSRC2:TGID_Z_EN: 0
; COMPUTE_PGM_RSRC2:TIDIG_COMP_CNT: 2
	.section	.text._Z17sort_pairs_kernelI22helper_blocked_stripedN15benchmark_utils11custom_typeIiiEELj128ELj1ELj10EEvPKT0_PS4_,"axG",@progbits,_Z17sort_pairs_kernelI22helper_blocked_stripedN15benchmark_utils11custom_typeIiiEELj128ELj1ELj10EEvPKT0_PS4_,comdat
	.protected	_Z17sort_pairs_kernelI22helper_blocked_stripedN15benchmark_utils11custom_typeIiiEELj128ELj1ELj10EEvPKT0_PS4_ ; -- Begin function _Z17sort_pairs_kernelI22helper_blocked_stripedN15benchmark_utils11custom_typeIiiEELj128ELj1ELj10EEvPKT0_PS4_
	.globl	_Z17sort_pairs_kernelI22helper_blocked_stripedN15benchmark_utils11custom_typeIiiEELj128ELj1ELj10EEvPKT0_PS4_
	.p2align	8
	.type	_Z17sort_pairs_kernelI22helper_blocked_stripedN15benchmark_utils11custom_typeIiiEELj128ELj1ELj10EEvPKT0_PS4_,@function
_Z17sort_pairs_kernelI22helper_blocked_stripedN15benchmark_utils11custom_typeIiiEELj128ELj1ELj10EEvPKT0_PS4_: ; @_Z17sort_pairs_kernelI22helper_blocked_stripedN15benchmark_utils11custom_typeIiiEELj128ELj1ELj10EEvPKT0_PS4_
; %bb.0:
	s_load_dwordx4 s[24:27], s[4:5], 0x0
	s_load_dword s36, s[4:5], 0x1c
	s_lshl_b32 s30, s6, 7
	s_mov_b32 s31, 0
	s_lshl_b64 s[28:29], s[30:31], 3
	s_waitcnt lgkmcnt(0)
	s_add_u32 s0, s24, s28
	s_addc_u32 s1, s25, s29
	v_lshlrev_b32_e32 v3, 3, v0
	global_load_dwordx2 v[3:4], v3, s[0:1]
	v_mbcnt_lo_u32_b32 v6, -1, 0
	v_mbcnt_hi_u32_b32 v6, -1, v6
	s_lshr_b32 s24, s36, 16
	v_and_b32_e32 v7, 64, v0
	v_subrev_co_u32_e64 v13, s[8:9], 1, v6
	v_and_b32_e32 v14, 64, v6
	s_and_b32 s25, s36, 0xffff
	v_mad_u32_u24 v1, v2, s24, v1
	v_lshlrev_b32_e32 v20, 4, v0
	v_lshrrev_b32_e32 v8, 4, v0
	s_mov_b32 s34, s31
	v_and_b32_e32 v9, 15, v6
	v_and_b32_e32 v10, 16, v6
	v_or_b32_e32 v12, 63, v7
	s_mov_b32 s30, s31
	v_cmp_lt_i32_e32 vcc, v13, v14
	v_mad_u32_u24 v1, v1, s25, v0
	v_lshlrev_b32_e32 v11, 2, v0
	s_mov_b32 s35, s31
	v_and_b32_e32 v21, 4, v8
	v_mad_i32_i24 v22, v0, -12, v20
	v_and_b32_e32 v23, 1, v6
	v_lshlrev_b32_e32 v24, 3, v7
	v_mov_b32_e32 v7, s34
	v_cmp_eq_u32_e64 s[10:11], 0, v9
	v_cmp_lt_u32_e64 s[12:13], 1, v9
	v_cmp_lt_u32_e64 s[14:15], 3, v9
	v_cmp_lt_u32_e64 s[16:17], 7, v9
	v_cmp_eq_u32_e64 s[18:19], 0, v10
	v_cmp_eq_u32_e64 s[20:21], v0, v12
	v_cndmask_b32_e32 v12, v13, v6, vcc
	v_mov_b32_e32 v9, s30
	v_lshrrev_b32_e32 v1, 4, v1
	v_mov_b32_e32 v5, 0
	s_movk_i32 s33, 0xff
	v_mov_b32_e32 v15, 3
	v_mov_b32_e32 v16, 27
	v_mov_b32_e32 v17, 26
	v_mov_b32_e32 v18, 25
	v_mov_b32_e32 v19, 24
	v_cmp_gt_u32_e64 s[0:1], 2, v0
	v_cmp_lt_u32_e64 s[2:3], 63, v0
	v_cmp_eq_u32_e64 s[4:5], 0, v0
	v_cmp_lt_u32_e64 s[6:7], 31, v6
	v_mov_b32_e32 v8, s35
	v_cmp_eq_u32_e64 s[22:23], 0, v23
	v_add_u32_e32 v23, -4, v21
	v_lshl_add_u32 v24, v6, 3, v24
	v_mov_b32_e32 v10, s31
	v_add_u32_e32 v25, v22, v11
	v_lshlrev_b32_e32 v26, 2, v12
	v_and_b32_e32 v27, 0xffffffc, v1
	s_mov_b32 s36, s31
	s_waitcnt vmcnt(0)
	v_add_u32_e32 v14, 1, v4
	v_add_u32_e32 v13, 1, v3
	v_xor_b32_e32 v11, 0x80000000, v3
	v_xor_b32_e32 v12, 0x80000000, v4
	s_branch .LBB345_2
.LBB345_1:                              ;   in Loop: Header=BB345_2 Depth=1
	s_barrier
	ds_write_b64 v6, v[3:4]
	s_waitcnt lgkmcnt(0)
	s_barrier
	ds_read_b64 v[11:12], v25
	s_waitcnt lgkmcnt(0)
	s_barrier
	ds_write_b64 v6, v[1:2]
	s_waitcnt lgkmcnt(0)
	s_barrier
	ds_read_b64 v[13:14], v25
	s_add_i32 s36, s36, 1
	s_cmp_eq_u32 s36, 10
	s_cbranch_scc1 .LBB345_38
.LBB345_2:                              ; =>This Loop Header: Depth=1
                                        ;     Child Loop BB345_28 Depth 2
	v_and_b32_e32 v1, 1, v12
	v_add_co_u32_e32 v2, vcc, -1, v1
	v_addc_co_u32_e64 v4, s[24:25], 0, -1, vcc
	v_cmp_ne_u32_e32 vcc, 0, v1
	v_lshlrev_b32_e32 v6, 30, v12
	v_xor_b32_e32 v1, vcc_hi, v4
	v_xor_b32_e32 v2, vcc_lo, v2
	v_cmp_gt_i64_e32 vcc, 0, v[5:6]
	v_not_b32_e32 v4, v6
	v_ashrrev_i32_e32 v4, 31, v4
	v_and_b32_e32 v1, exec_hi, v1
	v_xor_b32_e32 v6, vcc_hi, v4
	v_and_b32_e32 v2, exec_lo, v2
	v_xor_b32_e32 v4, vcc_lo, v4
	v_and_b32_e32 v1, v1, v6
	v_lshlrev_b32_e32 v6, 29, v12
	v_and_b32_e32 v2, v2, v4
	v_cmp_gt_i64_e32 vcc, 0, v[5:6]
	v_not_b32_e32 v4, v6
	v_ashrrev_i32_e32 v4, 31, v4
	v_xor_b32_e32 v6, vcc_hi, v4
	v_xor_b32_e32 v4, vcc_lo, v4
	v_and_b32_e32 v1, v1, v6
	v_lshlrev_b32_e32 v6, 28, v12
	v_and_b32_e32 v2, v2, v4
	v_cmp_gt_i64_e32 vcc, 0, v[5:6]
	v_not_b32_e32 v4, v6
	v_ashrrev_i32_e32 v4, 31, v4
	v_xor_b32_e32 v6, vcc_hi, v4
	;; [unrolled: 8-line block ×6, first 2 shown]
	v_xor_b32_e32 v28, vcc_lo, v2
	v_and_b32_e32 v2, v1, v6
	v_and_b32_e32 v1, v4, v28
	v_mbcnt_lo_u32_b32 v4, v1, 0
	v_mbcnt_hi_u32_b32 v6, v2, v4
	v_cmp_ne_u64_e32 vcc, 0, v[1:2]
	v_lshlrev_b32_sdwa v3, v15, v12 dst_sel:DWORD dst_unused:UNUSED_PAD src0_sel:DWORD src1_sel:BYTE_0
	v_cmp_eq_u32_e64 s[24:25], 0, v6
	s_and_b64 s[38:39], s[24:25], vcc
	v_add_u32_e32 v28, v27, v3
	ds_write2_b64 v20, v[9:10], v[7:8] offset0:1 offset1:2
	s_waitcnt lgkmcnt(0)
	s_barrier
	; wave barrier
	s_and_saveexec_b64 s[24:25], s[38:39]
; %bb.3:                                ;   in Loop: Header=BB345_2 Depth=1
	v_bcnt_u32_b32 v1, v1, 0
	v_bcnt_u32_b32 v1, v2, v1
	ds_write_b32 v28, v1 offset:8
; %bb.4:                                ;   in Loop: Header=BB345_2 Depth=1
	s_or_b64 exec, exec, s[24:25]
	; wave barrier
	s_waitcnt lgkmcnt(0)
	s_barrier
	ds_read2_b64 v[1:4], v20 offset0:1 offset1:2
	s_waitcnt lgkmcnt(0)
	v_add_u32_e32 v29, v2, v1
	v_add3_u32 v4, v29, v3, v4
	s_nop 1
	v_mov_b32_dpp v29, v4 row_shr:1 row_mask:0xf bank_mask:0xf
	v_cndmask_b32_e64 v29, v29, 0, s[10:11]
	v_add_u32_e32 v4, v29, v4
	s_nop 1
	v_mov_b32_dpp v29, v4 row_shr:2 row_mask:0xf bank_mask:0xf
	v_cndmask_b32_e64 v29, 0, v29, s[12:13]
	v_add_u32_e32 v4, v4, v29
	;; [unrolled: 4-line block ×4, first 2 shown]
	s_nop 1
	v_mov_b32_dpp v29, v4 row_bcast:15 row_mask:0xf bank_mask:0xf
	v_cndmask_b32_e64 v29, v29, 0, s[18:19]
	v_add_u32_e32 v4, v4, v29
	s_nop 1
	v_mov_b32_dpp v29, v4 row_bcast:31 row_mask:0xf bank_mask:0xf
	v_cndmask_b32_e64 v29, 0, v29, s[6:7]
	v_add_u32_e32 v4, v4, v29
	s_and_saveexec_b64 s[24:25], s[20:21]
; %bb.5:                                ;   in Loop: Header=BB345_2 Depth=1
	ds_write_b32 v21, v4
; %bb.6:                                ;   in Loop: Header=BB345_2 Depth=1
	s_or_b64 exec, exec, s[24:25]
	s_waitcnt lgkmcnt(0)
	s_barrier
	s_and_saveexec_b64 s[24:25], s[0:1]
	s_cbranch_execz .LBB345_8
; %bb.7:                                ;   in Loop: Header=BB345_2 Depth=1
	ds_read_b32 v29, v22
	s_waitcnt lgkmcnt(0)
	s_nop 0
	v_mov_b32_dpp v30, v29 row_shr:1 row_mask:0xf bank_mask:0xf
	v_cndmask_b32_e64 v30, v30, 0, s[22:23]
	v_add_u32_e32 v29, v30, v29
	ds_write_b32 v22, v29
.LBB345_8:                              ;   in Loop: Header=BB345_2 Depth=1
	s_or_b64 exec, exec, s[24:25]
	v_mov_b32_e32 v29, 0
	s_waitcnt lgkmcnt(0)
	s_barrier
	s_and_saveexec_b64 s[24:25], s[2:3]
; %bb.9:                                ;   in Loop: Header=BB345_2 Depth=1
	ds_read_b32 v29, v23
; %bb.10:                               ;   in Loop: Header=BB345_2 Depth=1
	s_or_b64 exec, exec, s[24:25]
	s_waitcnt lgkmcnt(0)
	v_add_u32_e32 v4, v29, v4
	ds_bpermute_b32 v4, v26, v4
	s_waitcnt lgkmcnt(0)
	v_cndmask_b32_e64 v4, v4, v29, s[8:9]
	v_cndmask_b32_e64 v29, v4, 0, s[4:5]
	v_add_u32_e32 v30, v29, v1
	v_add_u32_e32 v1, v30, v2
	v_add_u32_e32 v2, v1, v3
	ds_write2_b64 v20, v[29:30], v[1:2] offset0:1 offset1:2
	s_waitcnt lgkmcnt(0)
	s_barrier
	ds_read_b32 v1, v28 offset:8
	v_lshlrev_b32_e32 v2, 3, v6
	s_waitcnt lgkmcnt(0)
	s_barrier
	v_lshl_add_u32 v1, v1, 3, v2
	ds_write_b64 v1, v[11:12]
	s_waitcnt lgkmcnt(0)
	s_barrier
	ds_read_b64 v[11:12], v24
	s_waitcnt lgkmcnt(0)
	s_barrier
	ds_write_b64 v1, v[13:14]
	v_mov_b32_e32 v1, s30
	v_mov_b32_e32 v3, s34
	;; [unrolled: 1-line block ×4, first 2 shown]
	s_waitcnt lgkmcnt(0)
	s_barrier
	ds_read_b64 v[13:14], v24
	s_waitcnt lgkmcnt(0)
	s_barrier
	ds_write2_b64 v20, v[1:2], v[3:4] offset0:1 offset1:2
	v_lshrrev_b32_e32 v1, 8, v12
	v_and_b32_e32 v2, 1, v1
	v_add_co_u32_e32 v4, vcc, -1, v2
	v_addc_co_u32_e64 v6, s[24:25], 0, -1, vcc
	v_cmp_ne_u32_e32 vcc, 0, v2
	v_xor_b32_e32 v2, vcc_hi, v6
	v_lshlrev_b32_e32 v6, 30, v1
	v_xor_b32_e32 v4, vcc_lo, v4
	v_cmp_gt_i64_e32 vcc, 0, v[5:6]
	v_not_b32_e32 v6, v6
	v_ashrrev_i32_e32 v6, 31, v6
	v_and_b32_e32 v4, exec_lo, v4
	v_xor_b32_e32 v28, vcc_hi, v6
	v_xor_b32_e32 v6, vcc_lo, v6
	v_and_b32_e32 v4, v4, v6
	v_lshlrev_b32_e32 v6, 29, v1
	v_cmp_gt_i64_e32 vcc, 0, v[5:6]
	v_not_b32_e32 v6, v6
	v_and_b32_e32 v2, exec_hi, v2
	v_ashrrev_i32_e32 v6, 31, v6
	v_and_b32_e32 v2, v2, v28
	v_xor_b32_e32 v28, vcc_hi, v6
	v_xor_b32_e32 v6, vcc_lo, v6
	v_and_b32_e32 v4, v4, v6
	v_lshlrev_b32_e32 v6, 28, v1
	v_cmp_gt_i64_e32 vcc, 0, v[5:6]
	v_not_b32_e32 v6, v6
	v_ashrrev_i32_e32 v6, 31, v6
	v_and_b32_e32 v2, v2, v28
	v_xor_b32_e32 v28, vcc_hi, v6
	v_xor_b32_e32 v6, vcc_lo, v6
	v_and_b32_e32 v4, v4, v6
	v_lshlrev_b32_e32 v6, 27, v1
	v_cmp_gt_i64_e32 vcc, 0, v[5:6]
	v_not_b32_e32 v6, v6
	;; [unrolled: 8-line block ×4, first 2 shown]
	v_ashrrev_i32_e32 v6, 31, v6
	v_and_b32_e32 v2, v2, v28
	v_xor_b32_e32 v28, vcc_hi, v6
	v_xor_b32_e32 v6, vcc_lo, v6
	v_and_b32_e32 v4, v4, v6
	v_lshlrev_b32_e32 v6, 24, v1
	v_lshlrev_b32_sdwa v3, v15, v1 dst_sel:DWORD dst_unused:UNUSED_PAD src0_sel:DWORD src1_sel:BYTE_0
	v_cmp_gt_i64_e32 vcc, 0, v[5:6]
	v_not_b32_e32 v1, v6
	v_ashrrev_i32_e32 v1, 31, v1
	v_xor_b32_e32 v6, vcc_hi, v1
	v_xor_b32_e32 v1, vcc_lo, v1
	v_and_b32_e32 v2, v2, v28
	v_and_b32_e32 v1, v4, v1
	;; [unrolled: 1-line block ×3, first 2 shown]
	v_mbcnt_lo_u32_b32 v4, v1, 0
	v_mbcnt_hi_u32_b32 v6, v2, v4
	v_cmp_ne_u64_e32 vcc, 0, v[1:2]
	v_cmp_eq_u32_e64 s[24:25], 0, v6
	s_and_b64 s[38:39], s[24:25], vcc
	v_add_u32_e32 v28, v27, v3
	s_waitcnt lgkmcnt(0)
	s_barrier
	; wave barrier
	s_and_saveexec_b64 s[24:25], s[38:39]
; %bb.11:                               ;   in Loop: Header=BB345_2 Depth=1
	v_bcnt_u32_b32 v1, v1, 0
	v_bcnt_u32_b32 v1, v2, v1
	ds_write_b32 v28, v1 offset:8
; %bb.12:                               ;   in Loop: Header=BB345_2 Depth=1
	s_or_b64 exec, exec, s[24:25]
	; wave barrier
	s_waitcnt lgkmcnt(0)
	s_barrier
	ds_read2_b64 v[1:4], v20 offset0:1 offset1:2
	s_waitcnt lgkmcnt(0)
	v_add_u32_e32 v29, v2, v1
	v_add3_u32 v4, v29, v3, v4
	s_nop 1
	v_mov_b32_dpp v29, v4 row_shr:1 row_mask:0xf bank_mask:0xf
	v_cndmask_b32_e64 v29, v29, 0, s[10:11]
	v_add_u32_e32 v4, v29, v4
	s_nop 1
	v_mov_b32_dpp v29, v4 row_shr:2 row_mask:0xf bank_mask:0xf
	v_cndmask_b32_e64 v29, 0, v29, s[12:13]
	v_add_u32_e32 v4, v4, v29
	;; [unrolled: 4-line block ×4, first 2 shown]
	s_nop 1
	v_mov_b32_dpp v29, v4 row_bcast:15 row_mask:0xf bank_mask:0xf
	v_cndmask_b32_e64 v29, v29, 0, s[18:19]
	v_add_u32_e32 v4, v4, v29
	s_nop 1
	v_mov_b32_dpp v29, v4 row_bcast:31 row_mask:0xf bank_mask:0xf
	v_cndmask_b32_e64 v29, 0, v29, s[6:7]
	v_add_u32_e32 v4, v4, v29
	s_and_saveexec_b64 s[24:25], s[20:21]
; %bb.13:                               ;   in Loop: Header=BB345_2 Depth=1
	ds_write_b32 v21, v4
; %bb.14:                               ;   in Loop: Header=BB345_2 Depth=1
	s_or_b64 exec, exec, s[24:25]
	s_waitcnt lgkmcnt(0)
	s_barrier
	s_and_saveexec_b64 s[24:25], s[0:1]
	s_cbranch_execz .LBB345_16
; %bb.15:                               ;   in Loop: Header=BB345_2 Depth=1
	ds_read_b32 v29, v22
	s_waitcnt lgkmcnt(0)
	s_nop 0
	v_mov_b32_dpp v30, v29 row_shr:1 row_mask:0xf bank_mask:0xf
	v_cndmask_b32_e64 v30, v30, 0, s[22:23]
	v_add_u32_e32 v29, v30, v29
	ds_write_b32 v22, v29
.LBB345_16:                             ;   in Loop: Header=BB345_2 Depth=1
	s_or_b64 exec, exec, s[24:25]
	v_mov_b32_e32 v29, 0
	s_waitcnt lgkmcnt(0)
	s_barrier
	s_and_saveexec_b64 s[24:25], s[2:3]
; %bb.17:                               ;   in Loop: Header=BB345_2 Depth=1
	ds_read_b32 v29, v23
; %bb.18:                               ;   in Loop: Header=BB345_2 Depth=1
	s_or_b64 exec, exec, s[24:25]
	s_waitcnt lgkmcnt(0)
	v_add_u32_e32 v4, v29, v4
	ds_bpermute_b32 v4, v26, v4
	s_waitcnt lgkmcnt(0)
	v_cndmask_b32_e64 v4, v4, v29, s[8:9]
	v_cndmask_b32_e64 v29, v4, 0, s[4:5]
	v_add_u32_e32 v30, v29, v1
	v_add_u32_e32 v1, v30, v2
	v_add_u32_e32 v2, v1, v3
	ds_write2_b64 v20, v[29:30], v[1:2] offset0:1 offset1:2
	s_waitcnt lgkmcnt(0)
	s_barrier
	ds_read_b32 v1, v28 offset:8
	v_lshlrev_b32_e32 v2, 3, v6
	s_waitcnt lgkmcnt(0)
	s_barrier
	v_lshl_add_u32 v1, v1, 3, v2
	ds_write_b64 v1, v[11:12]
	s_waitcnt lgkmcnt(0)
	s_barrier
	ds_read_b64 v[11:12], v24
	s_waitcnt lgkmcnt(0)
	s_barrier
	ds_write_b64 v1, v[13:14]
	v_mov_b32_e32 v1, s30
	v_mov_b32_e32 v3, s34
	v_mov_b32_e32 v2, s31
	v_mov_b32_e32 v4, s35
	s_waitcnt lgkmcnt(0)
	s_barrier
	ds_read_b64 v[13:14], v24
	s_waitcnt lgkmcnt(0)
	s_barrier
	ds_write2_b64 v20, v[1:2], v[3:4] offset0:1 offset1:2
	v_and_b32_sdwa v1, v12, s33 dst_sel:DWORD dst_unused:UNUSED_PAD src0_sel:WORD_1 src1_sel:DWORD
	v_lshlrev_b32_e32 v3, 3, v1
	v_mov_b32_e32 v1, 1
	v_and_b32_sdwa v1, v12, v1 dst_sel:DWORD dst_unused:UNUSED_PAD src0_sel:WORD_1 src1_sel:DWORD
	v_add_co_u32_e32 v2, vcc, -1, v1
	v_addc_co_u32_e64 v4, s[24:25], 0, -1, vcc
	v_cmp_ne_u32_e32 vcc, 0, v1
	v_xor_b32_e32 v1, vcc_hi, v4
	v_mov_b32_e32 v4, 30
	v_lshlrev_b32_sdwa v6, v4, v12 dst_sel:DWORD dst_unused:UNUSED_PAD src0_sel:DWORD src1_sel:WORD_1
	v_xor_b32_e32 v2, vcc_lo, v2
	v_cmp_gt_i64_e32 vcc, 0, v[5:6]
	v_not_b32_e32 v4, v6
	v_ashrrev_i32_e32 v4, 31, v4
	v_and_b32_e32 v2, exec_lo, v2
	v_xor_b32_e32 v6, vcc_hi, v4
	v_xor_b32_e32 v4, vcc_lo, v4
	v_and_b32_e32 v1, exec_hi, v1
	v_and_b32_e32 v2, v2, v4
	v_mov_b32_e32 v4, 29
	v_and_b32_e32 v1, v1, v6
	v_lshlrev_b32_sdwa v6, v4, v12 dst_sel:DWORD dst_unused:UNUSED_PAD src0_sel:DWORD src1_sel:WORD_1
	v_cmp_gt_i64_e32 vcc, 0, v[5:6]
	v_not_b32_e32 v4, v6
	v_ashrrev_i32_e32 v4, 31, v4
	v_xor_b32_e32 v6, vcc_hi, v4
	v_xor_b32_e32 v4, vcc_lo, v4
	v_and_b32_e32 v2, v2, v4
	v_mov_b32_e32 v4, 28
	v_and_b32_e32 v1, v1, v6
	v_lshlrev_b32_sdwa v6, v4, v12 dst_sel:DWORD dst_unused:UNUSED_PAD src0_sel:DWORD src1_sel:WORD_1
	v_cmp_gt_i64_e32 vcc, 0, v[5:6]
	v_not_b32_e32 v4, v6
	v_ashrrev_i32_e32 v4, 31, v4
	v_xor_b32_e32 v6, vcc_hi, v4
	v_xor_b32_e32 v4, vcc_lo, v4
	v_and_b32_e32 v1, v1, v6
	v_lshlrev_b32_sdwa v6, v16, v12 dst_sel:DWORD dst_unused:UNUSED_PAD src0_sel:DWORD src1_sel:WORD_1
	v_and_b32_e32 v2, v2, v4
	v_cmp_gt_i64_e32 vcc, 0, v[5:6]
	v_not_b32_e32 v4, v6
	v_ashrrev_i32_e32 v4, 31, v4
	v_xor_b32_e32 v6, vcc_hi, v4
	v_xor_b32_e32 v4, vcc_lo, v4
	v_and_b32_e32 v1, v1, v6
	v_lshlrev_b32_sdwa v6, v17, v12 dst_sel:DWORD dst_unused:UNUSED_PAD src0_sel:DWORD src1_sel:WORD_1
	v_and_b32_e32 v2, v2, v4
	;; [unrolled: 8-line block ×4, first 2 shown]
	v_cmp_gt_i64_e32 vcc, 0, v[5:6]
	v_not_b32_e32 v2, v6
	v_ashrrev_i32_e32 v2, 31, v2
	v_xor_b32_e32 v6, vcc_hi, v2
	v_xor_b32_e32 v28, vcc_lo, v2
	v_and_b32_e32 v2, v1, v6
	v_and_b32_e32 v1, v4, v28
	v_mbcnt_lo_u32_b32 v4, v1, 0
	v_mbcnt_hi_u32_b32 v6, v2, v4
	v_cmp_ne_u64_e32 vcc, 0, v[1:2]
	v_cmp_eq_u32_e64 s[24:25], 0, v6
	s_and_b64 s[38:39], s[24:25], vcc
	v_add_u32_e32 v28, v27, v3
	s_waitcnt lgkmcnt(0)
	s_barrier
	; wave barrier
	s_and_saveexec_b64 s[24:25], s[38:39]
; %bb.19:                               ;   in Loop: Header=BB345_2 Depth=1
	v_bcnt_u32_b32 v1, v1, 0
	v_bcnt_u32_b32 v1, v2, v1
	ds_write_b32 v28, v1 offset:8
; %bb.20:                               ;   in Loop: Header=BB345_2 Depth=1
	s_or_b64 exec, exec, s[24:25]
	; wave barrier
	s_waitcnt lgkmcnt(0)
	s_barrier
	ds_read2_b64 v[1:4], v20 offset0:1 offset1:2
	s_waitcnt lgkmcnt(0)
	v_add_u32_e32 v29, v2, v1
	v_add3_u32 v4, v29, v3, v4
	s_nop 1
	v_mov_b32_dpp v29, v4 row_shr:1 row_mask:0xf bank_mask:0xf
	v_cndmask_b32_e64 v29, v29, 0, s[10:11]
	v_add_u32_e32 v4, v29, v4
	s_nop 1
	v_mov_b32_dpp v29, v4 row_shr:2 row_mask:0xf bank_mask:0xf
	v_cndmask_b32_e64 v29, 0, v29, s[12:13]
	v_add_u32_e32 v4, v4, v29
	;; [unrolled: 4-line block ×4, first 2 shown]
	s_nop 1
	v_mov_b32_dpp v29, v4 row_bcast:15 row_mask:0xf bank_mask:0xf
	v_cndmask_b32_e64 v29, v29, 0, s[18:19]
	v_add_u32_e32 v4, v4, v29
	s_nop 1
	v_mov_b32_dpp v29, v4 row_bcast:31 row_mask:0xf bank_mask:0xf
	v_cndmask_b32_e64 v29, 0, v29, s[6:7]
	v_add_u32_e32 v4, v4, v29
	s_and_saveexec_b64 s[24:25], s[20:21]
; %bb.21:                               ;   in Loop: Header=BB345_2 Depth=1
	ds_write_b32 v21, v4
; %bb.22:                               ;   in Loop: Header=BB345_2 Depth=1
	s_or_b64 exec, exec, s[24:25]
	s_waitcnt lgkmcnt(0)
	s_barrier
	s_and_saveexec_b64 s[24:25], s[0:1]
	s_cbranch_execz .LBB345_24
; %bb.23:                               ;   in Loop: Header=BB345_2 Depth=1
	ds_read_b32 v29, v22
	s_waitcnt lgkmcnt(0)
	s_nop 0
	v_mov_b32_dpp v30, v29 row_shr:1 row_mask:0xf bank_mask:0xf
	v_cndmask_b32_e64 v30, v30, 0, s[22:23]
	v_add_u32_e32 v29, v30, v29
	ds_write_b32 v22, v29
.LBB345_24:                             ;   in Loop: Header=BB345_2 Depth=1
	s_or_b64 exec, exec, s[24:25]
	v_mov_b32_e32 v29, 0
	s_waitcnt lgkmcnt(0)
	s_barrier
	s_and_saveexec_b64 s[24:25], s[2:3]
; %bb.25:                               ;   in Loop: Header=BB345_2 Depth=1
	ds_read_b32 v29, v23
; %bb.26:                               ;   in Loop: Header=BB345_2 Depth=1
	s_or_b64 exec, exec, s[24:25]
	s_waitcnt lgkmcnt(0)
	v_add_u32_e32 v4, v29, v4
	ds_bpermute_b32 v4, v26, v4
	s_mov_b32 s37, 24
	s_mov_b32 s38, 8
	s_waitcnt lgkmcnt(0)
	v_cndmask_b32_e64 v4, v4, v29, s[8:9]
	v_cndmask_b32_e64 v29, v4, 0, s[4:5]
	v_add_u32_e32 v30, v29, v1
	v_add_u32_e32 v1, v30, v2
	;; [unrolled: 1-line block ×3, first 2 shown]
	ds_write2_b64 v20, v[29:30], v[1:2] offset0:1 offset1:2
	s_waitcnt lgkmcnt(0)
	s_barrier
	ds_read_b32 v1, v28 offset:8
	v_lshlrev_b32_e32 v2, 3, v6
	s_waitcnt lgkmcnt(0)
	s_barrier
	v_lshl_add_u32 v1, v1, 3, v2
	ds_write_b64 v1, v[11:12]
	s_waitcnt lgkmcnt(0)
	s_barrier
	ds_read_b64 v[11:12], v24
	s_waitcnt lgkmcnt(0)
	s_barrier
	ds_write_b64 v1, v[13:14]
	s_waitcnt lgkmcnt(0)
	s_barrier
	ds_read_b64 v[13:14], v24
	s_waitcnt lgkmcnt(0)
	s_barrier
	s_branch .LBB345_28
.LBB345_27:                             ;   in Loop: Header=BB345_28 Depth=2
	s_barrier
	ds_write_b64 v6, v[3:4]
	s_waitcnt lgkmcnt(0)
	s_barrier
	ds_read_b64 v[11:12], v24
	s_waitcnt lgkmcnt(0)
	s_barrier
	ds_write_b64 v6, v[1:2]
	s_waitcnt lgkmcnt(0)
	s_barrier
	ds_read_b64 v[13:14], v24
	s_add_i32 s38, s38, -8
	s_add_i32 s37, s37, 8
	s_waitcnt lgkmcnt(0)
	s_barrier
	s_cbranch_execz .LBB345_1
.LBB345_28:                             ;   Parent Loop BB345_2 Depth=1
                                        ; =>  This Inner Loop Header: Depth=2
	s_cmp_lt_u32 s37, 32
	s_cselect_b64 vcc, -1, 0
	s_cmp_gt_u32 s37, 31
	s_cselect_b64 s[24:25], -1, 0
	s_max_i32 s39, s38, 0
	s_max_i32 s40, s37, 32
	s_sub_i32 s41, s40, 32
	s_sub_i32 s40, s40, s39
	;; [unrolled: 1-line block ×3, first 2 shown]
	s_min_i32 s40, s40, 32
	s_sub_i32 s40, s40, s41
	s_lshl_b32 s42, -1, s40
	v_mov_b32_e32 v1, s30
	v_mov_b32_e32 v3, s34
	s_not_b32 s42, s42
	v_mov_b32_e32 v2, s31
	v_mov_b32_e32 v4, s35
	s_cmp_lg_u32 s40, 32
	ds_write2_b64 v20, v[1:2], v[3:4] offset0:1 offset1:2
	s_cselect_b32 s40, s42, -1
	v_lshrrev_b32_e32 v2, s41, v11
	v_lshrrev_b32_e32 v1, s37, v12
	v_and_b32_e32 v2, s40, v2
	v_bfe_u32 v1, v1, 0, s38
	v_lshlrev_b32_e32 v2, s39, v2
	v_cndmask_b32_e32 v1, 0, v1, vcc
	v_cndmask_b32_e64 v2, 0, v2, s[24:25]
	v_or_b32_e32 v1, v1, v2
	v_and_b32_e32 v2, 1, v1
	v_add_co_u32_e32 v4, vcc, -1, v2
	v_addc_co_u32_e64 v6, s[24:25], 0, -1, vcc
	v_cmp_ne_u32_e32 vcc, 0, v2
	v_xor_b32_e32 v2, vcc_hi, v6
	v_lshlrev_b32_e32 v6, 30, v1
	v_xor_b32_e32 v4, vcc_lo, v4
	v_cmp_gt_i64_e32 vcc, 0, v[5:6]
	v_not_b32_e32 v6, v6
	v_ashrrev_i32_e32 v6, 31, v6
	v_and_b32_e32 v4, exec_lo, v4
	v_xor_b32_e32 v28, vcc_hi, v6
	v_xor_b32_e32 v6, vcc_lo, v6
	v_and_b32_e32 v4, v4, v6
	v_lshlrev_b32_e32 v6, 29, v1
	v_cmp_gt_i64_e32 vcc, 0, v[5:6]
	v_not_b32_e32 v6, v6
	v_and_b32_e32 v2, exec_hi, v2
	v_ashrrev_i32_e32 v6, 31, v6
	v_and_b32_e32 v2, v2, v28
	v_xor_b32_e32 v28, vcc_hi, v6
	v_xor_b32_e32 v6, vcc_lo, v6
	v_and_b32_e32 v4, v4, v6
	v_lshlrev_b32_e32 v6, 28, v1
	v_cmp_gt_i64_e32 vcc, 0, v[5:6]
	v_not_b32_e32 v6, v6
	v_ashrrev_i32_e32 v6, 31, v6
	v_and_b32_e32 v2, v2, v28
	v_xor_b32_e32 v28, vcc_hi, v6
	v_xor_b32_e32 v6, vcc_lo, v6
	v_and_b32_e32 v4, v4, v6
	v_lshlrev_b32_e32 v6, 27, v1
	v_cmp_gt_i64_e32 vcc, 0, v[5:6]
	v_not_b32_e32 v6, v6
	;; [unrolled: 8-line block ×4, first 2 shown]
	v_ashrrev_i32_e32 v6, 31, v6
	v_and_b32_e32 v2, v2, v28
	v_xor_b32_e32 v28, vcc_hi, v6
	v_xor_b32_e32 v6, vcc_lo, v6
	v_and_b32_e32 v4, v4, v6
	v_lshlrev_b32_e32 v6, 24, v1
	v_lshlrev_b32_e32 v3, 3, v1
	v_cmp_gt_i64_e32 vcc, 0, v[5:6]
	v_not_b32_e32 v1, v6
	v_ashrrev_i32_e32 v1, 31, v1
	v_xor_b32_e32 v6, vcc_hi, v1
	v_xor_b32_e32 v1, vcc_lo, v1
	v_and_b32_e32 v2, v2, v28
	v_and_b32_e32 v1, v4, v1
	;; [unrolled: 1-line block ×3, first 2 shown]
	v_mbcnt_lo_u32_b32 v4, v1, 0
	v_mbcnt_hi_u32_b32 v6, v2, v4
	v_cmp_ne_u64_e32 vcc, 0, v[1:2]
	v_cmp_eq_u32_e64 s[24:25], 0, v6
	s_and_b64 s[40:41], s[24:25], vcc
	v_add_u32_e32 v28, v27, v3
	s_waitcnt lgkmcnt(0)
	s_barrier
	; wave barrier
	s_and_saveexec_b64 s[24:25], s[40:41]
; %bb.29:                               ;   in Loop: Header=BB345_28 Depth=2
	v_bcnt_u32_b32 v1, v1, 0
	v_bcnt_u32_b32 v1, v2, v1
	ds_write_b32 v28, v1 offset:8
; %bb.30:                               ;   in Loop: Header=BB345_28 Depth=2
	s_or_b64 exec, exec, s[24:25]
	; wave barrier
	s_waitcnt lgkmcnt(0)
	s_barrier
	ds_read2_b64 v[1:4], v20 offset0:1 offset1:2
	s_waitcnt lgkmcnt(0)
	v_add_u32_e32 v29, v2, v1
	v_add3_u32 v4, v29, v3, v4
	s_nop 1
	v_mov_b32_dpp v29, v4 row_shr:1 row_mask:0xf bank_mask:0xf
	v_cndmask_b32_e64 v29, v29, 0, s[10:11]
	v_add_u32_e32 v4, v29, v4
	s_nop 1
	v_mov_b32_dpp v29, v4 row_shr:2 row_mask:0xf bank_mask:0xf
	v_cndmask_b32_e64 v29, 0, v29, s[12:13]
	v_add_u32_e32 v4, v4, v29
	;; [unrolled: 4-line block ×4, first 2 shown]
	s_nop 1
	v_mov_b32_dpp v29, v4 row_bcast:15 row_mask:0xf bank_mask:0xf
	v_cndmask_b32_e64 v29, v29, 0, s[18:19]
	v_add_u32_e32 v4, v4, v29
	s_nop 1
	v_mov_b32_dpp v29, v4 row_bcast:31 row_mask:0xf bank_mask:0xf
	v_cndmask_b32_e64 v29, 0, v29, s[6:7]
	v_add_u32_e32 v4, v4, v29
	s_and_saveexec_b64 s[24:25], s[20:21]
; %bb.31:                               ;   in Loop: Header=BB345_28 Depth=2
	ds_write_b32 v21, v4
; %bb.32:                               ;   in Loop: Header=BB345_28 Depth=2
	s_or_b64 exec, exec, s[24:25]
	s_waitcnt lgkmcnt(0)
	s_barrier
	s_and_saveexec_b64 s[24:25], s[0:1]
	s_cbranch_execz .LBB345_34
; %bb.33:                               ;   in Loop: Header=BB345_28 Depth=2
	ds_read_b32 v29, v22
	s_waitcnt lgkmcnt(0)
	s_nop 0
	v_mov_b32_dpp v30, v29 row_shr:1 row_mask:0xf bank_mask:0xf
	v_cndmask_b32_e64 v30, v30, 0, s[22:23]
	v_add_u32_e32 v29, v30, v29
	ds_write_b32 v22, v29
.LBB345_34:                             ;   in Loop: Header=BB345_28 Depth=2
	s_or_b64 exec, exec, s[24:25]
	v_mov_b32_e32 v29, 0
	s_waitcnt lgkmcnt(0)
	s_barrier
	s_and_saveexec_b64 s[24:25], s[2:3]
; %bb.35:                               ;   in Loop: Header=BB345_28 Depth=2
	ds_read_b32 v29, v23
; %bb.36:                               ;   in Loop: Header=BB345_28 Depth=2
	s_or_b64 exec, exec, s[24:25]
	s_waitcnt lgkmcnt(0)
	v_add_u32_e32 v4, v29, v4
	ds_bpermute_b32 v4, v26, v4
	s_cmp_gt_u32 s37, 55
	s_waitcnt lgkmcnt(0)
	v_cndmask_b32_e64 v4, v4, v29, s[8:9]
	v_cndmask_b32_e64 v29, v4, 0, s[4:5]
	v_add_u32_e32 v30, v29, v1
	v_add_u32_e32 v1, v30, v2
	;; [unrolled: 1-line block ×3, first 2 shown]
	ds_write2_b64 v20, v[29:30], v[1:2] offset0:1 offset1:2
	s_waitcnt lgkmcnt(0)
	s_barrier
	ds_read_b32 v1, v28 offset:8
	v_lshlrev_b32_e32 v2, 3, v6
	v_mov_b32_e32 v3, v11
	v_mov_b32_e32 v4, v12
	s_waitcnt lgkmcnt(0)
	v_lshl_add_u32 v6, v1, 3, v2
	v_mov_b32_e32 v1, v13
	v_mov_b32_e32 v2, v14
	s_cbranch_scc0 .LBB345_27
; %bb.37:                               ;   in Loop: Header=BB345_2 Depth=1
                                        ; implicit-def: $sgpr37
                                        ; implicit-def: $vgpr13
                                        ; implicit-def: $vgpr11
                                        ; implicit-def: $sgpr38
	s_branch .LBB345_1
.LBB345_38:
	s_brev_b32 s0, 1
	s_waitcnt lgkmcnt(0)
	v_add3_u32 v1, v13, v11, s0
	v_add3_u32 v2, v14, v12, s0
	s_add_u32 s0, s26, s28
	s_addc_u32 s1, s27, s29
	v_lshlrev_b32_e32 v0, 3, v0
	global_store_dwordx2 v0, v[1:2], s[0:1]
	s_endpgm
	.section	.rodata,"a",@progbits
	.p2align	6, 0x0
	.amdhsa_kernel _Z17sort_pairs_kernelI22helper_blocked_stripedN15benchmark_utils11custom_typeIiiEELj128ELj1ELj10EEvPKT0_PS4_
		.amdhsa_group_segment_fixed_size 2064
		.amdhsa_private_segment_fixed_size 0
		.amdhsa_kernarg_size 272
		.amdhsa_user_sgpr_count 6
		.amdhsa_user_sgpr_private_segment_buffer 1
		.amdhsa_user_sgpr_dispatch_ptr 0
		.amdhsa_user_sgpr_queue_ptr 0
		.amdhsa_user_sgpr_kernarg_segment_ptr 1
		.amdhsa_user_sgpr_dispatch_id 0
		.amdhsa_user_sgpr_flat_scratch_init 0
		.amdhsa_user_sgpr_private_segment_size 0
		.amdhsa_uses_dynamic_stack 0
		.amdhsa_system_sgpr_private_segment_wavefront_offset 0
		.amdhsa_system_sgpr_workgroup_id_x 1
		.amdhsa_system_sgpr_workgroup_id_y 0
		.amdhsa_system_sgpr_workgroup_id_z 0
		.amdhsa_system_sgpr_workgroup_info 0
		.amdhsa_system_vgpr_workitem_id 2
		.amdhsa_next_free_vgpr 31
		.amdhsa_next_free_sgpr 61
		.amdhsa_reserve_vcc 1
		.amdhsa_reserve_flat_scratch 0
		.amdhsa_float_round_mode_32 0
		.amdhsa_float_round_mode_16_64 0
		.amdhsa_float_denorm_mode_32 3
		.amdhsa_float_denorm_mode_16_64 3
		.amdhsa_dx10_clamp 1
		.amdhsa_ieee_mode 1
		.amdhsa_fp16_overflow 0
		.amdhsa_exception_fp_ieee_invalid_op 0
		.amdhsa_exception_fp_denorm_src 0
		.amdhsa_exception_fp_ieee_div_zero 0
		.amdhsa_exception_fp_ieee_overflow 0
		.amdhsa_exception_fp_ieee_underflow 0
		.amdhsa_exception_fp_ieee_inexact 0
		.amdhsa_exception_int_div_zero 0
	.end_amdhsa_kernel
	.section	.text._Z17sort_pairs_kernelI22helper_blocked_stripedN15benchmark_utils11custom_typeIiiEELj128ELj1ELj10EEvPKT0_PS4_,"axG",@progbits,_Z17sort_pairs_kernelI22helper_blocked_stripedN15benchmark_utils11custom_typeIiiEELj128ELj1ELj10EEvPKT0_PS4_,comdat
.Lfunc_end345:
	.size	_Z17sort_pairs_kernelI22helper_blocked_stripedN15benchmark_utils11custom_typeIiiEELj128ELj1ELj10EEvPKT0_PS4_, .Lfunc_end345-_Z17sort_pairs_kernelI22helper_blocked_stripedN15benchmark_utils11custom_typeIiiEELj128ELj1ELj10EEvPKT0_PS4_
                                        ; -- End function
	.set _Z17sort_pairs_kernelI22helper_blocked_stripedN15benchmark_utils11custom_typeIiiEELj128ELj1ELj10EEvPKT0_PS4_.num_vgpr, 31
	.set _Z17sort_pairs_kernelI22helper_blocked_stripedN15benchmark_utils11custom_typeIiiEELj128ELj1ELj10EEvPKT0_PS4_.num_agpr, 0
	.set _Z17sort_pairs_kernelI22helper_blocked_stripedN15benchmark_utils11custom_typeIiiEELj128ELj1ELj10EEvPKT0_PS4_.numbered_sgpr, 43
	.set _Z17sort_pairs_kernelI22helper_blocked_stripedN15benchmark_utils11custom_typeIiiEELj128ELj1ELj10EEvPKT0_PS4_.num_named_barrier, 0
	.set _Z17sort_pairs_kernelI22helper_blocked_stripedN15benchmark_utils11custom_typeIiiEELj128ELj1ELj10EEvPKT0_PS4_.private_seg_size, 0
	.set _Z17sort_pairs_kernelI22helper_blocked_stripedN15benchmark_utils11custom_typeIiiEELj128ELj1ELj10EEvPKT0_PS4_.uses_vcc, 1
	.set _Z17sort_pairs_kernelI22helper_blocked_stripedN15benchmark_utils11custom_typeIiiEELj128ELj1ELj10EEvPKT0_PS4_.uses_flat_scratch, 0
	.set _Z17sort_pairs_kernelI22helper_blocked_stripedN15benchmark_utils11custom_typeIiiEELj128ELj1ELj10EEvPKT0_PS4_.has_dyn_sized_stack, 0
	.set _Z17sort_pairs_kernelI22helper_blocked_stripedN15benchmark_utils11custom_typeIiiEELj128ELj1ELj10EEvPKT0_PS4_.has_recursion, 0
	.set _Z17sort_pairs_kernelI22helper_blocked_stripedN15benchmark_utils11custom_typeIiiEELj128ELj1ELj10EEvPKT0_PS4_.has_indirect_call, 0
	.section	.AMDGPU.csdata,"",@progbits
; Kernel info:
; codeLenInByte = 3916
; TotalNumSgprs: 47
; NumVgprs: 31
; ScratchSize: 0
; MemoryBound: 0
; FloatMode: 240
; IeeeMode: 1
; LDSByteSize: 2064 bytes/workgroup (compile time only)
; SGPRBlocks: 8
; VGPRBlocks: 7
; NumSGPRsForWavesPerEU: 65
; NumVGPRsForWavesPerEU: 31
; Occupancy: 8
; WaveLimiterHint : 0
; COMPUTE_PGM_RSRC2:SCRATCH_EN: 0
; COMPUTE_PGM_RSRC2:USER_SGPR: 6
; COMPUTE_PGM_RSRC2:TRAP_HANDLER: 0
; COMPUTE_PGM_RSRC2:TGID_X_EN: 1
; COMPUTE_PGM_RSRC2:TGID_Y_EN: 0
; COMPUTE_PGM_RSRC2:TGID_Z_EN: 0
; COMPUTE_PGM_RSRC2:TIDIG_COMP_CNT: 2
	.section	.text._Z16sort_keys_kernelI22helper_blocked_stripedN15benchmark_utils11custom_typeIiiEELj128ELj3ELj10EEvPKT0_PS4_,"axG",@progbits,_Z16sort_keys_kernelI22helper_blocked_stripedN15benchmark_utils11custom_typeIiiEELj128ELj3ELj10EEvPKT0_PS4_,comdat
	.protected	_Z16sort_keys_kernelI22helper_blocked_stripedN15benchmark_utils11custom_typeIiiEELj128ELj3ELj10EEvPKT0_PS4_ ; -- Begin function _Z16sort_keys_kernelI22helper_blocked_stripedN15benchmark_utils11custom_typeIiiEELj128ELj3ELj10EEvPKT0_PS4_
	.globl	_Z16sort_keys_kernelI22helper_blocked_stripedN15benchmark_utils11custom_typeIiiEELj128ELj3ELj10EEvPKT0_PS4_
	.p2align	8
	.type	_Z16sort_keys_kernelI22helper_blocked_stripedN15benchmark_utils11custom_typeIiiEELj128ELj3ELj10EEvPKT0_PS4_,@function
_Z16sort_keys_kernelI22helper_blocked_stripedN15benchmark_utils11custom_typeIiiEELj128ELj3ELj10EEvPKT0_PS4_: ; @_Z16sort_keys_kernelI22helper_blocked_stripedN15benchmark_utils11custom_typeIiiEELj128ELj3ELj10EEvPKT0_PS4_
; %bb.0:
	s_load_dwordx4 s[28:31], s[4:5], 0x0
	s_load_dword s2, s[4:5], 0x1c
	s_mul_i32 s34, s6, 0x180
	s_mov_b32 s35, 0
	s_lshl_b64 s[36:37], s[34:35], 3
	s_waitcnt lgkmcnt(0)
	s_add_u32 s0, s28, s36
	v_mul_u32_u24_e32 v3, 3, v0
	s_addc_u32 s1, s29, s37
	v_lshlrev_b32_e32 v7, 3, v3
	global_load_dwordx2 v[8:9], v7, s[0:1] offset:16
	global_load_dwordx4 v[3:6], v7, s[0:1]
	global_load_dwordx2 v[3:4], v7, s[0:1]
                                        ; kill: killed $vgpr7
	v_mbcnt_lo_u32_b32 v7, -1, 0
                                        ; kill: killed $sgpr0 killed $sgpr1
	v_mbcnt_hi_u32_b32 v7, -1, v7
	s_lshr_b32 s0, s2, 16
	v_lshrrev_b32_e32 v10, 6, v0
	s_and_b32 s1, s2, 0xffff
	v_mad_u32_u24 v1, v2, s0, v1
	v_and_b32_e32 v2, 15, v7
	v_mul_u32_u24_e32 v11, 0xc0, v10
	v_mad_u32_u24 v1, v1, s1, v0
	v_cmp_eq_u32_e64 s[0:1], 0, v2
	v_cmp_lt_u32_e64 s[2:3], 1, v2
	v_cmp_lt_u32_e64 s[4:5], 3, v2
	;; [unrolled: 1-line block ×3, first 2 shown]
	v_and_b32_e32 v2, 16, v7
	v_lshlrev_b32_e32 v11, 3, v11
	v_lshlrev_b32_e32 v12, 3, v7
	v_cmp_eq_u32_e64 s[8:9], 0, v2
	v_and_b32_e32 v2, 64, v0
	v_mad_u32_u24 v15, v7, 24, v11
	v_add_u32_e32 v16, v12, v11
	v_or_b32_e32 v11, 63, v2
	v_cmp_eq_u32_e64 s[12:13], v0, v11
	v_subrev_co_u32_e64 v11, s[18:19], 1, v7
	v_and_b32_e32 v13, 64, v7
	v_lshlrev_b32_e32 v17, 4, v0
	v_cmp_lt_i32_e32 vcc, v11, v13
	v_lshrrev_b32_e32 v1, 4, v1
	v_cmp_lt_u32_e64 s[10:11], 31, v7
	v_cndmask_b32_e32 v11, v11, v7, vcc
	v_mad_i32_i24 v20, v0, -12, v17
	v_and_b32_e32 v7, 1, v7
	v_mul_u32_u24_e32 v2, 24, v2
	v_and_b32_e32 v21, 0xffffffc, v1
	v_lshlrev_b32_e32 v1, 2, v0
	v_cmp_gt_u32_e64 s[14:15], 2, v0
	v_cmp_lt_u32_e64 s[16:17], 63, v0
	v_lshlrev_b32_e32 v18, 2, v11
	v_cmp_eq_u32_e64 s[20:21], 0, v0
	v_lshlrev_b32_e32 v19, 2, v10
	v_cmp_eq_u32_e64 s[22:23], 0, v7
	s_mov_b32 s34, s35
	s_mov_b32 s38, s35
	;; [unrolled: 1-line block ×3, first 2 shown]
	v_mov_b32_e32 v7, 0
	v_add_u32_e32 v22, v12, v2
	v_add_u32_e32 v23, v20, v1
	s_mov_b32 s33, s35
	s_branch .LBB346_2
.LBB346_1:                              ;   in Loop: Header=BB346_2 Depth=1
	s_barrier
	ds_write_b64 v25, v[11:12]
	ds_write_b64 v24, v[9:10]
	;; [unrolled: 1-line block ×3, first 2 shown]
	s_waitcnt lgkmcnt(0)
	s_barrier
	ds_read2st64_b64 v[3:6], v23 offset1:2
	ds_read_b64 v[1:2], v23 offset:2048
	s_add_i32 s33, s33, 1
	s_cmp_eq_u32 s33, 10
	s_waitcnt lgkmcnt(1)
	v_xor_b32_e32 v3, 0x80000000, v3
	v_xor_b32_e32 v4, 0x80000000, v4
	;; [unrolled: 1-line block ×4, first 2 shown]
	s_waitcnt lgkmcnt(0)
	v_xor_b32_e32 v8, 0x80000000, v1
	v_xor_b32_e32 v9, 0x80000000, v2
	s_cbranch_scc1 .LBB346_18
.LBB346_2:                              ; =>This Loop Header: Depth=1
                                        ;     Child Loop BB346_4 Depth 2
	s_waitcnt vmcnt(0)
	v_xor_b32_e32 v2, 0x80000000, v4
	v_xor_b32_e32 v1, 0x80000000, v3
	v_xor_b32_e32 v4, 0x80000000, v6
	v_xor_b32_e32 v3, 0x80000000, v5
	v_xor_b32_e32 v6, 0x80000000, v9
	v_xor_b32_e32 v5, 0x80000000, v8
	ds_write2_b64 v15, v[1:2], v[3:4] offset1:1
	ds_write_b64 v15, v[5:6] offset:16
	; wave barrier
	ds_read2st64_b64 v[1:4], v16 offset1:1
	ds_read_b64 v[13:14], v16 offset:1024
	s_mov_b32 s40, 8
	s_mov_b32 s41, 32
	;; [unrolled: 1-line block ×3, first 2 shown]
	s_waitcnt lgkmcnt(0)
	s_barrier
	; wave barrier
	s_barrier
	s_branch .LBB346_4
.LBB346_3:                              ;   in Loop: Header=BB346_4 Depth=2
	s_andn2_b64 vcc, exec, s[24:25]
	s_cbranch_vccz .LBB346_1
.LBB346_4:                              ;   Parent Loop BB346_2 Depth=1
                                        ; =>  This Inner Loop Header: Depth=2
	s_min_i32 s26, s40, 32
	s_cmp_lt_u32 s42, 32
	s_cselect_b64 s[24:25], -1, 0
	s_cmp_gt_u32 s42, 31
	s_cselect_b64 vcc, -1, 0
	s_sub_i32 s26, s26, 32
	s_add_i32 s27, s26, s41
	s_lshl_b32 s27, -1, s27
	s_not_b32 s27, s27
	s_cmp_lg_u32 s26, s42
	s_cselect_b32 s44, s27, -1
	s_max_i32 s43, s41, 0
	s_max_i32 s26, s42, 32
	s_sub_i32 s45, s26, 32
	s_sub_i32 s26, s26, s43
	;; [unrolled: 1-line block ×3, first 2 shown]
	s_min_i32 s26, s26, 32
	s_sub_i32 s26, s26, s45
	v_mov_b32_e32 v12, v2
	v_mov_b32_e32 v10, v4
	s_lshl_b32 s27, -1, s26
	v_mov_b32_e32 v11, v1
	v_mov_b32_e32 v9, v3
	;; [unrolled: 1-line block ×4, first 2 shown]
	s_not_b32 s27, s27
	v_mov_b32_e32 v2, s35
	v_mov_b32_e32 v4, s39
	s_cmp_lg_u32 s26, 32
	ds_write2_b64 v17, v[1:2], v[3:4] offset0:1 offset1:2
	s_cselect_b32 s46, s27, -1
	v_lshrrev_b32_e32 v2, s45, v11
	v_lshrrev_b32_e32 v1, s42, v12
	v_and_b32_e32 v2, s46, v2
	v_and_b32_e32 v1, s44, v1
	v_lshlrev_b32_e32 v2, s43, v2
	v_cndmask_b32_e64 v1, 0, v1, s[24:25]
	v_cndmask_b32_e32 v2, 0, v2, vcc
	v_or_b32_e32 v1, v1, v2
	v_and_b32_e32 v2, 1, v1
	v_add_co_u32_e64 v4, s[26:27], -1, v2
	v_addc_co_u32_e64 v8, s[26:27], 0, -1, s[26:27]
	v_cmp_ne_u32_e64 s[26:27], 0, v2
	v_xor_b32_e32 v2, s27, v8
	v_lshlrev_b32_e32 v8, 30, v1
	v_xor_b32_e32 v4, s26, v4
	v_cmp_gt_i64_e64 s[26:27], 0, v[7:8]
	v_not_b32_e32 v8, v8
	v_mov_b32_e32 v5, v13
	v_ashrrev_i32_e32 v8, 31, v8
	v_mov_b32_e32 v6, v14
	v_and_b32_e32 v4, exec_lo, v4
	v_xor_b32_e32 v13, s27, v8
	v_xor_b32_e32 v8, s26, v8
	v_and_b32_e32 v4, v4, v8
	v_lshlrev_b32_e32 v8, 29, v1
	v_cmp_gt_i64_e64 s[26:27], 0, v[7:8]
	v_not_b32_e32 v8, v8
	v_and_b32_e32 v2, exec_hi, v2
	v_ashrrev_i32_e32 v8, 31, v8
	v_and_b32_e32 v2, v2, v13
	v_xor_b32_e32 v13, s27, v8
	v_xor_b32_e32 v8, s26, v8
	v_and_b32_e32 v4, v4, v8
	v_lshlrev_b32_e32 v8, 28, v1
	v_cmp_gt_i64_e64 s[26:27], 0, v[7:8]
	v_not_b32_e32 v8, v8
	v_ashrrev_i32_e32 v8, 31, v8
	v_and_b32_e32 v2, v2, v13
	v_xor_b32_e32 v13, s27, v8
	v_xor_b32_e32 v8, s26, v8
	v_and_b32_e32 v4, v4, v8
	v_lshlrev_b32_e32 v8, 27, v1
	v_cmp_gt_i64_e64 s[26:27], 0, v[7:8]
	v_not_b32_e32 v8, v8
	;; [unrolled: 8-line block ×4, first 2 shown]
	v_ashrrev_i32_e32 v8, 31, v8
	v_and_b32_e32 v2, v2, v13
	v_xor_b32_e32 v13, s27, v8
	v_xor_b32_e32 v8, s26, v8
	v_and_b32_e32 v4, v4, v8
	v_lshlrev_b32_e32 v8, 24, v1
	v_lshlrev_b32_e32 v3, 3, v1
	v_cmp_gt_i64_e64 s[26:27], 0, v[7:8]
	v_not_b32_e32 v1, v8
	v_ashrrev_i32_e32 v1, 31, v1
	v_xor_b32_e32 v8, s27, v1
	v_xor_b32_e32 v1, s26, v1
	v_and_b32_e32 v2, v2, v13
	v_and_b32_e32 v1, v4, v1
	;; [unrolled: 1-line block ×3, first 2 shown]
	v_mbcnt_lo_u32_b32 v4, v1, 0
	v_mbcnt_hi_u32_b32 v13, v2, v4
	v_cmp_ne_u64_e64 s[26:27], 0, v[1:2]
	v_cmp_eq_u32_e64 s[28:29], 0, v13
	s_and_b64 s[28:29], s[28:29], s[26:27]
	v_add_u32_e32 v14, v21, v3
	s_waitcnt lgkmcnt(0)
	s_barrier
	; wave barrier
	s_and_saveexec_b64 s[26:27], s[28:29]
; %bb.5:                                ;   in Loop: Header=BB346_4 Depth=2
	v_bcnt_u32_b32 v1, v1, 0
	v_bcnt_u32_b32 v1, v2, v1
	ds_write_b32 v14, v1 offset:8
; %bb.6:                                ;   in Loop: Header=BB346_4 Depth=2
	s_or_b64 exec, exec, s[26:27]
	v_lshrrev_b32_e32 v2, s45, v9
	v_lshrrev_b32_e32 v1, s42, v10
	v_and_b32_e32 v2, s46, v2
	v_and_b32_e32 v1, s44, v1
	v_lshlrev_b32_e32 v2, s43, v2
	v_cndmask_b32_e64 v1, 0, v1, s[24:25]
	v_cndmask_b32_e32 v2, 0, v2, vcc
	v_or_b32_e32 v1, v1, v2
	v_lshlrev_b32_e32 v2, 3, v1
	v_add_u32_e32 v25, v21, v2
	v_and_b32_e32 v2, 1, v1
	v_add_co_u32_e64 v3, s[26:27], -1, v2
	v_addc_co_u32_e64 v4, s[26:27], 0, -1, s[26:27]
	v_cmp_ne_u32_e64 s[26:27], 0, v2
	v_lshlrev_b32_e32 v8, 30, v1
	v_xor_b32_e32 v2, s27, v4
	v_xor_b32_e32 v3, s26, v3
	v_cmp_gt_i64_e64 s[26:27], 0, v[7:8]
	v_not_b32_e32 v4, v8
	v_ashrrev_i32_e32 v4, 31, v4
	v_and_b32_e32 v2, exec_hi, v2
	v_xor_b32_e32 v8, s27, v4
	v_and_b32_e32 v3, exec_lo, v3
	v_xor_b32_e32 v4, s26, v4
	v_and_b32_e32 v2, v2, v8
	v_lshlrev_b32_e32 v8, 29, v1
	v_and_b32_e32 v3, v3, v4
	v_cmp_gt_i64_e64 s[26:27], 0, v[7:8]
	v_not_b32_e32 v4, v8
	v_ashrrev_i32_e32 v4, 31, v4
	v_xor_b32_e32 v8, s27, v4
	v_xor_b32_e32 v4, s26, v4
	v_and_b32_e32 v2, v2, v8
	v_lshlrev_b32_e32 v8, 28, v1
	v_and_b32_e32 v3, v3, v4
	v_cmp_gt_i64_e64 s[26:27], 0, v[7:8]
	v_not_b32_e32 v4, v8
	v_ashrrev_i32_e32 v4, 31, v4
	v_xor_b32_e32 v8, s27, v4
	;; [unrolled: 8-line block ×5, first 2 shown]
	v_and_b32_e32 v2, v2, v8
	v_lshlrev_b32_e32 v8, 24, v1
	v_xor_b32_e32 v4, s26, v4
	v_cmp_gt_i64_e64 s[26:27], 0, v[7:8]
	v_not_b32_e32 v1, v8
	v_ashrrev_i32_e32 v1, 31, v1
	v_and_b32_e32 v3, v3, v4
	v_xor_b32_e32 v4, s27, v1
	v_xor_b32_e32 v1, s26, v1
	; wave barrier
	ds_read_b32 v24, v25 offset:8
	v_and_b32_e32 v1, v3, v1
	v_and_b32_e32 v2, v2, v4
	v_mbcnt_lo_u32_b32 v3, v1, 0
	v_mbcnt_hi_u32_b32 v26, v2, v3
	v_cmp_ne_u64_e64 s[26:27], 0, v[1:2]
	v_cmp_eq_u32_e64 s[28:29], 0, v26
	s_and_b64 s[28:29], s[28:29], s[26:27]
	; wave barrier
	s_and_saveexec_b64 s[26:27], s[28:29]
	s_cbranch_execz .LBB346_8
; %bb.7:                                ;   in Loop: Header=BB346_4 Depth=2
	v_bcnt_u32_b32 v1, v1, 0
	v_bcnt_u32_b32 v1, v2, v1
	s_waitcnt lgkmcnt(0)
	v_add_u32_e32 v1, v24, v1
	ds_write_b32 v25, v1 offset:8
.LBB346_8:                              ;   in Loop: Header=BB346_4 Depth=2
	s_or_b64 exec, exec, s[26:27]
	v_lshrrev_b32_e32 v2, s45, v5
	v_lshrrev_b32_e32 v1, s42, v6
	v_and_b32_e32 v2, s46, v2
	v_and_b32_e32 v1, s44, v1
	v_lshlrev_b32_e32 v2, s43, v2
	v_cndmask_b32_e64 v1, 0, v1, s[24:25]
	v_cndmask_b32_e32 v2, 0, v2, vcc
	v_or_b32_e32 v1, v1, v2
	v_lshlrev_b32_e32 v2, 3, v1
	v_add_u32_e32 v28, v21, v2
	v_and_b32_e32 v2, 1, v1
	v_add_co_u32_e32 v3, vcc, -1, v2
	v_addc_co_u32_e64 v4, s[24:25], 0, -1, vcc
	v_cmp_ne_u32_e32 vcc, 0, v2
	v_lshlrev_b32_e32 v8, 30, v1
	v_xor_b32_e32 v2, vcc_hi, v4
	v_xor_b32_e32 v3, vcc_lo, v3
	v_cmp_gt_i64_e32 vcc, 0, v[7:8]
	v_not_b32_e32 v4, v8
	v_ashrrev_i32_e32 v4, 31, v4
	v_and_b32_e32 v2, exec_hi, v2
	v_xor_b32_e32 v8, vcc_hi, v4
	v_and_b32_e32 v3, exec_lo, v3
	v_xor_b32_e32 v4, vcc_lo, v4
	v_and_b32_e32 v2, v2, v8
	v_lshlrev_b32_e32 v8, 29, v1
	v_and_b32_e32 v3, v3, v4
	v_cmp_gt_i64_e32 vcc, 0, v[7:8]
	v_not_b32_e32 v4, v8
	v_ashrrev_i32_e32 v4, 31, v4
	v_xor_b32_e32 v8, vcc_hi, v4
	v_xor_b32_e32 v4, vcc_lo, v4
	v_and_b32_e32 v2, v2, v8
	v_lshlrev_b32_e32 v8, 28, v1
	v_and_b32_e32 v3, v3, v4
	v_cmp_gt_i64_e32 vcc, 0, v[7:8]
	v_not_b32_e32 v4, v8
	v_ashrrev_i32_e32 v4, 31, v4
	v_xor_b32_e32 v8, vcc_hi, v4
	;; [unrolled: 8-line block ×5, first 2 shown]
	v_and_b32_e32 v2, v2, v8
	v_lshlrev_b32_e32 v8, 24, v1
	v_xor_b32_e32 v4, vcc_lo, v4
	v_cmp_gt_i64_e32 vcc, 0, v[7:8]
	v_not_b32_e32 v1, v8
	v_ashrrev_i32_e32 v1, 31, v1
	v_and_b32_e32 v3, v3, v4
	v_xor_b32_e32 v4, vcc_hi, v1
	v_xor_b32_e32 v1, vcc_lo, v1
	; wave barrier
	ds_read_b32 v27, v28 offset:8
	v_and_b32_e32 v1, v3, v1
	v_and_b32_e32 v2, v2, v4
	v_mbcnt_lo_u32_b32 v3, v1, 0
	v_mbcnt_hi_u32_b32 v8, v2, v3
	v_cmp_ne_u64_e32 vcc, 0, v[1:2]
	v_cmp_eq_u32_e64 s[24:25], 0, v8
	s_and_b64 s[26:27], s[24:25], vcc
	; wave barrier
	s_and_saveexec_b64 s[24:25], s[26:27]
	s_cbranch_execz .LBB346_10
; %bb.9:                                ;   in Loop: Header=BB346_4 Depth=2
	v_bcnt_u32_b32 v1, v1, 0
	v_bcnt_u32_b32 v1, v2, v1
	s_waitcnt lgkmcnt(0)
	v_add_u32_e32 v1, v27, v1
	ds_write_b32 v28, v1 offset:8
.LBB346_10:                             ;   in Loop: Header=BB346_4 Depth=2
	s_or_b64 exec, exec, s[24:25]
	; wave barrier
	s_waitcnt lgkmcnt(0)
	s_barrier
	ds_read2_b64 v[1:4], v17 offset0:1 offset1:2
	s_waitcnt lgkmcnt(0)
	v_add_u32_e32 v29, v2, v1
	v_add3_u32 v4, v29, v3, v4
	s_nop 1
	v_mov_b32_dpp v29, v4 row_shr:1 row_mask:0xf bank_mask:0xf
	v_cndmask_b32_e64 v29, v29, 0, s[0:1]
	v_add_u32_e32 v4, v29, v4
	s_nop 1
	v_mov_b32_dpp v29, v4 row_shr:2 row_mask:0xf bank_mask:0xf
	v_cndmask_b32_e64 v29, 0, v29, s[2:3]
	v_add_u32_e32 v4, v4, v29
	;; [unrolled: 4-line block ×4, first 2 shown]
	s_nop 1
	v_mov_b32_dpp v29, v4 row_bcast:15 row_mask:0xf bank_mask:0xf
	v_cndmask_b32_e64 v29, v29, 0, s[8:9]
	v_add_u32_e32 v4, v4, v29
	s_nop 1
	v_mov_b32_dpp v29, v4 row_bcast:31 row_mask:0xf bank_mask:0xf
	v_cndmask_b32_e64 v29, 0, v29, s[10:11]
	v_add_u32_e32 v4, v4, v29
	s_and_saveexec_b64 s[24:25], s[12:13]
; %bb.11:                               ;   in Loop: Header=BB346_4 Depth=2
	ds_write_b32 v19, v4
; %bb.12:                               ;   in Loop: Header=BB346_4 Depth=2
	s_or_b64 exec, exec, s[24:25]
	s_waitcnt lgkmcnt(0)
	s_barrier
	s_and_saveexec_b64 s[24:25], s[14:15]
	s_cbranch_execz .LBB346_14
; %bb.13:                               ;   in Loop: Header=BB346_4 Depth=2
	ds_read_b32 v29, v20
	s_waitcnt lgkmcnt(0)
	s_nop 0
	v_mov_b32_dpp v30, v29 row_shr:1 row_mask:0xf bank_mask:0xf
	v_cndmask_b32_e64 v30, v30, 0, s[22:23]
	v_add_u32_e32 v29, v30, v29
	ds_write_b32 v20, v29
.LBB346_14:                             ;   in Loop: Header=BB346_4 Depth=2
	s_or_b64 exec, exec, s[24:25]
	v_mov_b32_e32 v29, 0
	s_waitcnt lgkmcnt(0)
	s_barrier
	s_and_saveexec_b64 s[24:25], s[16:17]
; %bb.15:                               ;   in Loop: Header=BB346_4 Depth=2
	v_add_u32_e32 v29, -4, v19
	ds_read_b32 v29, v29
; %bb.16:                               ;   in Loop: Header=BB346_4 Depth=2
	s_or_b64 exec, exec, s[24:25]
	s_waitcnt lgkmcnt(0)
	v_add_u32_e32 v4, v29, v4
	ds_bpermute_b32 v4, v18, v4
	s_cmp_gt_u32 s42, 55
	s_mov_b64 s[24:25], -1
	s_waitcnt lgkmcnt(0)
	v_cndmask_b32_e64 v4, v4, v29, s[18:19]
	v_cndmask_b32_e64 v29, v4, 0, s[20:21]
	v_add_u32_e32 v30, v29, v1
	v_add_u32_e32 v1, v30, v2
	v_add_u32_e32 v2, v1, v3
	ds_write2_b64 v17, v[29:30], v[1:2] offset0:1 offset1:2
	s_waitcnt lgkmcnt(0)
	s_barrier
	ds_read_b32 v1, v14 offset:8
	ds_read_b32 v2, v25 offset:8
	;; [unrolled: 1-line block ×3, first 2 shown]
	v_lshlrev_b32_e32 v4, 3, v13
	s_waitcnt lgkmcnt(0)
	v_lshl_add_u32 v25, v1, 3, v4
	v_lshlrev_b32_e32 v1, 3, v26
	v_lshlrev_b32_e32 v4, 3, v24
	;; [unrolled: 1-line block ×3, first 2 shown]
	v_add3_u32 v24, v1, v4, v2
	v_lshlrev_b32_e32 v1, 3, v8
	v_lshlrev_b32_e32 v2, 3, v27
	;; [unrolled: 1-line block ×3, first 2 shown]
	v_add3_u32 v8, v1, v2, v3
                                        ; implicit-def: $vgpr1_vgpr2
                                        ; implicit-def: $vgpr13_vgpr14
	s_cbranch_scc1 .LBB346_3
; %bb.17:                               ;   in Loop: Header=BB346_4 Depth=2
	s_barrier
	ds_write_b64 v25, v[11:12]
	ds_write_b64 v24, v[9:10]
	;; [unrolled: 1-line block ×3, first 2 shown]
	s_waitcnt lgkmcnt(0)
	s_barrier
	ds_read2st64_b64 v[1:4], v22 offset1:1
	ds_read_b64 v[13:14], v22 offset:1024
	s_add_i32 s41, s41, -8
	s_add_i32 s40, s40, 8
	s_add_i32 s42, s42, 8
	s_mov_b64 s[24:25], 0
	s_waitcnt lgkmcnt(0)
	s_barrier
	s_branch .LBB346_3
.LBB346_18:
	s_add_u32 s0, s30, s36
	s_addc_u32 s1, s31, s37
	v_lshlrev_b32_e32 v0, 3, v0
	global_store_dwordx2 v0, v[3:4], s[0:1]
	global_store_dwordx2 v0, v[5:6], s[0:1] offset:1024
	global_store_dwordx2 v0, v[8:9], s[0:1] offset:2048
	s_endpgm
	.section	.rodata,"a",@progbits
	.p2align	6, 0x0
	.amdhsa_kernel _Z16sort_keys_kernelI22helper_blocked_stripedN15benchmark_utils11custom_typeIiiEELj128ELj3ELj10EEvPKT0_PS4_
		.amdhsa_group_segment_fixed_size 3072
		.amdhsa_private_segment_fixed_size 0
		.amdhsa_kernarg_size 272
		.amdhsa_user_sgpr_count 6
		.amdhsa_user_sgpr_private_segment_buffer 1
		.amdhsa_user_sgpr_dispatch_ptr 0
		.amdhsa_user_sgpr_queue_ptr 0
		.amdhsa_user_sgpr_kernarg_segment_ptr 1
		.amdhsa_user_sgpr_dispatch_id 0
		.amdhsa_user_sgpr_flat_scratch_init 0
		.amdhsa_user_sgpr_private_segment_size 0
		.amdhsa_uses_dynamic_stack 0
		.amdhsa_system_sgpr_private_segment_wavefront_offset 0
		.amdhsa_system_sgpr_workgroup_id_x 1
		.amdhsa_system_sgpr_workgroup_id_y 0
		.amdhsa_system_sgpr_workgroup_id_z 0
		.amdhsa_system_sgpr_workgroup_info 0
		.amdhsa_system_vgpr_workitem_id 2
		.amdhsa_next_free_vgpr 31
		.amdhsa_next_free_sgpr 61
		.amdhsa_reserve_vcc 1
		.amdhsa_reserve_flat_scratch 0
		.amdhsa_float_round_mode_32 0
		.amdhsa_float_round_mode_16_64 0
		.amdhsa_float_denorm_mode_32 3
		.amdhsa_float_denorm_mode_16_64 3
		.amdhsa_dx10_clamp 1
		.amdhsa_ieee_mode 1
		.amdhsa_fp16_overflow 0
		.amdhsa_exception_fp_ieee_invalid_op 0
		.amdhsa_exception_fp_denorm_src 0
		.amdhsa_exception_fp_ieee_div_zero 0
		.amdhsa_exception_fp_ieee_overflow 0
		.amdhsa_exception_fp_ieee_underflow 0
		.amdhsa_exception_fp_ieee_inexact 0
		.amdhsa_exception_int_div_zero 0
	.end_amdhsa_kernel
	.section	.text._Z16sort_keys_kernelI22helper_blocked_stripedN15benchmark_utils11custom_typeIiiEELj128ELj3ELj10EEvPKT0_PS4_,"axG",@progbits,_Z16sort_keys_kernelI22helper_blocked_stripedN15benchmark_utils11custom_typeIiiEELj128ELj3ELj10EEvPKT0_PS4_,comdat
.Lfunc_end346:
	.size	_Z16sort_keys_kernelI22helper_blocked_stripedN15benchmark_utils11custom_typeIiiEELj128ELj3ELj10EEvPKT0_PS4_, .Lfunc_end346-_Z16sort_keys_kernelI22helper_blocked_stripedN15benchmark_utils11custom_typeIiiEELj128ELj3ELj10EEvPKT0_PS4_
                                        ; -- End function
	.set _Z16sort_keys_kernelI22helper_blocked_stripedN15benchmark_utils11custom_typeIiiEELj128ELj3ELj10EEvPKT0_PS4_.num_vgpr, 31
	.set _Z16sort_keys_kernelI22helper_blocked_stripedN15benchmark_utils11custom_typeIiiEELj128ELj3ELj10EEvPKT0_PS4_.num_agpr, 0
	.set _Z16sort_keys_kernelI22helper_blocked_stripedN15benchmark_utils11custom_typeIiiEELj128ELj3ELj10EEvPKT0_PS4_.numbered_sgpr, 47
	.set _Z16sort_keys_kernelI22helper_blocked_stripedN15benchmark_utils11custom_typeIiiEELj128ELj3ELj10EEvPKT0_PS4_.num_named_barrier, 0
	.set _Z16sort_keys_kernelI22helper_blocked_stripedN15benchmark_utils11custom_typeIiiEELj128ELj3ELj10EEvPKT0_PS4_.private_seg_size, 0
	.set _Z16sort_keys_kernelI22helper_blocked_stripedN15benchmark_utils11custom_typeIiiEELj128ELj3ELj10EEvPKT0_PS4_.uses_vcc, 1
	.set _Z16sort_keys_kernelI22helper_blocked_stripedN15benchmark_utils11custom_typeIiiEELj128ELj3ELj10EEvPKT0_PS4_.uses_flat_scratch, 0
	.set _Z16sort_keys_kernelI22helper_blocked_stripedN15benchmark_utils11custom_typeIiiEELj128ELj3ELj10EEvPKT0_PS4_.has_dyn_sized_stack, 0
	.set _Z16sort_keys_kernelI22helper_blocked_stripedN15benchmark_utils11custom_typeIiiEELj128ELj3ELj10EEvPKT0_PS4_.has_recursion, 0
	.set _Z16sort_keys_kernelI22helper_blocked_stripedN15benchmark_utils11custom_typeIiiEELj128ELj3ELj10EEvPKT0_PS4_.has_indirect_call, 0
	.section	.AMDGPU.csdata,"",@progbits
; Kernel info:
; codeLenInByte = 2524
; TotalNumSgprs: 51
; NumVgprs: 31
; ScratchSize: 0
; MemoryBound: 0
; FloatMode: 240
; IeeeMode: 1
; LDSByteSize: 3072 bytes/workgroup (compile time only)
; SGPRBlocks: 8
; VGPRBlocks: 7
; NumSGPRsForWavesPerEU: 65
; NumVGPRsForWavesPerEU: 31
; Occupancy: 8
; WaveLimiterHint : 1
; COMPUTE_PGM_RSRC2:SCRATCH_EN: 0
; COMPUTE_PGM_RSRC2:USER_SGPR: 6
; COMPUTE_PGM_RSRC2:TRAP_HANDLER: 0
; COMPUTE_PGM_RSRC2:TGID_X_EN: 1
; COMPUTE_PGM_RSRC2:TGID_Y_EN: 0
; COMPUTE_PGM_RSRC2:TGID_Z_EN: 0
; COMPUTE_PGM_RSRC2:TIDIG_COMP_CNT: 2
	.section	.text._Z17sort_pairs_kernelI22helper_blocked_stripedN15benchmark_utils11custom_typeIiiEELj128ELj3ELj10EEvPKT0_PS4_,"axG",@progbits,_Z17sort_pairs_kernelI22helper_blocked_stripedN15benchmark_utils11custom_typeIiiEELj128ELj3ELj10EEvPKT0_PS4_,comdat
	.protected	_Z17sort_pairs_kernelI22helper_blocked_stripedN15benchmark_utils11custom_typeIiiEELj128ELj3ELj10EEvPKT0_PS4_ ; -- Begin function _Z17sort_pairs_kernelI22helper_blocked_stripedN15benchmark_utils11custom_typeIiiEELj128ELj3ELj10EEvPKT0_PS4_
	.globl	_Z17sort_pairs_kernelI22helper_blocked_stripedN15benchmark_utils11custom_typeIiiEELj128ELj3ELj10EEvPKT0_PS4_
	.p2align	8
	.type	_Z17sort_pairs_kernelI22helper_blocked_stripedN15benchmark_utils11custom_typeIiiEELj128ELj3ELj10EEvPKT0_PS4_,@function
_Z17sort_pairs_kernelI22helper_blocked_stripedN15benchmark_utils11custom_typeIiiEELj128ELj3ELj10EEvPKT0_PS4_: ; @_Z17sort_pairs_kernelI22helper_blocked_stripedN15benchmark_utils11custom_typeIiiEELj128ELj3ELj10EEvPKT0_PS4_
; %bb.0:
	s_load_dwordx4 s[28:31], s[4:5], 0x0
	s_load_dword s24, s[4:5], 0x1c
	s_mul_i32 s36, s6, 0x180
	s_mov_b32 s37, 0
	s_lshl_b64 s[34:35], s[36:37], 3
	s_waitcnt lgkmcnt(0)
	s_add_u32 s0, s28, s34
	v_mul_u32_u24_e32 v3, 3, v0
	s_addc_u32 s1, s29, s35
	v_lshlrev_b32_e32 v7, 3, v3
	global_load_dwordx4 v[3:6], v7, s[0:1]
	global_load_dwordx2 v[12:13], v7, s[0:1] offset:16
	v_mbcnt_lo_u32_b32 v7, -1, 0
	v_mbcnt_hi_u32_b32 v7, -1, v7
	s_lshr_b32 s25, s24, 16
	v_lshrrev_b32_e32 v8, 6, v0
	v_subrev_co_u32_e64 v19, s[8:9], 1, v7
	v_and_b32_e32 v20, 64, v7
	s_and_b32 s24, s24, 0xffff
	v_mad_u32_u24 v1, v2, s25, v1
	v_lshlrev_b32_e32 v27, 4, v0
	v_and_b32_e32 v9, 64, v0
	v_mul_u32_u24_e32 v14, 0xc0, v8
	v_and_b32_e32 v16, 15, v7
	v_cmp_lt_i32_e32 vcc, v19, v20
	v_mad_u32_u24 v1, v1, s24, v0
	v_lshlrev_b32_e32 v10, 2, v0
	v_lshlrev_b32_e32 v15, 3, v7
	v_and_b32_e32 v17, 16, v7
	v_or_b32_e32 v18, 63, v9
	v_lshlrev_b32_e32 v28, 2, v8
	v_mad_i32_i24 v29, v0, -12, v27
	v_and_b32_e32 v8, 1, v7
	v_mul_u32_u24_e32 v9, 24, v9
	v_lshlrev_b32_e32 v14, 3, v14
	v_cmp_eq_u32_e64 s[10:11], 0, v16
	v_cmp_lt_u32_e64 s[12:13], 1, v16
	v_cmp_lt_u32_e64 s[14:15], 3, v16
	;; [unrolled: 1-line block ×3, first 2 shown]
	v_cndmask_b32_e32 v16, v19, v7, vcc
	v_lshrrev_b32_e32 v1, 4, v1
	v_mov_b32_e32 v11, 0
	v_cmp_gt_u32_e64 s[0:1], 2, v0
	v_cmp_lt_u32_e64 s[2:3], 63, v0
	v_cmp_eq_u32_e64 s[4:5], 0, v0
	s_mov_b32 s38, s37
	s_mov_b32 s39, s37
	v_cmp_lt_u32_e64 s[6:7], 31, v7
	s_mov_b32 s36, s37
	v_cmp_eq_u32_e64 s[18:19], 0, v17
	v_cmp_eq_u32_e64 s[20:21], v0, v18
	v_cmp_eq_u32_e64 s[22:23], 0, v8
	v_add_u32_e32 v30, -4, v28
	v_add_u32_e32 v31, v15, v9
	v_add_u32_e32 v32, v29, v10
	v_mad_u32_u24 v33, v7, 24, v14
	v_add_u32_e32 v34, v15, v14
	v_lshlrev_b32_e32 v35, 2, v16
	v_and_b32_e32 v36, 0xffffffc, v1
	s_mov_b32 s33, s37
	s_waitcnt vmcnt(1)
	v_add_u32_e32 v8, 1, v4
	v_add_u32_e32 v7, 1, v3
	;; [unrolled: 1-line block ×4, first 2 shown]
	s_waitcnt vmcnt(0)
	v_add_u32_e32 v15, 1, v13
	v_add_u32_e32 v14, 1, v12
	s_branch .LBB347_2
.LBB347_1:                              ;   in Loop: Header=BB347_2 Depth=1
	s_barrier
	ds_write_b64 v37, v[21:22]
	ds_write_b64 v38, v[19:20]
	ds_write_b64 v12, v[17:18]
	s_waitcnt lgkmcnt(0)
	s_barrier
	ds_read2st64_b64 v[3:6], v32 offset1:2
	ds_read_b64 v[1:2], v32 offset:2048
	s_waitcnt lgkmcnt(0)
	s_barrier
	ds_write_b64 v37, v[15:16]
	ds_write_b64 v38, v[13:14]
	;; [unrolled: 1-line block ×3, first 2 shown]
	s_waitcnt lgkmcnt(0)
	s_barrier
	ds_read2st64_b64 v[7:10], v32 offset1:2
	ds_read_b64 v[14:15], v32 offset:2048
	s_add_i32 s33, s33, 1
	v_xor_b32_e32 v3, 0x80000000, v3
	v_xor_b32_e32 v4, 0x80000000, v4
	v_xor_b32_e32 v5, 0x80000000, v5
	v_xor_b32_e32 v6, 0x80000000, v6
	v_xor_b32_e32 v12, 0x80000000, v1
	s_cmp_lg_u32 s33, 10
	v_xor_b32_e32 v13, 0x80000000, v2
	s_cbranch_scc0 .LBB347_18
.LBB347_2:                              ; =>This Loop Header: Depth=1
                                        ;     Child Loop BB347_4 Depth 2
	v_xor_b32_e32 v2, 0x80000000, v4
	v_xor_b32_e32 v1, 0x80000000, v3
	;; [unrolled: 1-line block ×6, first 2 shown]
	ds_write2_b64 v33, v[1:2], v[3:4] offset1:1
	ds_write_b64 v33, v[5:6] offset:16
	; wave barrier
	ds_read2st64_b64 v[1:4], v34 offset1:1
	ds_read_b64 v[23:24], v34 offset:1024
	; wave barrier
	s_waitcnt lgkmcnt(5)
	ds_write2_b64 v33, v[7:8], v[9:10] offset1:1
	s_waitcnt lgkmcnt(5)
	ds_write_b64 v33, v[14:15] offset:16
	; wave barrier
	ds_read2st64_b64 v[5:8], v34 offset1:1
	ds_read_b64 v[25:26], v34 offset:1024
	s_mov_b32 s40, 8
	s_mov_b32 s41, 32
	;; [unrolled: 1-line block ×3, first 2 shown]
	s_waitcnt lgkmcnt(0)
	s_barrier
	s_branch .LBB347_4
.LBB347_3:                              ;   in Loop: Header=BB347_4 Depth=2
	s_andn2_b64 vcc, exec, s[24:25]
	s_cbranch_vccz .LBB347_1
.LBB347_4:                              ;   Parent Loop BB347_2 Depth=1
                                        ; =>  This Inner Loop Header: Depth=2
	s_min_i32 s26, s40, 32
	s_cmp_lt_u32 s42, 32
	s_cselect_b64 s[24:25], -1, 0
	s_cmp_gt_u32 s42, 31
	s_cselect_b64 vcc, -1, 0
	s_sub_i32 s26, s26, 32
	s_add_i32 s27, s26, s41
	s_lshl_b32 s27, -1, s27
	s_not_b32 s27, s27
	s_cmp_lg_u32 s26, s42
	s_cselect_b32 s44, s27, -1
	s_max_i32 s43, s41, 0
	s_max_i32 s26, s42, 32
	s_sub_i32 s45, s26, 32
	s_sub_i32 s26, s26, s43
	;; [unrolled: 1-line block ×3, first 2 shown]
	s_min_i32 s26, s26, 32
	s_sub_i32 s26, s26, s45
	v_mov_b32_e32 v22, v2
	v_mov_b32_e32 v20, v4
	s_lshl_b32 s27, -1, s26
	v_mov_b32_e32 v21, v1
	v_mov_b32_e32 v19, v3
	;; [unrolled: 1-line block ×4, first 2 shown]
	s_not_b32 s27, s27
	v_mov_b32_e32 v2, s37
	v_mov_b32_e32 v4, s39
	s_cmp_lg_u32 s26, 32
	ds_write2_b64 v27, v[1:2], v[3:4] offset0:1 offset1:2
	s_cselect_b32 s46, s27, -1
	v_lshrrev_b32_e32 v2, s45, v21
	v_lshrrev_b32_e32 v1, s42, v22
	v_and_b32_e32 v2, s46, v2
	v_and_b32_e32 v1, s44, v1
	v_lshlrev_b32_e32 v2, s43, v2
	v_cndmask_b32_e64 v1, 0, v1, s[24:25]
	v_cndmask_b32_e32 v2, 0, v2, vcc
	v_or_b32_e32 v1, v1, v2
	v_and_b32_e32 v2, 1, v1
	v_mov_b32_e32 v16, v6
	v_add_co_u32_e64 v4, s[26:27], -1, v2
	v_mov_b32_e32 v15, v5
	v_addc_co_u32_e64 v5, s[26:27], 0, -1, s[26:27]
	v_cmp_ne_u32_e64 s[26:27], 0, v2
	v_lshlrev_b32_e32 v12, 30, v1
	v_xor_b32_e32 v2, s27, v5
	v_xor_b32_e32 v4, s26, v4
	v_cmp_gt_i64_e64 s[26:27], 0, v[11:12]
	v_not_b32_e32 v5, v12
	v_ashrrev_i32_e32 v5, 31, v5
	v_and_b32_e32 v4, exec_lo, v4
	v_xor_b32_e32 v6, s27, v5
	v_xor_b32_e32 v5, s26, v5
	v_lshlrev_b32_e32 v12, 29, v1
	v_and_b32_e32 v4, v4, v5
	v_cmp_gt_i64_e64 s[26:27], 0, v[11:12]
	v_not_b32_e32 v5, v12
	v_and_b32_e32 v2, exec_hi, v2
	v_ashrrev_i32_e32 v5, 31, v5
	v_and_b32_e32 v2, v2, v6
	v_xor_b32_e32 v6, s27, v5
	v_xor_b32_e32 v5, s26, v5
	v_lshlrev_b32_e32 v12, 28, v1
	v_and_b32_e32 v4, v4, v5
	v_cmp_gt_i64_e64 s[26:27], 0, v[11:12]
	v_not_b32_e32 v5, v12
	v_ashrrev_i32_e32 v5, 31, v5
	v_and_b32_e32 v2, v2, v6
	v_xor_b32_e32 v6, s27, v5
	v_xor_b32_e32 v5, s26, v5
	v_lshlrev_b32_e32 v12, 27, v1
	v_and_b32_e32 v4, v4, v5
	v_cmp_gt_i64_e64 s[26:27], 0, v[11:12]
	v_not_b32_e32 v5, v12
	;; [unrolled: 8-line block ×4, first 2 shown]
	v_ashrrev_i32_e32 v5, 31, v5
	v_lshlrev_b32_e32 v12, 24, v1
	v_lshlrev_b32_e32 v3, 3, v1
	v_and_b32_e32 v2, v2, v6
	v_xor_b32_e32 v6, s27, v5
	v_xor_b32_e32 v5, s26, v5
	v_cmp_gt_i64_e64 s[26:27], 0, v[11:12]
	v_not_b32_e32 v1, v12
	v_ashrrev_i32_e32 v1, 31, v1
	v_and_b32_e32 v4, v4, v5
	v_xor_b32_e32 v5, s27, v1
	v_xor_b32_e32 v1, s26, v1
	v_and_b32_e32 v2, v2, v6
	v_and_b32_e32 v1, v4, v1
	;; [unrolled: 1-line block ×3, first 2 shown]
	v_mbcnt_lo_u32_b32 v4, v1, 0
	v_mbcnt_hi_u32_b32 v5, v2, v4
	v_cmp_ne_u64_e64 s[26:27], 0, v[1:2]
	v_mov_b32_e32 v14, v8
	v_mov_b32_e32 v9, v25
	;; [unrolled: 1-line block ×3, first 2 shown]
	v_cmp_eq_u32_e64 s[28:29], 0, v5
	v_mov_b32_e32 v13, v7
	v_mov_b32_e32 v10, v26
	;; [unrolled: 1-line block ×3, first 2 shown]
	s_and_b64 s[28:29], s[28:29], s[26:27]
	v_add_u32_e32 v6, v36, v3
	s_waitcnt lgkmcnt(0)
	s_barrier
	; wave barrier
	s_and_saveexec_b64 s[26:27], s[28:29]
; %bb.5:                                ;   in Loop: Header=BB347_4 Depth=2
	v_bcnt_u32_b32 v1, v1, 0
	v_bcnt_u32_b32 v1, v2, v1
	ds_write_b32 v6, v1 offset:8
; %bb.6:                                ;   in Loop: Header=BB347_4 Depth=2
	s_or_b64 exec, exec, s[26:27]
	v_lshrrev_b32_e32 v2, s45, v19
	v_lshrrev_b32_e32 v1, s42, v20
	v_and_b32_e32 v2, s46, v2
	v_and_b32_e32 v1, s44, v1
	v_lshlrev_b32_e32 v2, s43, v2
	v_cndmask_b32_e64 v1, 0, v1, s[24:25]
	v_cndmask_b32_e32 v2, 0, v2, vcc
	v_or_b32_e32 v1, v1, v2
	v_lshlrev_b32_e32 v2, 3, v1
	v_add_u32_e32 v8, v36, v2
	v_and_b32_e32 v2, 1, v1
	v_add_co_u32_e64 v3, s[26:27], -1, v2
	v_addc_co_u32_e64 v4, s[26:27], 0, -1, s[26:27]
	v_cmp_ne_u32_e64 s[26:27], 0, v2
	v_lshlrev_b32_e32 v12, 30, v1
	v_xor_b32_e32 v2, s27, v4
	v_xor_b32_e32 v3, s26, v3
	v_cmp_gt_i64_e64 s[26:27], 0, v[11:12]
	v_not_b32_e32 v4, v12
	v_ashrrev_i32_e32 v4, 31, v4
	v_and_b32_e32 v2, exec_hi, v2
	v_xor_b32_e32 v12, s27, v4
	v_and_b32_e32 v3, exec_lo, v3
	v_xor_b32_e32 v4, s26, v4
	v_and_b32_e32 v2, v2, v12
	v_lshlrev_b32_e32 v12, 29, v1
	v_and_b32_e32 v3, v3, v4
	v_cmp_gt_i64_e64 s[26:27], 0, v[11:12]
	v_not_b32_e32 v4, v12
	v_ashrrev_i32_e32 v4, 31, v4
	v_xor_b32_e32 v12, s27, v4
	v_xor_b32_e32 v4, s26, v4
	v_and_b32_e32 v2, v2, v12
	v_lshlrev_b32_e32 v12, 28, v1
	v_and_b32_e32 v3, v3, v4
	v_cmp_gt_i64_e64 s[26:27], 0, v[11:12]
	v_not_b32_e32 v4, v12
	v_ashrrev_i32_e32 v4, 31, v4
	v_xor_b32_e32 v12, s27, v4
	;; [unrolled: 8-line block ×5, first 2 shown]
	v_and_b32_e32 v2, v2, v12
	v_lshlrev_b32_e32 v12, 24, v1
	v_xor_b32_e32 v4, s26, v4
	v_cmp_gt_i64_e64 s[26:27], 0, v[11:12]
	v_not_b32_e32 v1, v12
	v_ashrrev_i32_e32 v1, 31, v1
	v_and_b32_e32 v3, v3, v4
	v_xor_b32_e32 v4, s27, v1
	v_xor_b32_e32 v1, s26, v1
	; wave barrier
	ds_read_b32 v7, v8 offset:8
	v_and_b32_e32 v1, v3, v1
	v_and_b32_e32 v2, v2, v4
	v_mbcnt_lo_u32_b32 v3, v1, 0
	v_mbcnt_hi_u32_b32 v23, v2, v3
	v_cmp_ne_u64_e64 s[26:27], 0, v[1:2]
	v_cmp_eq_u32_e64 s[28:29], 0, v23
	s_and_b64 s[28:29], s[28:29], s[26:27]
	; wave barrier
	s_and_saveexec_b64 s[26:27], s[28:29]
	s_cbranch_execz .LBB347_8
; %bb.7:                                ;   in Loop: Header=BB347_4 Depth=2
	v_bcnt_u32_b32 v1, v1, 0
	v_bcnt_u32_b32 v1, v2, v1
	s_waitcnt lgkmcnt(0)
	v_add_u32_e32 v1, v7, v1
	ds_write_b32 v8, v1 offset:8
.LBB347_8:                              ;   in Loop: Header=BB347_4 Depth=2
	s_or_b64 exec, exec, s[26:27]
	v_lshrrev_b32_e32 v2, s45, v17
	v_lshrrev_b32_e32 v1, s42, v18
	v_and_b32_e32 v2, s46, v2
	v_and_b32_e32 v1, s44, v1
	v_lshlrev_b32_e32 v2, s43, v2
	v_cndmask_b32_e64 v1, 0, v1, s[24:25]
	v_cndmask_b32_e32 v2, 0, v2, vcc
	v_or_b32_e32 v1, v1, v2
	v_lshlrev_b32_e32 v2, 3, v1
	v_add_u32_e32 v25, v36, v2
	v_and_b32_e32 v2, 1, v1
	v_add_co_u32_e32 v3, vcc, -1, v2
	v_addc_co_u32_e64 v4, s[24:25], 0, -1, vcc
	v_cmp_ne_u32_e32 vcc, 0, v2
	v_lshlrev_b32_e32 v12, 30, v1
	v_xor_b32_e32 v2, vcc_hi, v4
	v_xor_b32_e32 v3, vcc_lo, v3
	v_cmp_gt_i64_e32 vcc, 0, v[11:12]
	v_not_b32_e32 v4, v12
	v_ashrrev_i32_e32 v4, 31, v4
	v_and_b32_e32 v2, exec_hi, v2
	v_xor_b32_e32 v12, vcc_hi, v4
	v_and_b32_e32 v3, exec_lo, v3
	v_xor_b32_e32 v4, vcc_lo, v4
	v_and_b32_e32 v2, v2, v12
	v_lshlrev_b32_e32 v12, 29, v1
	v_and_b32_e32 v3, v3, v4
	v_cmp_gt_i64_e32 vcc, 0, v[11:12]
	v_not_b32_e32 v4, v12
	v_ashrrev_i32_e32 v4, 31, v4
	v_xor_b32_e32 v12, vcc_hi, v4
	v_xor_b32_e32 v4, vcc_lo, v4
	v_and_b32_e32 v2, v2, v12
	v_lshlrev_b32_e32 v12, 28, v1
	v_and_b32_e32 v3, v3, v4
	v_cmp_gt_i64_e32 vcc, 0, v[11:12]
	v_not_b32_e32 v4, v12
	v_ashrrev_i32_e32 v4, 31, v4
	v_xor_b32_e32 v12, vcc_hi, v4
	;; [unrolled: 8-line block ×5, first 2 shown]
	v_and_b32_e32 v2, v2, v12
	v_lshlrev_b32_e32 v12, 24, v1
	v_xor_b32_e32 v4, vcc_lo, v4
	v_cmp_gt_i64_e32 vcc, 0, v[11:12]
	v_not_b32_e32 v1, v12
	v_ashrrev_i32_e32 v1, 31, v1
	v_and_b32_e32 v3, v3, v4
	v_xor_b32_e32 v4, vcc_hi, v1
	v_xor_b32_e32 v1, vcc_lo, v1
	; wave barrier
	ds_read_b32 v24, v25 offset:8
	v_and_b32_e32 v1, v3, v1
	v_and_b32_e32 v2, v2, v4
	v_mbcnt_lo_u32_b32 v3, v1, 0
	v_mbcnt_hi_u32_b32 v12, v2, v3
	v_cmp_ne_u64_e32 vcc, 0, v[1:2]
	v_cmp_eq_u32_e64 s[24:25], 0, v12
	s_and_b64 s[26:27], s[24:25], vcc
	; wave barrier
	s_and_saveexec_b64 s[24:25], s[26:27]
	s_cbranch_execz .LBB347_10
; %bb.9:                                ;   in Loop: Header=BB347_4 Depth=2
	v_bcnt_u32_b32 v1, v1, 0
	v_bcnt_u32_b32 v1, v2, v1
	s_waitcnt lgkmcnt(0)
	v_add_u32_e32 v1, v24, v1
	ds_write_b32 v25, v1 offset:8
.LBB347_10:                             ;   in Loop: Header=BB347_4 Depth=2
	s_or_b64 exec, exec, s[24:25]
	; wave barrier
	s_waitcnt lgkmcnt(0)
	s_barrier
	ds_read2_b64 v[1:4], v27 offset0:1 offset1:2
	s_waitcnt lgkmcnt(0)
	v_add_u32_e32 v26, v2, v1
	v_add3_u32 v4, v26, v3, v4
	s_nop 1
	v_mov_b32_dpp v26, v4 row_shr:1 row_mask:0xf bank_mask:0xf
	v_cndmask_b32_e64 v26, v26, 0, s[10:11]
	v_add_u32_e32 v4, v26, v4
	s_nop 1
	v_mov_b32_dpp v26, v4 row_shr:2 row_mask:0xf bank_mask:0xf
	v_cndmask_b32_e64 v26, 0, v26, s[12:13]
	v_add_u32_e32 v4, v4, v26
	;; [unrolled: 4-line block ×4, first 2 shown]
	s_nop 1
	v_mov_b32_dpp v26, v4 row_bcast:15 row_mask:0xf bank_mask:0xf
	v_cndmask_b32_e64 v26, v26, 0, s[18:19]
	v_add_u32_e32 v4, v4, v26
	s_nop 1
	v_mov_b32_dpp v26, v4 row_bcast:31 row_mask:0xf bank_mask:0xf
	v_cndmask_b32_e64 v26, 0, v26, s[6:7]
	v_add_u32_e32 v4, v4, v26
	s_and_saveexec_b64 s[24:25], s[20:21]
; %bb.11:                               ;   in Loop: Header=BB347_4 Depth=2
	ds_write_b32 v28, v4
; %bb.12:                               ;   in Loop: Header=BB347_4 Depth=2
	s_or_b64 exec, exec, s[24:25]
	s_waitcnt lgkmcnt(0)
	s_barrier
	s_and_saveexec_b64 s[24:25], s[0:1]
	s_cbranch_execz .LBB347_14
; %bb.13:                               ;   in Loop: Header=BB347_4 Depth=2
	ds_read_b32 v26, v29
	s_waitcnt lgkmcnt(0)
	s_nop 0
	v_mov_b32_dpp v37, v26 row_shr:1 row_mask:0xf bank_mask:0xf
	v_cndmask_b32_e64 v37, v37, 0, s[22:23]
	v_add_u32_e32 v26, v37, v26
	ds_write_b32 v29, v26
.LBB347_14:                             ;   in Loop: Header=BB347_4 Depth=2
	s_or_b64 exec, exec, s[24:25]
	v_mov_b32_e32 v26, 0
	s_waitcnt lgkmcnt(0)
	s_barrier
	s_and_saveexec_b64 s[24:25], s[2:3]
; %bb.15:                               ;   in Loop: Header=BB347_4 Depth=2
	ds_read_b32 v26, v30
; %bb.16:                               ;   in Loop: Header=BB347_4 Depth=2
	s_or_b64 exec, exec, s[24:25]
	s_waitcnt lgkmcnt(0)
	v_add_u32_e32 v4, v26, v4
	ds_bpermute_b32 v4, v35, v4
	s_cmp_gt_u32 s42, 55
	s_mov_b64 s[24:25], -1
	s_waitcnt lgkmcnt(0)
	v_cndmask_b32_e64 v4, v4, v26, s[8:9]
	v_cndmask_b32_e64 v37, v4, 0, s[4:5]
	v_add_u32_e32 v38, v37, v1
	v_add_u32_e32 v1, v38, v2
	;; [unrolled: 1-line block ×3, first 2 shown]
	ds_write2_b64 v27, v[37:38], v[1:2] offset0:1 offset1:2
	s_waitcnt lgkmcnt(0)
	s_barrier
	ds_read_b32 v1, v6 offset:8
	ds_read_b32 v2, v8 offset:8
	;; [unrolled: 1-line block ×3, first 2 shown]
	v_lshlrev_b32_e32 v4, 3, v5
	s_waitcnt lgkmcnt(0)
	v_lshl_add_u32 v37, v1, 3, v4
	v_lshlrev_b32_e32 v1, 3, v23
	v_lshlrev_b32_e32 v4, 3, v7
	;; [unrolled: 1-line block ×3, first 2 shown]
	v_add3_u32 v38, v1, v4, v2
	v_lshlrev_b32_e32 v1, 3, v12
	v_lshlrev_b32_e32 v2, 3, v24
	;; [unrolled: 1-line block ×3, first 2 shown]
	v_add3_u32 v12, v1, v2, v3
                                        ; implicit-def: $vgpr5_vgpr6
                                        ; implicit-def: $vgpr25_vgpr26
                                        ; implicit-def: $vgpr1_vgpr2
                                        ; implicit-def: $vgpr23_vgpr24
	s_cbranch_scc1 .LBB347_3
; %bb.17:                               ;   in Loop: Header=BB347_4 Depth=2
	s_barrier
	ds_write_b64 v37, v[21:22]
	ds_write_b64 v38, v[19:20]
	;; [unrolled: 1-line block ×3, first 2 shown]
	s_waitcnt lgkmcnt(0)
	s_barrier
	ds_read2st64_b64 v[1:4], v31 offset1:1
	ds_read_b64 v[23:24], v31 offset:1024
	s_waitcnt lgkmcnt(0)
	s_barrier
	ds_write_b64 v37, v[15:16]
	ds_write_b64 v38, v[13:14]
	;; [unrolled: 1-line block ×3, first 2 shown]
	s_waitcnt lgkmcnt(0)
	s_barrier
	ds_read2st64_b64 v[5:8], v31 offset1:1
	ds_read_b64 v[25:26], v31 offset:1024
	s_add_i32 s41, s41, -8
	s_add_i32 s40, s40, 8
	s_add_i32 s42, s42, 8
	s_mov_b64 s[24:25], 0
	s_waitcnt lgkmcnt(0)
	s_barrier
	s_branch .LBB347_3
.LBB347_18:
	s_add_u32 s0, s30, s34
	s_waitcnt lgkmcnt(1)
	v_add_u32_e32 v1, v3, v7
	v_add_u32_e32 v2, v4, v8
	s_addc_u32 s1, s31, s35
	v_lshlrev_b32_e32 v0, 3, v0
	v_add_u32_e32 v3, v5, v9
	v_add_u32_e32 v4, v6, v10
	s_waitcnt lgkmcnt(0)
	v_add_u32_e32 v5, v12, v14
	v_add_u32_e32 v6, v13, v15
	global_store_dwordx2 v0, v[1:2], s[0:1]
	global_store_dwordx2 v0, v[3:4], s[0:1] offset:1024
	global_store_dwordx2 v0, v[5:6], s[0:1] offset:2048
	s_endpgm
	.section	.rodata,"a",@progbits
	.p2align	6, 0x0
	.amdhsa_kernel _Z17sort_pairs_kernelI22helper_blocked_stripedN15benchmark_utils11custom_typeIiiEELj128ELj3ELj10EEvPKT0_PS4_
		.amdhsa_group_segment_fixed_size 3072
		.amdhsa_private_segment_fixed_size 0
		.amdhsa_kernarg_size 272
		.amdhsa_user_sgpr_count 6
		.amdhsa_user_sgpr_private_segment_buffer 1
		.amdhsa_user_sgpr_dispatch_ptr 0
		.amdhsa_user_sgpr_queue_ptr 0
		.amdhsa_user_sgpr_kernarg_segment_ptr 1
		.amdhsa_user_sgpr_dispatch_id 0
		.amdhsa_user_sgpr_flat_scratch_init 0
		.amdhsa_user_sgpr_private_segment_size 0
		.amdhsa_uses_dynamic_stack 0
		.amdhsa_system_sgpr_private_segment_wavefront_offset 0
		.amdhsa_system_sgpr_workgroup_id_x 1
		.amdhsa_system_sgpr_workgroup_id_y 0
		.amdhsa_system_sgpr_workgroup_id_z 0
		.amdhsa_system_sgpr_workgroup_info 0
		.amdhsa_system_vgpr_workitem_id 2
		.amdhsa_next_free_vgpr 39
		.amdhsa_next_free_sgpr 61
		.amdhsa_reserve_vcc 1
		.amdhsa_reserve_flat_scratch 0
		.amdhsa_float_round_mode_32 0
		.amdhsa_float_round_mode_16_64 0
		.amdhsa_float_denorm_mode_32 3
		.amdhsa_float_denorm_mode_16_64 3
		.amdhsa_dx10_clamp 1
		.amdhsa_ieee_mode 1
		.amdhsa_fp16_overflow 0
		.amdhsa_exception_fp_ieee_invalid_op 0
		.amdhsa_exception_fp_denorm_src 0
		.amdhsa_exception_fp_ieee_div_zero 0
		.amdhsa_exception_fp_ieee_overflow 0
		.amdhsa_exception_fp_ieee_underflow 0
		.amdhsa_exception_fp_ieee_inexact 0
		.amdhsa_exception_int_div_zero 0
	.end_amdhsa_kernel
	.section	.text._Z17sort_pairs_kernelI22helper_blocked_stripedN15benchmark_utils11custom_typeIiiEELj128ELj3ELj10EEvPKT0_PS4_,"axG",@progbits,_Z17sort_pairs_kernelI22helper_blocked_stripedN15benchmark_utils11custom_typeIiiEELj128ELj3ELj10EEvPKT0_PS4_,comdat
.Lfunc_end347:
	.size	_Z17sort_pairs_kernelI22helper_blocked_stripedN15benchmark_utils11custom_typeIiiEELj128ELj3ELj10EEvPKT0_PS4_, .Lfunc_end347-_Z17sort_pairs_kernelI22helper_blocked_stripedN15benchmark_utils11custom_typeIiiEELj128ELj3ELj10EEvPKT0_PS4_
                                        ; -- End function
	.set _Z17sort_pairs_kernelI22helper_blocked_stripedN15benchmark_utils11custom_typeIiiEELj128ELj3ELj10EEvPKT0_PS4_.num_vgpr, 39
	.set _Z17sort_pairs_kernelI22helper_blocked_stripedN15benchmark_utils11custom_typeIiiEELj128ELj3ELj10EEvPKT0_PS4_.num_agpr, 0
	.set _Z17sort_pairs_kernelI22helper_blocked_stripedN15benchmark_utils11custom_typeIiiEELj128ELj3ELj10EEvPKT0_PS4_.numbered_sgpr, 47
	.set _Z17sort_pairs_kernelI22helper_blocked_stripedN15benchmark_utils11custom_typeIiiEELj128ELj3ELj10EEvPKT0_PS4_.num_named_barrier, 0
	.set _Z17sort_pairs_kernelI22helper_blocked_stripedN15benchmark_utils11custom_typeIiiEELj128ELj3ELj10EEvPKT0_PS4_.private_seg_size, 0
	.set _Z17sort_pairs_kernelI22helper_blocked_stripedN15benchmark_utils11custom_typeIiiEELj128ELj3ELj10EEvPKT0_PS4_.uses_vcc, 1
	.set _Z17sort_pairs_kernelI22helper_blocked_stripedN15benchmark_utils11custom_typeIiiEELj128ELj3ELj10EEvPKT0_PS4_.uses_flat_scratch, 0
	.set _Z17sort_pairs_kernelI22helper_blocked_stripedN15benchmark_utils11custom_typeIiiEELj128ELj3ELj10EEvPKT0_PS4_.has_dyn_sized_stack, 0
	.set _Z17sort_pairs_kernelI22helper_blocked_stripedN15benchmark_utils11custom_typeIiiEELj128ELj3ELj10EEvPKT0_PS4_.has_recursion, 0
	.set _Z17sort_pairs_kernelI22helper_blocked_stripedN15benchmark_utils11custom_typeIiiEELj128ELj3ELj10EEvPKT0_PS4_.has_indirect_call, 0
	.section	.AMDGPU.csdata,"",@progbits
; Kernel info:
; codeLenInByte = 2740
; TotalNumSgprs: 51
; NumVgprs: 39
; ScratchSize: 0
; MemoryBound: 0
; FloatMode: 240
; IeeeMode: 1
; LDSByteSize: 3072 bytes/workgroup (compile time only)
; SGPRBlocks: 8
; VGPRBlocks: 9
; NumSGPRsForWavesPerEU: 65
; NumVGPRsForWavesPerEU: 39
; Occupancy: 6
; WaveLimiterHint : 1
; COMPUTE_PGM_RSRC2:SCRATCH_EN: 0
; COMPUTE_PGM_RSRC2:USER_SGPR: 6
; COMPUTE_PGM_RSRC2:TRAP_HANDLER: 0
; COMPUTE_PGM_RSRC2:TGID_X_EN: 1
; COMPUTE_PGM_RSRC2:TGID_Y_EN: 0
; COMPUTE_PGM_RSRC2:TGID_Z_EN: 0
; COMPUTE_PGM_RSRC2:TIDIG_COMP_CNT: 2
	.section	.text._Z16sort_keys_kernelI22helper_blocked_stripedN15benchmark_utils11custom_typeIiiEELj128ELj4ELj10EEvPKT0_PS4_,"axG",@progbits,_Z16sort_keys_kernelI22helper_blocked_stripedN15benchmark_utils11custom_typeIiiEELj128ELj4ELj10EEvPKT0_PS4_,comdat
	.protected	_Z16sort_keys_kernelI22helper_blocked_stripedN15benchmark_utils11custom_typeIiiEELj128ELj4ELj10EEvPKT0_PS4_ ; -- Begin function _Z16sort_keys_kernelI22helper_blocked_stripedN15benchmark_utils11custom_typeIiiEELj128ELj4ELj10EEvPKT0_PS4_
	.globl	_Z16sort_keys_kernelI22helper_blocked_stripedN15benchmark_utils11custom_typeIiiEELj128ELj4ELj10EEvPKT0_PS4_
	.p2align	8
	.type	_Z16sort_keys_kernelI22helper_blocked_stripedN15benchmark_utils11custom_typeIiiEELj128ELj4ELj10EEvPKT0_PS4_,@function
_Z16sort_keys_kernelI22helper_blocked_stripedN15benchmark_utils11custom_typeIiiEELj128ELj4ELj10EEvPKT0_PS4_: ; @_Z16sort_keys_kernelI22helper_blocked_stripedN15benchmark_utils11custom_typeIiiEELj128ELj4ELj10EEvPKT0_PS4_
; %bb.0:
	s_load_dwordx4 s[40:43], s[4:5], 0x0
	s_load_dword s8, s[4:5], 0x1c
	s_lshl_b32 s44, s6, 9
	s_mov_b32 s45, 0
	s_lshl_b64 s[46:47], s[44:45], 3
	s_waitcnt lgkmcnt(0)
	s_add_u32 s0, s40, s46
	s_addc_u32 s1, s41, s47
	v_lshlrev_b32_e32 v11, 5, v0
	global_load_dwordx4 v[3:6], v11, s[0:1] offset:16
	global_load_dwordx4 v[7:10], v11, s[0:1]
	global_load_dwordx2 v[7:8], v11, s[0:1]
	v_mbcnt_lo_u32_b32 v13, -1, 0
	v_mbcnt_hi_u32_b32 v13, -1, v13
	s_lshr_b32 s9, s8, 16
	s_and_b32 s8, s8, 0xffff
	v_mad_u32_u24 v1, v2, s9, v1
	v_and_b32_e32 v2, 15, v13
	v_mad_u32_u24 v1, v1, s8, v0
	v_cmp_eq_u32_e64 s[8:9], 0, v2
	v_cmp_lt_u32_e64 s[10:11], 1, v2
	v_cmp_lt_u32_e64 s[12:13], 3, v2
	v_cmp_lt_u32_e64 s[14:15], 7, v2
	v_and_b32_e32 v2, 16, v13
	v_cmp_eq_u32_e64 s[16:17], 0, v2
	v_or_b32_e32 v2, 63, v0
	v_and_b32_e32 v16, 64, v13
	v_cmp_eq_u32_e64 s[20:21], v0, v2
	v_subrev_co_u32_e64 v2, s[26:27], 1, v13
	v_cmp_lt_i32_e32 vcc, v2, v16
	v_cndmask_b32_e32 v2, v2, v13, vcc
	v_lshrrev_b32_e32 v14, 2, v13
	v_lshlrev_b32_e32 v24, 2, v2
	v_lshrrev_b32_e32 v2, 4, v0
	v_or_b32_e32 v17, v14, v16
	v_add_u32_e32 v14, 48, v14
	v_lshlrev_b32_e32 v23, 4, v0
	v_and_b32_e32 v25, 4, v2
	v_and_b32_e32 v2, 1, v13
	v_lshlrev_b32_e32 v12, 2, v0
	v_and_b32_e32 v15, 3, v13
	v_lshlrev_b32_e32 v19, 2, v17
	v_and_or_b32 v14, v14, 63, v16
	v_mad_i32_i24 v26, v0, -12, v23
	v_cmp_eq_u32_e64 s[30:31], 0, v2
	v_and_b32_e32 v2, 0x800, v11
	v_lshrrev_b32_e32 v1, 4, v1
                                        ; kill: killed $sgpr0 killed $sgpr1
	v_cmp_eq_u32_e64 s[0:1], 0, v15
	v_cmp_eq_u32_e64 s[2:3], 1, v15
	;; [unrolled: 1-line block ×4, first 2 shown]
	v_add_u32_e32 v20, 64, v19
	v_or_b32_e32 v21, 0x80, v19
	v_lshlrev_b32_e32 v22, 2, v14
	v_cmp_lt_u32_e64 s[18:19], 31, v13
	v_cmp_gt_u32_e64 s[22:23], 2, v0
	v_cmp_lt_u32_e64 s[24:25], 63, v0
	v_cmp_eq_u32_e64 s[28:29], 0, v0
	v_add_u32_e32 v27, -4, v25
	v_lshl_or_b32 v28, v13, 3, v2
	v_and_b32_e32 v29, 0xffffffc, v1
	s_mov_b32 s44, s45
	s_mov_b32 s40, s45
	;; [unrolled: 1-line block ×3, first 2 shown]
	v_mov_b32_e32 v11, 0
	v_add_u32_e32 v30, v26, v12
	s_mov_b32 s33, s45
	s_branch .LBB348_2
.LBB348_1:                              ;   in Loop: Header=BB348_2 Depth=1
	s_barrier
	ds_write_b64 v33, v[17:18]
	ds_write_b64 v31, v[15:16]
	ds_write_b64 v32, v[13:14]
	ds_write_b64 v12, v[9:10]
	s_waitcnt lgkmcnt(0)
	s_barrier
	ds_read2st64_b64 v[1:4], v30 offset1:2
	ds_read2st64_b64 v[12:15], v30 offset0:4 offset1:6
	s_add_i32 s33, s33, 1
	s_cmp_eq_u32 s33, 10
	s_waitcnt lgkmcnt(1)
	v_xor_b32_e32 v7, 0x80000000, v1
	v_xor_b32_e32 v8, 0x80000000, v2
	;; [unrolled: 1-line block ×4, first 2 shown]
	s_waitcnt lgkmcnt(0)
	v_xor_b32_e32 v3, 0x80000000, v12
	v_xor_b32_e32 v4, 0x80000000, v13
	;; [unrolled: 1-line block ×4, first 2 shown]
	s_cbranch_scc1 .LBB348_20
.LBB348_2:                              ; =>This Loop Header: Depth=1
                                        ;     Child Loop BB348_4 Depth 2
	s_waitcnt vmcnt(0)
	v_xor_b32_e32 v8, 0x80000000, v8
	v_xor_b32_e32 v10, 0x80000000, v10
	ds_bpermute_b32 v1, v19, v8
	v_xor_b32_e32 v12, 0x80000000, v3
	v_xor_b32_e32 v13, 0x80000000, v4
	ds_bpermute_b32 v3, v19, v10
	v_xor_b32_e32 v14, 0x80000000, v5
	ds_bpermute_b32 v5, v19, v13
	v_xor_b32_e32 v7, 0x80000000, v7
	v_xor_b32_e32 v9, 0x80000000, v9
	ds_bpermute_b32 v2, v19, v7
	s_waitcnt lgkmcnt(3)
	v_cndmask_b32_e64 v1, 0, v1, s[0:1]
	ds_bpermute_b32 v4, v19, v9
	v_xor_b32_e32 v15, 0x80000000, v6
	ds_bpermute_b32 v6, v19, v12
	s_waitcnt lgkmcnt(4)
	v_cndmask_b32_e64 v1, v1, v3, s[2:3]
	ds_bpermute_b32 v3, v19, v15
	s_waitcnt lgkmcnt(4)
	v_cndmask_b32_e64 v1, v1, v5, s[4:5]
	ds_bpermute_b32 v5, v19, v14
	s_waitcnt lgkmcnt(4)
	v_cndmask_b32_e64 v2, 0, v2, s[0:1]
	s_waitcnt lgkmcnt(3)
	v_cndmask_b32_e64 v2, v2, v4, s[2:3]
	s_waitcnt lgkmcnt(2)
	v_cndmask_b32_e64 v4, v2, v6, s[4:5]
	ds_bpermute_b32 v6, v20, v7
	s_waitcnt lgkmcnt(2)
	v_cndmask_b32_e64 v2, v1, v3, s[6:7]
	ds_bpermute_b32 v3, v20, v8
	;; [unrolled: 3-line block ×3, first 2 shown]
	ds_bpermute_b32 v16, v20, v10
	s_waitcnt lgkmcnt(3)
	v_cndmask_b32_e64 v5, 0, v6, s[0:1]
	s_waitcnt lgkmcnt(2)
	v_cndmask_b32_e64 v3, 0, v3, s[0:1]
	ds_bpermute_b32 v6, v20, v13
	s_waitcnt lgkmcnt(2)
	v_cndmask_b32_e64 v4, v5, v4, s[2:3]
	ds_bpermute_b32 v5, v20, v12
	;; [unrolled: 3-line block ×3, first 2 shown]
	ds_bpermute_b32 v17, v20, v14
	s_waitcnt lgkmcnt(3)
	v_cndmask_b32_e64 v3, v3, v6, s[4:5]
	ds_bpermute_b32 v6, v21, v8
	s_waitcnt lgkmcnt(3)
	v_cndmask_b32_e64 v5, v4, v5, s[4:5]
	;; [unrolled: 3-line block ×3, first 2 shown]
	s_waitcnt lgkmcnt(2)
	v_cndmask_b32_e64 v3, v5, v17, s[6:7]
	ds_bpermute_b32 v5, v21, v7
	ds_bpermute_b32 v16, v21, v10
	;; [unrolled: 1-line block ×5, first 2 shown]
	s_waitcnt lgkmcnt(5)
	v_cndmask_b32_e64 v8, 0, v8, s[0:1]
	ds_bpermute_b32 v9, v22, v9
	v_cndmask_b32_e64 v6, 0, v6, s[0:1]
	ds_bpermute_b32 v18, v21, v13
	s_waitcnt lgkmcnt(6)
	v_cndmask_b32_e64 v5, 0, v5, s[0:1]
	ds_bpermute_b32 v31, v21, v12
	s_waitcnt lgkmcnt(5)
	v_cndmask_b32_e64 v8, v8, v10, s[2:3]
	ds_bpermute_b32 v10, v22, v13
	ds_bpermute_b32 v12, v22, v12
	v_cndmask_b32_e64 v6, v6, v16, s[2:3]
	s_waitcnt lgkmcnt(6)
	v_cndmask_b32_e64 v5, v5, v17, s[2:3]
	ds_bpermute_b32 v16, v21, v15
	ds_bpermute_b32 v17, v21, v14
	;; [unrolled: 1-line block ×4, first 2 shown]
	s_waitcnt lgkmcnt(9)
	v_cndmask_b32_e64 v7, 0, v7, s[0:1]
	s_waitcnt lgkmcnt(8)
	v_cndmask_b32_e64 v7, v7, v9, s[2:3]
	;; [unrolled: 2-line block ×10, first 2 shown]
	s_mov_b32 s48, 8
	s_mov_b32 s49, 32
	;; [unrolled: 1-line block ×3, first 2 shown]
	s_barrier
	s_branch .LBB348_4
.LBB348_3:                              ;   in Loop: Header=BB348_4 Depth=2
	s_andn2_b64 vcc, exec, s[34:35]
	s_cbranch_vccz .LBB348_1
.LBB348_4:                              ;   Parent Loop BB348_2 Depth=1
                                        ; =>  This Inner Loop Header: Depth=2
	s_min_i32 s36, s48, 32
	s_cmp_lt_u32 s50, 32
	s_cselect_b64 s[34:35], -1, 0
	s_cmp_gt_u32 s50, 31
	s_cselect_b64 vcc, -1, 0
	s_sub_i32 s36, s36, 32
	s_add_i32 s37, s36, s49
	s_lshl_b32 s37, -1, s37
	s_not_b32 s37, s37
	s_cmp_lg_u32 s36, s50
	s_cselect_b32 s52, s37, -1
	s_max_i32 s51, s49, 0
	s_max_i32 s36, s50, 32
	s_sub_i32 s53, s36, 32
	s_sub_i32 s36, s36, s51
	;; [unrolled: 1-line block ×3, first 2 shown]
	s_min_i32 s36, s36, 32
	s_sub_i32 s36, s36, s53
	v_mov_b32_e32 v18, v2
	v_mov_b32_e32 v16, v4
	s_lshl_b32 s37, -1, s36
	v_mov_b32_e32 v17, v1
	v_mov_b32_e32 v15, v3
	;; [unrolled: 1-line block ×4, first 2 shown]
	s_not_b32 s37, s37
	v_mov_b32_e32 v2, s45
	v_mov_b32_e32 v4, s41
	s_cmp_lg_u32 s36, 32
	ds_write2_b64 v23, v[1:2], v[3:4] offset0:1 offset1:2
	s_cselect_b32 s54, s37, -1
	v_lshrrev_b32_e32 v2, s53, v17
	v_lshrrev_b32_e32 v1, s50, v18
	v_and_b32_e32 v2, s54, v2
	v_and_b32_e32 v1, s52, v1
	v_lshlrev_b32_e32 v2, s51, v2
	v_cndmask_b32_e64 v1, 0, v1, s[34:35]
	v_cndmask_b32_e32 v2, 0, v2, vcc
	v_or_b32_e32 v1, v1, v2
	v_and_b32_e32 v2, 1, v1
	v_mov_b32_e32 v14, v6
	v_add_co_u32_e64 v4, s[36:37], -1, v2
	v_mov_b32_e32 v13, v5
	v_addc_co_u32_e64 v5, s[36:37], 0, -1, s[36:37]
	v_cmp_ne_u32_e64 s[36:37], 0, v2
	v_lshlrev_b32_e32 v12, 30, v1
	v_xor_b32_e32 v2, s37, v5
	v_xor_b32_e32 v4, s36, v4
	v_cmp_gt_i64_e64 s[36:37], 0, v[11:12]
	v_not_b32_e32 v5, v12
	v_ashrrev_i32_e32 v5, 31, v5
	v_and_b32_e32 v4, exec_lo, v4
	v_xor_b32_e32 v6, s37, v5
	v_xor_b32_e32 v5, s36, v5
	v_lshlrev_b32_e32 v12, 29, v1
	v_and_b32_e32 v4, v4, v5
	v_cmp_gt_i64_e64 s[36:37], 0, v[11:12]
	v_not_b32_e32 v5, v12
	v_and_b32_e32 v2, exec_hi, v2
	v_ashrrev_i32_e32 v5, 31, v5
	v_and_b32_e32 v2, v2, v6
	v_xor_b32_e32 v6, s37, v5
	v_xor_b32_e32 v5, s36, v5
	v_lshlrev_b32_e32 v12, 28, v1
	v_and_b32_e32 v4, v4, v5
	v_cmp_gt_i64_e64 s[36:37], 0, v[11:12]
	v_not_b32_e32 v5, v12
	v_ashrrev_i32_e32 v5, 31, v5
	v_and_b32_e32 v2, v2, v6
	v_xor_b32_e32 v6, s37, v5
	v_xor_b32_e32 v5, s36, v5
	v_lshlrev_b32_e32 v12, 27, v1
	v_and_b32_e32 v4, v4, v5
	v_cmp_gt_i64_e64 s[36:37], 0, v[11:12]
	v_not_b32_e32 v5, v12
	v_ashrrev_i32_e32 v5, 31, v5
	v_and_b32_e32 v2, v2, v6
	v_xor_b32_e32 v6, s37, v5
	v_xor_b32_e32 v5, s36, v5
	v_lshlrev_b32_e32 v12, 26, v1
	v_and_b32_e32 v4, v4, v5
	v_cmp_gt_i64_e64 s[36:37], 0, v[11:12]
	v_not_b32_e32 v5, v12
	v_ashrrev_i32_e32 v5, 31, v5
	v_and_b32_e32 v2, v2, v6
	v_xor_b32_e32 v6, s37, v5
	v_xor_b32_e32 v5, s36, v5
	v_lshlrev_b32_e32 v12, 25, v1
	v_and_b32_e32 v4, v4, v5
	v_cmp_gt_i64_e64 s[36:37], 0, v[11:12]
	v_not_b32_e32 v5, v12
	v_ashrrev_i32_e32 v5, 31, v5
	v_lshlrev_b32_e32 v12, 24, v1
	v_lshlrev_b32_e32 v3, 3, v1
	v_and_b32_e32 v2, v2, v6
	v_xor_b32_e32 v6, s37, v5
	v_xor_b32_e32 v5, s36, v5
	v_cmp_gt_i64_e64 s[36:37], 0, v[11:12]
	v_not_b32_e32 v1, v12
	v_ashrrev_i32_e32 v1, 31, v1
	v_and_b32_e32 v4, v4, v5
	v_xor_b32_e32 v5, s37, v1
	v_xor_b32_e32 v1, s36, v1
	v_and_b32_e32 v2, v2, v6
	v_and_b32_e32 v1, v4, v1
	;; [unrolled: 1-line block ×3, first 2 shown]
	v_mbcnt_lo_u32_b32 v4, v1, 0
	v_mbcnt_hi_u32_b32 v5, v2, v4
	v_cmp_ne_u64_e64 s[36:37], 0, v[1:2]
	v_mov_b32_e32 v10, v8
	v_cmp_eq_u32_e64 s[38:39], 0, v5
	v_mov_b32_e32 v9, v7
	s_and_b64 s[38:39], s[38:39], s[36:37]
	v_add_u32_e32 v6, v29, v3
	s_waitcnt lgkmcnt(0)
	s_barrier
	; wave barrier
	s_and_saveexec_b64 s[36:37], s[38:39]
; %bb.5:                                ;   in Loop: Header=BB348_4 Depth=2
	v_bcnt_u32_b32 v1, v1, 0
	v_bcnt_u32_b32 v1, v2, v1
	ds_write_b32 v6, v1 offset:8
; %bb.6:                                ;   in Loop: Header=BB348_4 Depth=2
	s_or_b64 exec, exec, s[36:37]
	v_lshrrev_b32_e32 v2, s53, v15
	v_lshrrev_b32_e32 v1, s50, v16
	v_and_b32_e32 v2, s54, v2
	v_and_b32_e32 v1, s52, v1
	v_lshlrev_b32_e32 v2, s51, v2
	v_cndmask_b32_e64 v1, 0, v1, s[34:35]
	v_cndmask_b32_e32 v2, 0, v2, vcc
	v_or_b32_e32 v1, v1, v2
	v_lshlrev_b32_e32 v2, 3, v1
	v_add_u32_e32 v8, v29, v2
	v_and_b32_e32 v2, 1, v1
	v_add_co_u32_e64 v3, s[36:37], -1, v2
	v_addc_co_u32_e64 v4, s[36:37], 0, -1, s[36:37]
	v_cmp_ne_u32_e64 s[36:37], 0, v2
	v_lshlrev_b32_e32 v12, 30, v1
	v_xor_b32_e32 v2, s37, v4
	v_xor_b32_e32 v3, s36, v3
	v_cmp_gt_i64_e64 s[36:37], 0, v[11:12]
	v_not_b32_e32 v4, v12
	v_ashrrev_i32_e32 v4, 31, v4
	v_and_b32_e32 v2, exec_hi, v2
	v_xor_b32_e32 v12, s37, v4
	v_and_b32_e32 v3, exec_lo, v3
	v_xor_b32_e32 v4, s36, v4
	v_and_b32_e32 v2, v2, v12
	v_lshlrev_b32_e32 v12, 29, v1
	v_and_b32_e32 v3, v3, v4
	v_cmp_gt_i64_e64 s[36:37], 0, v[11:12]
	v_not_b32_e32 v4, v12
	v_ashrrev_i32_e32 v4, 31, v4
	v_xor_b32_e32 v12, s37, v4
	v_xor_b32_e32 v4, s36, v4
	v_and_b32_e32 v2, v2, v12
	v_lshlrev_b32_e32 v12, 28, v1
	v_and_b32_e32 v3, v3, v4
	v_cmp_gt_i64_e64 s[36:37], 0, v[11:12]
	v_not_b32_e32 v4, v12
	v_ashrrev_i32_e32 v4, 31, v4
	v_xor_b32_e32 v12, s37, v4
	;; [unrolled: 8-line block ×5, first 2 shown]
	v_and_b32_e32 v2, v2, v12
	v_lshlrev_b32_e32 v12, 24, v1
	v_xor_b32_e32 v4, s36, v4
	v_cmp_gt_i64_e64 s[36:37], 0, v[11:12]
	v_not_b32_e32 v1, v12
	v_ashrrev_i32_e32 v1, 31, v1
	v_and_b32_e32 v3, v3, v4
	v_xor_b32_e32 v4, s37, v1
	v_xor_b32_e32 v1, s36, v1
	; wave barrier
	ds_read_b32 v7, v8 offset:8
	v_and_b32_e32 v1, v3, v1
	v_and_b32_e32 v2, v2, v4
	v_mbcnt_lo_u32_b32 v3, v1, 0
	v_mbcnt_hi_u32_b32 v31, v2, v3
	v_cmp_ne_u64_e64 s[36:37], 0, v[1:2]
	v_cmp_eq_u32_e64 s[38:39], 0, v31
	s_and_b64 s[38:39], s[38:39], s[36:37]
	; wave barrier
	s_and_saveexec_b64 s[36:37], s[38:39]
	s_cbranch_execz .LBB348_8
; %bb.7:                                ;   in Loop: Header=BB348_4 Depth=2
	v_bcnt_u32_b32 v1, v1, 0
	v_bcnt_u32_b32 v1, v2, v1
	s_waitcnt lgkmcnt(0)
	v_add_u32_e32 v1, v7, v1
	ds_write_b32 v8, v1 offset:8
.LBB348_8:                              ;   in Loop: Header=BB348_4 Depth=2
	s_or_b64 exec, exec, s[36:37]
	v_lshrrev_b32_e32 v2, s53, v13
	v_lshrrev_b32_e32 v1, s50, v14
	v_and_b32_e32 v2, s54, v2
	v_and_b32_e32 v1, s52, v1
	v_lshlrev_b32_e32 v2, s51, v2
	v_cndmask_b32_e64 v1, 0, v1, s[34:35]
	v_cndmask_b32_e32 v2, 0, v2, vcc
	v_or_b32_e32 v1, v1, v2
	v_lshlrev_b32_e32 v2, 3, v1
	v_add_u32_e32 v33, v29, v2
	v_and_b32_e32 v2, 1, v1
	v_add_co_u32_e64 v3, s[36:37], -1, v2
	v_addc_co_u32_e64 v4, s[36:37], 0, -1, s[36:37]
	v_cmp_ne_u32_e64 s[36:37], 0, v2
	v_lshlrev_b32_e32 v12, 30, v1
	v_xor_b32_e32 v2, s37, v4
	v_xor_b32_e32 v3, s36, v3
	v_cmp_gt_i64_e64 s[36:37], 0, v[11:12]
	v_not_b32_e32 v4, v12
	v_ashrrev_i32_e32 v4, 31, v4
	v_and_b32_e32 v2, exec_hi, v2
	v_xor_b32_e32 v12, s37, v4
	v_and_b32_e32 v3, exec_lo, v3
	v_xor_b32_e32 v4, s36, v4
	v_and_b32_e32 v2, v2, v12
	v_lshlrev_b32_e32 v12, 29, v1
	v_and_b32_e32 v3, v3, v4
	v_cmp_gt_i64_e64 s[36:37], 0, v[11:12]
	v_not_b32_e32 v4, v12
	v_ashrrev_i32_e32 v4, 31, v4
	v_xor_b32_e32 v12, s37, v4
	v_xor_b32_e32 v4, s36, v4
	v_and_b32_e32 v2, v2, v12
	v_lshlrev_b32_e32 v12, 28, v1
	v_and_b32_e32 v3, v3, v4
	v_cmp_gt_i64_e64 s[36:37], 0, v[11:12]
	v_not_b32_e32 v4, v12
	v_ashrrev_i32_e32 v4, 31, v4
	v_xor_b32_e32 v12, s37, v4
	;; [unrolled: 8-line block ×5, first 2 shown]
	v_and_b32_e32 v2, v2, v12
	v_lshlrev_b32_e32 v12, 24, v1
	v_xor_b32_e32 v4, s36, v4
	v_cmp_gt_i64_e64 s[36:37], 0, v[11:12]
	v_not_b32_e32 v1, v12
	v_ashrrev_i32_e32 v1, 31, v1
	v_and_b32_e32 v3, v3, v4
	v_xor_b32_e32 v4, s37, v1
	v_xor_b32_e32 v1, s36, v1
	; wave barrier
	ds_read_b32 v32, v33 offset:8
	v_and_b32_e32 v1, v3, v1
	v_and_b32_e32 v2, v2, v4
	v_mbcnt_lo_u32_b32 v3, v1, 0
	v_mbcnt_hi_u32_b32 v34, v2, v3
	v_cmp_ne_u64_e64 s[36:37], 0, v[1:2]
	v_cmp_eq_u32_e64 s[38:39], 0, v34
	s_and_b64 s[38:39], s[38:39], s[36:37]
	; wave barrier
	s_and_saveexec_b64 s[36:37], s[38:39]
	s_cbranch_execz .LBB348_10
; %bb.9:                                ;   in Loop: Header=BB348_4 Depth=2
	v_bcnt_u32_b32 v1, v1, 0
	v_bcnt_u32_b32 v1, v2, v1
	s_waitcnt lgkmcnt(0)
	v_add_u32_e32 v1, v32, v1
	ds_write_b32 v33, v1 offset:8
.LBB348_10:                             ;   in Loop: Header=BB348_4 Depth=2
	s_or_b64 exec, exec, s[36:37]
	v_lshrrev_b32_e32 v2, s53, v9
	v_lshrrev_b32_e32 v1, s50, v10
	v_and_b32_e32 v2, s54, v2
	v_and_b32_e32 v1, s52, v1
	v_lshlrev_b32_e32 v2, s51, v2
	v_cndmask_b32_e64 v1, 0, v1, s[34:35]
	v_cndmask_b32_e32 v2, 0, v2, vcc
	v_or_b32_e32 v1, v1, v2
	v_lshlrev_b32_e32 v2, 3, v1
	v_add_u32_e32 v36, v29, v2
	v_and_b32_e32 v2, 1, v1
	v_add_co_u32_e32 v3, vcc, -1, v2
	v_addc_co_u32_e64 v4, s[34:35], 0, -1, vcc
	v_cmp_ne_u32_e32 vcc, 0, v2
	v_lshlrev_b32_e32 v12, 30, v1
	v_xor_b32_e32 v2, vcc_hi, v4
	v_xor_b32_e32 v3, vcc_lo, v3
	v_cmp_gt_i64_e32 vcc, 0, v[11:12]
	v_not_b32_e32 v4, v12
	v_ashrrev_i32_e32 v4, 31, v4
	v_and_b32_e32 v2, exec_hi, v2
	v_xor_b32_e32 v12, vcc_hi, v4
	v_and_b32_e32 v3, exec_lo, v3
	v_xor_b32_e32 v4, vcc_lo, v4
	v_and_b32_e32 v2, v2, v12
	v_lshlrev_b32_e32 v12, 29, v1
	v_and_b32_e32 v3, v3, v4
	v_cmp_gt_i64_e32 vcc, 0, v[11:12]
	v_not_b32_e32 v4, v12
	v_ashrrev_i32_e32 v4, 31, v4
	v_xor_b32_e32 v12, vcc_hi, v4
	v_xor_b32_e32 v4, vcc_lo, v4
	v_and_b32_e32 v2, v2, v12
	v_lshlrev_b32_e32 v12, 28, v1
	v_and_b32_e32 v3, v3, v4
	v_cmp_gt_i64_e32 vcc, 0, v[11:12]
	v_not_b32_e32 v4, v12
	v_ashrrev_i32_e32 v4, 31, v4
	v_xor_b32_e32 v12, vcc_hi, v4
	;; [unrolled: 8-line block ×5, first 2 shown]
	v_and_b32_e32 v2, v2, v12
	v_lshlrev_b32_e32 v12, 24, v1
	v_xor_b32_e32 v4, vcc_lo, v4
	v_cmp_gt_i64_e32 vcc, 0, v[11:12]
	v_not_b32_e32 v1, v12
	v_ashrrev_i32_e32 v1, 31, v1
	v_and_b32_e32 v3, v3, v4
	v_xor_b32_e32 v4, vcc_hi, v1
	v_xor_b32_e32 v1, vcc_lo, v1
	; wave barrier
	ds_read_b32 v35, v36 offset:8
	v_and_b32_e32 v1, v3, v1
	v_and_b32_e32 v2, v2, v4
	v_mbcnt_lo_u32_b32 v3, v1, 0
	v_mbcnt_hi_u32_b32 v12, v2, v3
	v_cmp_ne_u64_e32 vcc, 0, v[1:2]
	v_cmp_eq_u32_e64 s[34:35], 0, v12
	s_and_b64 s[36:37], s[34:35], vcc
	; wave barrier
	s_and_saveexec_b64 s[34:35], s[36:37]
	s_cbranch_execz .LBB348_12
; %bb.11:                               ;   in Loop: Header=BB348_4 Depth=2
	v_bcnt_u32_b32 v1, v1, 0
	v_bcnt_u32_b32 v1, v2, v1
	s_waitcnt lgkmcnt(0)
	v_add_u32_e32 v1, v35, v1
	ds_write_b32 v36, v1 offset:8
.LBB348_12:                             ;   in Loop: Header=BB348_4 Depth=2
	s_or_b64 exec, exec, s[34:35]
	; wave barrier
	s_waitcnt lgkmcnt(0)
	s_barrier
	ds_read2_b64 v[1:4], v23 offset0:1 offset1:2
	s_waitcnt lgkmcnt(0)
	v_add_u32_e32 v37, v2, v1
	v_add3_u32 v4, v37, v3, v4
	s_nop 1
	v_mov_b32_dpp v37, v4 row_shr:1 row_mask:0xf bank_mask:0xf
	v_cndmask_b32_e64 v37, v37, 0, s[8:9]
	v_add_u32_e32 v4, v37, v4
	s_nop 1
	v_mov_b32_dpp v37, v4 row_shr:2 row_mask:0xf bank_mask:0xf
	v_cndmask_b32_e64 v37, 0, v37, s[10:11]
	v_add_u32_e32 v4, v4, v37
	;; [unrolled: 4-line block ×4, first 2 shown]
	s_nop 1
	v_mov_b32_dpp v37, v4 row_bcast:15 row_mask:0xf bank_mask:0xf
	v_cndmask_b32_e64 v37, v37, 0, s[16:17]
	v_add_u32_e32 v4, v4, v37
	s_nop 1
	v_mov_b32_dpp v37, v4 row_bcast:31 row_mask:0xf bank_mask:0xf
	v_cndmask_b32_e64 v37, 0, v37, s[18:19]
	v_add_u32_e32 v4, v4, v37
	s_and_saveexec_b64 s[34:35], s[20:21]
; %bb.13:                               ;   in Loop: Header=BB348_4 Depth=2
	ds_write_b32 v25, v4
; %bb.14:                               ;   in Loop: Header=BB348_4 Depth=2
	s_or_b64 exec, exec, s[34:35]
	s_waitcnt lgkmcnt(0)
	s_barrier
	s_and_saveexec_b64 s[34:35], s[22:23]
	s_cbranch_execz .LBB348_16
; %bb.15:                               ;   in Loop: Header=BB348_4 Depth=2
	ds_read_b32 v37, v26
	s_waitcnt lgkmcnt(0)
	s_nop 0
	v_mov_b32_dpp v38, v37 row_shr:1 row_mask:0xf bank_mask:0xf
	v_cndmask_b32_e64 v38, v38, 0, s[30:31]
	v_add_u32_e32 v37, v38, v37
	ds_write_b32 v26, v37
.LBB348_16:                             ;   in Loop: Header=BB348_4 Depth=2
	s_or_b64 exec, exec, s[34:35]
	v_mov_b32_e32 v37, 0
	s_waitcnt lgkmcnt(0)
	s_barrier
	s_and_saveexec_b64 s[34:35], s[24:25]
; %bb.17:                               ;   in Loop: Header=BB348_4 Depth=2
	ds_read_b32 v37, v27
; %bb.18:                               ;   in Loop: Header=BB348_4 Depth=2
	s_or_b64 exec, exec, s[34:35]
	s_waitcnt lgkmcnt(0)
	v_add_u32_e32 v4, v37, v4
	ds_bpermute_b32 v4, v24, v4
	v_lshlrev_b32_e32 v5, 3, v5
	s_cmp_gt_u32 s50, 55
	s_mov_b64 s[34:35], -1
	s_waitcnt lgkmcnt(0)
	v_cndmask_b32_e64 v4, v4, v37, s[26:27]
	v_cndmask_b32_e64 v37, v4, 0, s[28:29]
	v_add_u32_e32 v38, v37, v1
	v_add_u32_e32 v1, v38, v2
	;; [unrolled: 1-line block ×3, first 2 shown]
	ds_write2_b64 v23, v[37:38], v[1:2] offset0:1 offset1:2
	s_waitcnt lgkmcnt(0)
	s_barrier
	ds_read_b32 v1, v6 offset:8
	ds_read_b32 v2, v8 offset:8
	;; [unrolled: 1-line block ×4, first 2 shown]
	s_waitcnt lgkmcnt(0)
	v_lshl_add_u32 v33, v1, 3, v5
	v_lshlrev_b32_e32 v1, 3, v31
	v_lshlrev_b32_e32 v5, 3, v7
	v_lshlrev_b32_e32 v2, 3, v2
	v_add3_u32 v31, v1, v5, v2
	v_lshlrev_b32_e32 v1, 3, v34
	v_lshlrev_b32_e32 v2, 3, v32
	v_lshlrev_b32_e32 v3, 3, v3
	v_add3_u32 v32, v1, v2, v3
	;; [unrolled: 4-line block ×3, first 2 shown]
                                        ; implicit-def: $vgpr1_vgpr2
                                        ; implicit-def: $vgpr5_vgpr6
	s_cbranch_scc1 .LBB348_3
; %bb.19:                               ;   in Loop: Header=BB348_4 Depth=2
	s_barrier
	ds_write_b64 v33, v[17:18]
	ds_write_b64 v31, v[15:16]
	;; [unrolled: 1-line block ×4, first 2 shown]
	s_waitcnt lgkmcnt(0)
	s_barrier
	ds_read2st64_b64 v[1:4], v28 offset1:1
	ds_read2st64_b64 v[5:8], v28 offset0:2 offset1:3
	s_add_i32 s49, s49, -8
	s_add_i32 s48, s48, 8
	s_add_i32 s50, s50, 8
	s_mov_b64 s[34:35], 0
	s_waitcnt lgkmcnt(0)
	s_barrier
	s_branch .LBB348_3
.LBB348_20:
	s_add_u32 s0, s42, s46
	s_addc_u32 s1, s43, s47
	v_lshlrev_b32_e32 v0, 3, v0
	global_store_dwordx2 v0, v[7:8], s[0:1]
	global_store_dwordx2 v0, v[9:10], s[0:1] offset:1024
	global_store_dwordx2 v0, v[3:4], s[0:1] offset:2048
	;; [unrolled: 1-line block ×3, first 2 shown]
	s_endpgm
	.section	.rodata,"a",@progbits
	.p2align	6, 0x0
	.amdhsa_kernel _Z16sort_keys_kernelI22helper_blocked_stripedN15benchmark_utils11custom_typeIiiEELj128ELj4ELj10EEvPKT0_PS4_
		.amdhsa_group_segment_fixed_size 4096
		.amdhsa_private_segment_fixed_size 0
		.amdhsa_kernarg_size 272
		.amdhsa_user_sgpr_count 6
		.amdhsa_user_sgpr_private_segment_buffer 1
		.amdhsa_user_sgpr_dispatch_ptr 0
		.amdhsa_user_sgpr_queue_ptr 0
		.amdhsa_user_sgpr_kernarg_segment_ptr 1
		.amdhsa_user_sgpr_dispatch_id 0
		.amdhsa_user_sgpr_flat_scratch_init 0
		.amdhsa_user_sgpr_private_segment_size 0
		.amdhsa_uses_dynamic_stack 0
		.amdhsa_system_sgpr_private_segment_wavefront_offset 0
		.amdhsa_system_sgpr_workgroup_id_x 1
		.amdhsa_system_sgpr_workgroup_id_y 0
		.amdhsa_system_sgpr_workgroup_id_z 0
		.amdhsa_system_sgpr_workgroup_info 0
		.amdhsa_system_vgpr_workitem_id 2
		.amdhsa_next_free_vgpr 39
		.amdhsa_next_free_sgpr 61
		.amdhsa_reserve_vcc 1
		.amdhsa_reserve_flat_scratch 0
		.amdhsa_float_round_mode_32 0
		.amdhsa_float_round_mode_16_64 0
		.amdhsa_float_denorm_mode_32 3
		.amdhsa_float_denorm_mode_16_64 3
		.amdhsa_dx10_clamp 1
		.amdhsa_ieee_mode 1
		.amdhsa_fp16_overflow 0
		.amdhsa_exception_fp_ieee_invalid_op 0
		.amdhsa_exception_fp_denorm_src 0
		.amdhsa_exception_fp_ieee_div_zero 0
		.amdhsa_exception_fp_ieee_overflow 0
		.amdhsa_exception_fp_ieee_underflow 0
		.amdhsa_exception_fp_ieee_inexact 0
		.amdhsa_exception_int_div_zero 0
	.end_amdhsa_kernel
	.section	.text._Z16sort_keys_kernelI22helper_blocked_stripedN15benchmark_utils11custom_typeIiiEELj128ELj4ELj10EEvPKT0_PS4_,"axG",@progbits,_Z16sort_keys_kernelI22helper_blocked_stripedN15benchmark_utils11custom_typeIiiEELj128ELj4ELj10EEvPKT0_PS4_,comdat
.Lfunc_end348:
	.size	_Z16sort_keys_kernelI22helper_blocked_stripedN15benchmark_utils11custom_typeIiiEELj128ELj4ELj10EEvPKT0_PS4_, .Lfunc_end348-_Z16sort_keys_kernelI22helper_blocked_stripedN15benchmark_utils11custom_typeIiiEELj128ELj4ELj10EEvPKT0_PS4_
                                        ; -- End function
	.set _Z16sort_keys_kernelI22helper_blocked_stripedN15benchmark_utils11custom_typeIiiEELj128ELj4ELj10EEvPKT0_PS4_.num_vgpr, 39
	.set _Z16sort_keys_kernelI22helper_blocked_stripedN15benchmark_utils11custom_typeIiiEELj128ELj4ELj10EEvPKT0_PS4_.num_agpr, 0
	.set _Z16sort_keys_kernelI22helper_blocked_stripedN15benchmark_utils11custom_typeIiiEELj128ELj4ELj10EEvPKT0_PS4_.numbered_sgpr, 55
	.set _Z16sort_keys_kernelI22helper_blocked_stripedN15benchmark_utils11custom_typeIiiEELj128ELj4ELj10EEvPKT0_PS4_.num_named_barrier, 0
	.set _Z16sort_keys_kernelI22helper_blocked_stripedN15benchmark_utils11custom_typeIiiEELj128ELj4ELj10EEvPKT0_PS4_.private_seg_size, 0
	.set _Z16sort_keys_kernelI22helper_blocked_stripedN15benchmark_utils11custom_typeIiiEELj128ELj4ELj10EEvPKT0_PS4_.uses_vcc, 1
	.set _Z16sort_keys_kernelI22helper_blocked_stripedN15benchmark_utils11custom_typeIiiEELj128ELj4ELj10EEvPKT0_PS4_.uses_flat_scratch, 0
	.set _Z16sort_keys_kernelI22helper_blocked_stripedN15benchmark_utils11custom_typeIiiEELj128ELj4ELj10EEvPKT0_PS4_.has_dyn_sized_stack, 0
	.set _Z16sort_keys_kernelI22helper_blocked_stripedN15benchmark_utils11custom_typeIiiEELj128ELj4ELj10EEvPKT0_PS4_.has_recursion, 0
	.set _Z16sort_keys_kernelI22helper_blocked_stripedN15benchmark_utils11custom_typeIiiEELj128ELj4ELj10EEvPKT0_PS4_.has_indirect_call, 0
	.section	.AMDGPU.csdata,"",@progbits
; Kernel info:
; codeLenInByte = 3680
; TotalNumSgprs: 59
; NumVgprs: 39
; ScratchSize: 0
; MemoryBound: 0
; FloatMode: 240
; IeeeMode: 1
; LDSByteSize: 4096 bytes/workgroup (compile time only)
; SGPRBlocks: 8
; VGPRBlocks: 9
; NumSGPRsForWavesPerEU: 65
; NumVGPRsForWavesPerEU: 39
; Occupancy: 6
; WaveLimiterHint : 1
; COMPUTE_PGM_RSRC2:SCRATCH_EN: 0
; COMPUTE_PGM_RSRC2:USER_SGPR: 6
; COMPUTE_PGM_RSRC2:TRAP_HANDLER: 0
; COMPUTE_PGM_RSRC2:TGID_X_EN: 1
; COMPUTE_PGM_RSRC2:TGID_Y_EN: 0
; COMPUTE_PGM_RSRC2:TGID_Z_EN: 0
; COMPUTE_PGM_RSRC2:TIDIG_COMP_CNT: 2
	.section	.text._Z17sort_pairs_kernelI22helper_blocked_stripedN15benchmark_utils11custom_typeIiiEELj128ELj4ELj10EEvPKT0_PS4_,"axG",@progbits,_Z17sort_pairs_kernelI22helper_blocked_stripedN15benchmark_utils11custom_typeIiiEELj128ELj4ELj10EEvPKT0_PS4_,comdat
	.protected	_Z17sort_pairs_kernelI22helper_blocked_stripedN15benchmark_utils11custom_typeIiiEELj128ELj4ELj10EEvPKT0_PS4_ ; -- Begin function _Z17sort_pairs_kernelI22helper_blocked_stripedN15benchmark_utils11custom_typeIiiEELj128ELj4ELj10EEvPKT0_PS4_
	.globl	_Z17sort_pairs_kernelI22helper_blocked_stripedN15benchmark_utils11custom_typeIiiEELj128ELj4ELj10EEvPKT0_PS4_
	.p2align	8
	.type	_Z17sort_pairs_kernelI22helper_blocked_stripedN15benchmark_utils11custom_typeIiiEELj128ELj4ELj10EEvPKT0_PS4_,@function
_Z17sort_pairs_kernelI22helper_blocked_stripedN15benchmark_utils11custom_typeIiiEELj128ELj4ELj10EEvPKT0_PS4_: ; @_Z17sort_pairs_kernelI22helper_blocked_stripedN15benchmark_utils11custom_typeIiiEELj128ELj4ELj10EEvPKT0_PS4_
; %bb.0:
	s_load_dwordx4 s[40:43], s[4:5], 0x0
	s_load_dword s34, s[4:5], 0x1c
	s_lshl_b32 s46, s6, 9
	s_mov_b32 s47, 0
	s_lshl_b64 s[44:45], s[46:47], 3
	s_waitcnt lgkmcnt(0)
	s_add_u32 s0, s40, s44
	s_addc_u32 s1, s41, s45
	v_lshlrev_b32_e32 v3, 5, v0
	global_load_dwordx4 v[5:8], v3, s[0:1]
	global_load_dwordx4 v[9:12], v3, s[0:1] offset:16
	v_mbcnt_lo_u32_b32 v4, -1, 0
	v_mbcnt_hi_u32_b32 v4, -1, v4
	v_or_b32_e32 v14, 63, v0
	s_lshr_b32 s35, s34, 16
	v_lshrrev_b32_e32 v16, 2, v4
	v_and_b32_e32 v18, 64, v4
	v_cmp_eq_u32_e64 s[8:9], v0, v14
	v_subrev_co_u32_e64 v14, s[10:11], 1, v4
	s_and_b32 s34, s34, 0xffff
	v_mad_u32_u24 v1, v2, s35, v1
	v_lshlrev_b32_e32 v35, 4, v0
	v_lshrrev_b32_e32 v15, 4, v0
	v_and_b32_e32 v3, 0x800, v3
	v_or_b32_e32 v21, v16, v18
	v_add_u32_e32 v16, 48, v16
	v_cmp_lt_i32_e32 vcc, v14, v18
	v_mad_u32_u24 v1, v1, s34, v0
	v_lshlrev_b32_e32 v13, 2, v0
	v_and_b32_e32 v17, 3, v4
	v_and_b32_e32 v19, 15, v4
	;; [unrolled: 1-line block ×4, first 2 shown]
	v_mad_i32_i24 v37, v0, -12, v35
	v_and_b32_e32 v15, 1, v4
	v_cndmask_b32_e32 v14, v14, v4, vcc
	v_lshl_or_b32 v39, v4, 3, v3
	v_lshlrev_b32_e32 v41, 2, v21
	v_and_or_b32 v3, v16, 63, v18
	v_lshrrev_b32_e32 v1, 4, v1
	v_cmp_gt_u32_e64 s[0:1], 2, v0
	v_cmp_lt_u32_e64 s[2:3], 63, v0
	v_cmp_eq_u32_e64 s[4:5], 0, v0
	s_mov_b32 s40, s47
	s_mov_b32 s41, s47
	;; [unrolled: 1-line block ×3, first 2 shown]
	v_cmp_lt_u32_e64 s[6:7], 31, v4
	s_mov_b32 s46, s47
	v_cmp_eq_u32_e64 s[12:13], 0, v17
	v_cmp_eq_u32_e64 s[14:15], 1, v17
	;; [unrolled: 1-line block ×5, first 2 shown]
	v_cmp_lt_u32_e64 s[22:23], 1, v19
	v_cmp_lt_u32_e64 s[24:25], 3, v19
	;; [unrolled: 1-line block ×3, first 2 shown]
	v_cmp_eq_u32_e64 s[28:29], 0, v20
	v_cmp_eq_u32_e64 s[30:31], 0, v15
	v_add_u32_e32 v38, -4, v36
	v_add_u32_e32 v40, v37, v13
	v_lshlrev_b32_e32 v42, 2, v14
	v_add_u32_e32 v43, 64, v41
	v_lshlrev_b32_e32 v44, 2, v3
	v_or_b32_e32 v45, 0x80, v41
	v_and_b32_e32 v46, 0xffffffc, v1
	v_mov_b32_e32 v17, 0
	s_waitcnt vmcnt(1)
	v_add_u32_e32 v14, 1, v6
	v_add_u32_e32 v13, 1, v5
	;; [unrolled: 1-line block ×4, first 2 shown]
	s_waitcnt vmcnt(0)
	v_add_u32_e32 v2, 1, v10
	v_add_u32_e32 v1, 1, v9
	;; [unrolled: 1-line block ×4, first 2 shown]
	s_branch .LBB349_2
.LBB349_1:                              ;   in Loop: Header=BB349_2 Depth=1
	s_barrier
	ds_write_b64 v18, v[33:34]
	ds_write_b64 v47, v[31:32]
	;; [unrolled: 1-line block ×4, first 2 shown]
	s_waitcnt lgkmcnt(0)
	s_barrier
	ds_read2st64_b64 v[5:8], v40 offset1:2
	ds_read2st64_b64 v[9:12], v40 offset0:4 offset1:6
	s_waitcnt lgkmcnt(0)
	s_barrier
	ds_write_b64 v18, v[25:26]
	ds_write_b64 v47, v[23:24]
	;; [unrolled: 1-line block ×4, first 2 shown]
	s_waitcnt lgkmcnt(0)
	s_barrier
	ds_read2st64_b64 v[13:16], v40 offset1:2
	ds_read2st64_b64 v[1:4], v40 offset0:4 offset1:6
	s_add_i32 s33, s33, 1
	v_xor_b32_e32 v5, 0x80000000, v5
	v_xor_b32_e32 v6, 0x80000000, v6
	v_xor_b32_e32 v7, 0x80000000, v7
	v_xor_b32_e32 v8, 0x80000000, v8
	v_xor_b32_e32 v9, 0x80000000, v9
	v_xor_b32_e32 v10, 0x80000000, v10
	v_xor_b32_e32 v11, 0x80000000, v11
	s_cmp_lg_u32 s33, 10
	v_xor_b32_e32 v12, 0x80000000, v12
	s_cbranch_scc0 .LBB349_20
.LBB349_2:                              ; =>This Loop Header: Depth=1
                                        ;     Child Loop BB349_4 Depth 2
	v_xor_b32_e32 v19, 0x80000000, v6
	v_xor_b32_e32 v8, 0x80000000, v8
	s_waitcnt lgkmcnt(1)
	ds_bpermute_b32 v20, v41, v13
	ds_bpermute_b32 v24, v43, v13
	;; [unrolled: 1-line block ×4, first 2 shown]
	s_waitcnt lgkmcnt(4)
	ds_bpermute_b32 v13, v41, v1
	ds_bpermute_b32 v48, v43, v1
	;; [unrolled: 1-line block ×14, first 2 shown]
	v_xor_b32_e32 v18, 0x80000000, v5
	s_waitcnt lgkmcnt(9)
	v_cndmask_b32_e64 v1, 0, v1, s[12:13]
	v_xor_b32_e32 v7, 0x80000000, v7
	ds_bpermute_b32 v34, v41, v3
	s_waitcnt lgkmcnt(1)
	v_cndmask_b32_e64 v1, v1, v2, s[14:15]
	ds_bpermute_b32 v2, v41, v18
	ds_bpermute_b32 v50, v43, v3
	ds_bpermute_b32 v54, v45, v3
	ds_bpermute_b32 v58, v44, v3
	ds_bpermute_b32 v3, v41, v7
	v_xor_b32_e32 v10, 0x80000000, v10
	s_waitcnt lgkmcnt(4)
	v_cndmask_b32_e64 v2, 0, v2, s[12:13]
	v_xor_b32_e32 v9, 0x80000000, v9
	v_xor_b32_e32 v11, 0x80000000, v11
	s_waitcnt lgkmcnt(0)
	v_cndmask_b32_e64 v2, v2, v3, s[14:15]
	ds_bpermute_b32 v3, v41, v10
	v_xor_b32_e32 v12, 0x80000000, v12
	ds_bpermute_b32 v47, v41, v4
	ds_bpermute_b32 v51, v43, v4
	;; [unrolled: 1-line block ×3, first 2 shown]
	s_waitcnt lgkmcnt(3)
	v_cndmask_b32_e64 v1, v1, v3, s[16:17]
	ds_bpermute_b32 v3, v41, v9
	ds_bpermute_b32 v59, v44, v4
	;; [unrolled: 1-line block ×5, first 2 shown]
	s_waitcnt lgkmcnt(4)
	v_cndmask_b32_e64 v3, v2, v3, s[16:17]
	ds_bpermute_b32 v2, v41, v12
	ds_bpermute_b32 v60, v45, v7
	;; [unrolled: 1-line block ×5, first 2 shown]
	s_waitcnt lgkmcnt(4)
	v_cndmask_b32_e64 v2, v1, v2, s[18:19]
	v_cndmask_b32_e64 v1, v3, v4, s[18:19]
	ds_bpermute_b32 v3, v43, v19
	ds_bpermute_b32 v4, v43, v8
	;; [unrolled: 1-line block ×5, first 2 shown]
	s_waitcnt lgkmcnt(4)
	v_cndmask_b32_e64 v3, 0, v3, s[12:13]
	s_waitcnt lgkmcnt(3)
	v_cndmask_b32_e64 v3, v3, v4, s[14:15]
	ds_bpermute_b32 v4, v43, v10
	ds_bpermute_b32 v31, v45, v16
	;; [unrolled: 1-line block ×5, first 2 shown]
	s_waitcnt lgkmcnt(4)
	v_cndmask_b32_e64 v3, v3, v4, s[16:17]
	ds_bpermute_b32 v4, v43, v12
	ds_bpermute_b32 v61, v45, v11
	s_mov_b32 s48, 8
	s_mov_b32 s49, 32
	;; [unrolled: 1-line block ×3, first 2 shown]
	s_waitcnt lgkmcnt(1)
	v_cndmask_b32_e64 v4, v3, v4, s[18:19]
	ds_bpermute_b32 v3, v43, v18
	s_waitcnt lgkmcnt(0)
	s_barrier
	v_cndmask_b32_e64 v3, 0, v3, s[12:13]
	v_cndmask_b32_e64 v3, v3, v5, s[14:15]
	ds_bpermute_b32 v5, v43, v9
	s_waitcnt lgkmcnt(0)
	v_cndmask_b32_e64 v3, v3, v5, s[16:17]
	ds_bpermute_b32 v5, v43, v11
	s_waitcnt lgkmcnt(0)
	v_cndmask_b32_e64 v3, v3, v5, s[18:19]
	ds_bpermute_b32 v5, v45, v19
	ds_bpermute_b32 v19, v44, v19
	s_waitcnt lgkmcnt(1)
	v_cndmask_b32_e64 v5, 0, v5, s[12:13]
	v_cndmask_b32_e64 v5, v5, v6, s[14:15]
	ds_bpermute_b32 v6, v45, v18
	s_waitcnt lgkmcnt(1)
	v_cndmask_b32_e64 v19, 0, v19, s[12:13]
	v_cndmask_b32_e64 v8, v19, v8, s[14:15]
	;; [unrolled: 1-line block ×4, first 2 shown]
	s_waitcnt lgkmcnt(0)
	v_cndmask_b32_e64 v6, 0, v6, s[12:13]
	v_cndmask_b32_e64 v6, v6, v60, s[14:15]
	ds_bpermute_b32 v60, v45, v10
	ds_bpermute_b32 v10, v44, v10
	v_cndmask_b32_e64 v15, v15, v56, s[16:17]
	v_cndmask_b32_e64 v15, v15, v58, s[18:19]
	s_waitcnt lgkmcnt(1)
	v_cndmask_b32_e64 v5, v5, v60, s[16:17]
	s_waitcnt lgkmcnt(0)
	v_cndmask_b32_e64 v8, v8, v10, s[16:17]
	ds_bpermute_b32 v10, v44, v12
	ds_bpermute_b32 v60, v45, v9
	;; [unrolled: 1-line block ×3, first 2 shown]
	s_waitcnt lgkmcnt(2)
	v_cndmask_b32_e64 v8, v8, v10, s[18:19]
	ds_bpermute_b32 v10, v44, v18
	s_waitcnt lgkmcnt(2)
	v_cndmask_b32_e64 v60, v6, v60, s[16:17]
	ds_bpermute_b32 v6, v45, v12
	s_waitcnt lgkmcnt(1)
	v_cndmask_b32_e64 v10, 0, v10, s[12:13]
	v_cndmask_b32_e64 v7, v10, v7, s[14:15]
	;; [unrolled: 1-line block ×3, first 2 shown]
	ds_bpermute_b32 v9, v44, v11
	v_cndmask_b32_e64 v10, 0, v20, s[12:13]
	v_cndmask_b32_e64 v10, v10, v22, s[14:15]
	;; [unrolled: 1-line block ×4, first 2 shown]
	s_waitcnt lgkmcnt(0)
	v_cndmask_b32_e64 v7, v7, v9, s[18:19]
	v_cndmask_b32_e64 v9, 0, v21, s[12:13]
	;; [unrolled: 1-line block ×27, first 2 shown]
	s_branch .LBB349_4
.LBB349_3:                              ;   in Loop: Header=BB349_4 Depth=2
	s_andn2_b64 vcc, exec, s[34:35]
	s_cbranch_vccz .LBB349_1
.LBB349_4:                              ;   Parent Loop BB349_2 Depth=1
                                        ; =>  This Inner Loop Header: Depth=2
	s_min_i32 s36, s48, 32
	s_cmp_lt_u32 s50, 32
	s_cselect_b64 s[34:35], -1, 0
	s_cmp_gt_u32 s50, 31
	s_cselect_b64 vcc, -1, 0
	s_sub_i32 s36, s36, 32
	s_add_i32 s37, s36, s49
	s_lshl_b32 s37, -1, s37
	s_not_b32 s37, s37
	s_cmp_lg_u32 s36, s50
	s_cselect_b32 s52, s37, -1
	s_max_i32 s51, s49, 0
	s_max_i32 s36, s50, 32
	s_sub_i32 s53, s36, 32
	s_sub_i32 s36, s36, s51
	;; [unrolled: 1-line block ×3, first 2 shown]
	s_min_i32 s36, s36, 32
	s_sub_i32 s36, s36, s53
	v_mov_b32_e32 v34, v2
	v_mov_b32_e32 v32, v4
	s_lshl_b32 s37, -1, s36
	v_mov_b32_e32 v33, v1
	v_mov_b32_e32 v31, v3
	;; [unrolled: 1-line block ×4, first 2 shown]
	s_not_b32 s37, s37
	v_mov_b32_e32 v2, s47
	v_mov_b32_e32 v4, s41
	s_cmp_lg_u32 s36, 32
	ds_write2_b64 v35, v[1:2], v[3:4] offset0:1 offset1:2
	s_cselect_b32 s54, s37, -1
	v_lshrrev_b32_e32 v2, s53, v33
	v_lshrrev_b32_e32 v1, s50, v34
	v_and_b32_e32 v2, s54, v2
	v_and_b32_e32 v1, s52, v1
	v_lshlrev_b32_e32 v2, s51, v2
	v_cndmask_b32_e64 v1, 0, v1, s[34:35]
	v_cndmask_b32_e32 v2, 0, v2, vcc
	v_or_b32_e32 v1, v1, v2
	v_and_b32_e32 v2, 1, v1
	v_mov_b32_e32 v30, v6
	v_add_co_u32_e64 v4, s[36:37], -1, v2
	v_mov_b32_e32 v29, v5
	v_addc_co_u32_e64 v5, s[36:37], 0, -1, s[36:37]
	v_cmp_ne_u32_e64 s[36:37], 0, v2
	v_lshlrev_b32_e32 v18, 30, v1
	v_xor_b32_e32 v2, s37, v5
	v_xor_b32_e32 v4, s36, v4
	v_cmp_gt_i64_e64 s[36:37], 0, v[17:18]
	v_not_b32_e32 v5, v18
	v_ashrrev_i32_e32 v5, 31, v5
	v_and_b32_e32 v4, exec_lo, v4
	v_xor_b32_e32 v6, s37, v5
	v_xor_b32_e32 v5, s36, v5
	v_lshlrev_b32_e32 v18, 29, v1
	v_and_b32_e32 v4, v4, v5
	v_cmp_gt_i64_e64 s[36:37], 0, v[17:18]
	v_not_b32_e32 v5, v18
	v_and_b32_e32 v2, exec_hi, v2
	v_ashrrev_i32_e32 v5, 31, v5
	v_and_b32_e32 v2, v2, v6
	v_xor_b32_e32 v6, s37, v5
	v_xor_b32_e32 v5, s36, v5
	v_lshlrev_b32_e32 v18, 28, v1
	v_and_b32_e32 v4, v4, v5
	v_cmp_gt_i64_e64 s[36:37], 0, v[17:18]
	v_not_b32_e32 v5, v18
	v_ashrrev_i32_e32 v5, 31, v5
	v_and_b32_e32 v2, v2, v6
	v_xor_b32_e32 v6, s37, v5
	v_xor_b32_e32 v5, s36, v5
	v_lshlrev_b32_e32 v18, 27, v1
	v_and_b32_e32 v4, v4, v5
	v_cmp_gt_i64_e64 s[36:37], 0, v[17:18]
	v_not_b32_e32 v5, v18
	;; [unrolled: 8-line block ×4, first 2 shown]
	v_ashrrev_i32_e32 v5, 31, v5
	v_lshlrev_b32_e32 v18, 24, v1
	v_lshlrev_b32_e32 v3, 3, v1
	v_and_b32_e32 v2, v2, v6
	v_xor_b32_e32 v6, s37, v5
	v_xor_b32_e32 v5, s36, v5
	v_cmp_gt_i64_e64 s[36:37], 0, v[17:18]
	v_not_b32_e32 v1, v18
	v_ashrrev_i32_e32 v1, 31, v1
	v_and_b32_e32 v4, v4, v5
	v_xor_b32_e32 v5, s37, v1
	v_xor_b32_e32 v1, s36, v1
	v_and_b32_e32 v2, v2, v6
	v_and_b32_e32 v1, v4, v1
	;; [unrolled: 1-line block ×3, first 2 shown]
	v_mbcnt_lo_u32_b32 v4, v1, 0
	v_mbcnt_hi_u32_b32 v5, v2, v4
	v_cmp_ne_u64_e64 s[36:37], 0, v[1:2]
	v_mov_b32_e32 v26, v10
	v_mov_b32_e32 v24, v12
	;; [unrolled: 1-line block ×5, first 2 shown]
	v_cmp_eq_u32_e64 s[38:39], 0, v5
	v_mov_b32_e32 v25, v9
	v_mov_b32_e32 v23, v11
	;; [unrolled: 1-line block ×5, first 2 shown]
	s_and_b64 s[38:39], s[38:39], s[36:37]
	v_add_u32_e32 v6, v46, v3
	s_waitcnt lgkmcnt(0)
	s_barrier
	; wave barrier
	s_and_saveexec_b64 s[36:37], s[38:39]
; %bb.5:                                ;   in Loop: Header=BB349_4 Depth=2
	v_bcnt_u32_b32 v1, v1, 0
	v_bcnt_u32_b32 v1, v2, v1
	ds_write_b32 v6, v1 offset:8
; %bb.6:                                ;   in Loop: Header=BB349_4 Depth=2
	s_or_b64 exec, exec, s[36:37]
	v_lshrrev_b32_e32 v2, s53, v31
	v_lshrrev_b32_e32 v1, s50, v32
	v_and_b32_e32 v2, s54, v2
	v_and_b32_e32 v1, s52, v1
	v_lshlrev_b32_e32 v2, s51, v2
	v_cndmask_b32_e64 v1, 0, v1, s[34:35]
	v_cndmask_b32_e32 v2, 0, v2, vcc
	v_or_b32_e32 v1, v1, v2
	v_lshlrev_b32_e32 v2, 3, v1
	v_add_u32_e32 v8, v46, v2
	v_and_b32_e32 v2, 1, v1
	v_add_co_u32_e64 v3, s[36:37], -1, v2
	v_addc_co_u32_e64 v4, s[36:37], 0, -1, s[36:37]
	v_cmp_ne_u32_e64 s[36:37], 0, v2
	v_lshlrev_b32_e32 v18, 30, v1
	v_xor_b32_e32 v2, s37, v4
	v_xor_b32_e32 v3, s36, v3
	v_cmp_gt_i64_e64 s[36:37], 0, v[17:18]
	v_not_b32_e32 v4, v18
	v_ashrrev_i32_e32 v4, 31, v4
	v_and_b32_e32 v3, exec_lo, v3
	v_xor_b32_e32 v9, s37, v4
	v_xor_b32_e32 v4, s36, v4
	v_lshlrev_b32_e32 v18, 29, v1
	v_and_b32_e32 v3, v3, v4
	v_cmp_gt_i64_e64 s[36:37], 0, v[17:18]
	v_not_b32_e32 v4, v18
	v_and_b32_e32 v2, exec_hi, v2
	v_ashrrev_i32_e32 v4, 31, v4
	v_and_b32_e32 v2, v2, v9
	v_xor_b32_e32 v9, s37, v4
	v_xor_b32_e32 v4, s36, v4
	v_lshlrev_b32_e32 v18, 28, v1
	v_and_b32_e32 v3, v3, v4
	v_cmp_gt_i64_e64 s[36:37], 0, v[17:18]
	v_not_b32_e32 v4, v18
	v_ashrrev_i32_e32 v4, 31, v4
	v_and_b32_e32 v2, v2, v9
	v_xor_b32_e32 v9, s37, v4
	v_xor_b32_e32 v4, s36, v4
	v_lshlrev_b32_e32 v18, 27, v1
	v_and_b32_e32 v3, v3, v4
	v_cmp_gt_i64_e64 s[36:37], 0, v[17:18]
	v_not_b32_e32 v4, v18
	;; [unrolled: 8-line block ×4, first 2 shown]
	v_ashrrev_i32_e32 v4, 31, v4
	v_lshlrev_b32_e32 v18, 24, v1
	v_and_b32_e32 v2, v2, v9
	v_xor_b32_e32 v9, s37, v4
	v_xor_b32_e32 v4, s36, v4
	v_cmp_gt_i64_e64 s[36:37], 0, v[17:18]
	v_not_b32_e32 v1, v18
	v_ashrrev_i32_e32 v1, 31, v1
	v_and_b32_e32 v3, v3, v4
	v_xor_b32_e32 v4, s37, v1
	v_xor_b32_e32 v1, s36, v1
	; wave barrier
	ds_read_b32 v7, v8 offset:8
	v_and_b32_e32 v2, v2, v9
	v_and_b32_e32 v1, v3, v1
	;; [unrolled: 1-line block ×3, first 2 shown]
	v_mbcnt_lo_u32_b32 v3, v1, 0
	v_mbcnt_hi_u32_b32 v9, v2, v3
	v_cmp_ne_u64_e64 s[36:37], 0, v[1:2]
	v_cmp_eq_u32_e64 s[38:39], 0, v9
	s_and_b64 s[38:39], s[38:39], s[36:37]
	; wave barrier
	s_and_saveexec_b64 s[36:37], s[38:39]
	s_cbranch_execz .LBB349_8
; %bb.7:                                ;   in Loop: Header=BB349_4 Depth=2
	v_bcnt_u32_b32 v1, v1, 0
	v_bcnt_u32_b32 v1, v2, v1
	s_waitcnt lgkmcnt(0)
	v_add_u32_e32 v1, v7, v1
	ds_write_b32 v8, v1 offset:8
.LBB349_8:                              ;   in Loop: Header=BB349_4 Depth=2
	s_or_b64 exec, exec, s[36:37]
	v_lshrrev_b32_e32 v2, s53, v29
	v_lshrrev_b32_e32 v1, s50, v30
	v_and_b32_e32 v2, s54, v2
	v_and_b32_e32 v1, s52, v1
	v_lshlrev_b32_e32 v2, s51, v2
	v_cndmask_b32_e64 v1, 0, v1, s[34:35]
	v_cndmask_b32_e32 v2, 0, v2, vcc
	v_or_b32_e32 v1, v1, v2
	v_lshlrev_b32_e32 v2, 3, v1
	v_add_u32_e32 v11, v46, v2
	v_and_b32_e32 v2, 1, v1
	v_add_co_u32_e64 v3, s[36:37], -1, v2
	v_addc_co_u32_e64 v4, s[36:37], 0, -1, s[36:37]
	v_cmp_ne_u32_e64 s[36:37], 0, v2
	v_lshlrev_b32_e32 v18, 30, v1
	v_xor_b32_e32 v2, s37, v4
	v_xor_b32_e32 v3, s36, v3
	v_cmp_gt_i64_e64 s[36:37], 0, v[17:18]
	v_not_b32_e32 v4, v18
	v_ashrrev_i32_e32 v4, 31, v4
	v_and_b32_e32 v3, exec_lo, v3
	v_xor_b32_e32 v12, s37, v4
	v_xor_b32_e32 v4, s36, v4
	v_lshlrev_b32_e32 v18, 29, v1
	v_and_b32_e32 v3, v3, v4
	v_cmp_gt_i64_e64 s[36:37], 0, v[17:18]
	v_not_b32_e32 v4, v18
	v_and_b32_e32 v2, exec_hi, v2
	v_ashrrev_i32_e32 v4, 31, v4
	v_and_b32_e32 v2, v2, v12
	v_xor_b32_e32 v12, s37, v4
	v_xor_b32_e32 v4, s36, v4
	v_lshlrev_b32_e32 v18, 28, v1
	v_and_b32_e32 v3, v3, v4
	v_cmp_gt_i64_e64 s[36:37], 0, v[17:18]
	v_not_b32_e32 v4, v18
	v_ashrrev_i32_e32 v4, 31, v4
	v_and_b32_e32 v2, v2, v12
	v_xor_b32_e32 v12, s37, v4
	v_xor_b32_e32 v4, s36, v4
	v_lshlrev_b32_e32 v18, 27, v1
	v_and_b32_e32 v3, v3, v4
	v_cmp_gt_i64_e64 s[36:37], 0, v[17:18]
	v_not_b32_e32 v4, v18
	;; [unrolled: 8-line block ×4, first 2 shown]
	v_ashrrev_i32_e32 v4, 31, v4
	v_lshlrev_b32_e32 v18, 24, v1
	v_and_b32_e32 v2, v2, v12
	v_xor_b32_e32 v12, s37, v4
	v_xor_b32_e32 v4, s36, v4
	v_cmp_gt_i64_e64 s[36:37], 0, v[17:18]
	v_not_b32_e32 v1, v18
	v_ashrrev_i32_e32 v1, 31, v1
	v_and_b32_e32 v3, v3, v4
	v_xor_b32_e32 v4, s37, v1
	v_xor_b32_e32 v1, s36, v1
	; wave barrier
	ds_read_b32 v10, v11 offset:8
	v_and_b32_e32 v2, v2, v12
	v_and_b32_e32 v1, v3, v1
	;; [unrolled: 1-line block ×3, first 2 shown]
	v_mbcnt_lo_u32_b32 v3, v1, 0
	v_mbcnt_hi_u32_b32 v12, v2, v3
	v_cmp_ne_u64_e64 s[36:37], 0, v[1:2]
	v_cmp_eq_u32_e64 s[38:39], 0, v12
	s_and_b64 s[38:39], s[38:39], s[36:37]
	; wave barrier
	s_and_saveexec_b64 s[36:37], s[38:39]
	s_cbranch_execz .LBB349_10
; %bb.9:                                ;   in Loop: Header=BB349_4 Depth=2
	v_bcnt_u32_b32 v1, v1, 0
	v_bcnt_u32_b32 v1, v2, v1
	s_waitcnt lgkmcnt(0)
	v_add_u32_e32 v1, v10, v1
	ds_write_b32 v11, v1 offset:8
.LBB349_10:                             ;   in Loop: Header=BB349_4 Depth=2
	s_or_b64 exec, exec, s[36:37]
	v_lshrrev_b32_e32 v2, s53, v27
	v_lshrrev_b32_e32 v1, s50, v28
	v_and_b32_e32 v2, s54, v2
	v_and_b32_e32 v1, s52, v1
	v_lshlrev_b32_e32 v2, s51, v2
	v_cndmask_b32_e64 v1, 0, v1, s[34:35]
	v_cndmask_b32_e32 v2, 0, v2, vcc
	v_or_b32_e32 v1, v1, v2
	v_lshlrev_b32_e32 v2, 3, v1
	v_add_u32_e32 v14, v46, v2
	v_and_b32_e32 v2, 1, v1
	v_add_co_u32_e32 v3, vcc, -1, v2
	v_addc_co_u32_e64 v4, s[34:35], 0, -1, vcc
	v_cmp_ne_u32_e32 vcc, 0, v2
	v_lshlrev_b32_e32 v18, 30, v1
	v_xor_b32_e32 v2, vcc_hi, v4
	v_xor_b32_e32 v3, vcc_lo, v3
	v_cmp_gt_i64_e32 vcc, 0, v[17:18]
	v_not_b32_e32 v4, v18
	v_ashrrev_i32_e32 v4, 31, v4
	v_and_b32_e32 v3, exec_lo, v3
	v_xor_b32_e32 v15, vcc_hi, v4
	v_xor_b32_e32 v4, vcc_lo, v4
	v_lshlrev_b32_e32 v18, 29, v1
	v_and_b32_e32 v3, v3, v4
	v_cmp_gt_i64_e32 vcc, 0, v[17:18]
	v_not_b32_e32 v4, v18
	v_and_b32_e32 v2, exec_hi, v2
	v_ashrrev_i32_e32 v4, 31, v4
	v_and_b32_e32 v2, v2, v15
	v_xor_b32_e32 v15, vcc_hi, v4
	v_xor_b32_e32 v4, vcc_lo, v4
	v_lshlrev_b32_e32 v18, 28, v1
	v_and_b32_e32 v3, v3, v4
	v_cmp_gt_i64_e32 vcc, 0, v[17:18]
	v_not_b32_e32 v4, v18
	v_ashrrev_i32_e32 v4, 31, v4
	v_and_b32_e32 v2, v2, v15
	v_xor_b32_e32 v15, vcc_hi, v4
	v_xor_b32_e32 v4, vcc_lo, v4
	v_lshlrev_b32_e32 v18, 27, v1
	v_and_b32_e32 v3, v3, v4
	v_cmp_gt_i64_e32 vcc, 0, v[17:18]
	v_not_b32_e32 v4, v18
	;; [unrolled: 8-line block ×4, first 2 shown]
	v_ashrrev_i32_e32 v4, 31, v4
	v_lshlrev_b32_e32 v18, 24, v1
	v_and_b32_e32 v2, v2, v15
	v_xor_b32_e32 v15, vcc_hi, v4
	v_xor_b32_e32 v4, vcc_lo, v4
	v_cmp_gt_i64_e32 vcc, 0, v[17:18]
	v_not_b32_e32 v1, v18
	v_ashrrev_i32_e32 v1, 31, v1
	v_and_b32_e32 v3, v3, v4
	v_xor_b32_e32 v4, vcc_hi, v1
	v_xor_b32_e32 v1, vcc_lo, v1
	; wave barrier
	ds_read_b32 v13, v14 offset:8
	v_and_b32_e32 v2, v2, v15
	v_and_b32_e32 v1, v3, v1
	;; [unrolled: 1-line block ×3, first 2 shown]
	v_mbcnt_lo_u32_b32 v3, v1, 0
	v_mbcnt_hi_u32_b32 v15, v2, v3
	v_cmp_ne_u64_e32 vcc, 0, v[1:2]
	v_cmp_eq_u32_e64 s[34:35], 0, v15
	s_and_b64 s[36:37], s[34:35], vcc
	; wave barrier
	s_and_saveexec_b64 s[34:35], s[36:37]
	s_cbranch_execz .LBB349_12
; %bb.11:                               ;   in Loop: Header=BB349_4 Depth=2
	v_bcnt_u32_b32 v1, v1, 0
	v_bcnt_u32_b32 v1, v2, v1
	s_waitcnt lgkmcnt(0)
	v_add_u32_e32 v1, v13, v1
	ds_write_b32 v14, v1 offset:8
.LBB349_12:                             ;   in Loop: Header=BB349_4 Depth=2
	s_or_b64 exec, exec, s[34:35]
	; wave barrier
	s_waitcnt lgkmcnt(0)
	s_barrier
	ds_read2_b64 v[1:4], v35 offset0:1 offset1:2
	s_waitcnt lgkmcnt(0)
	v_add_u32_e32 v16, v2, v1
	v_add3_u32 v4, v16, v3, v4
	s_nop 1
	v_mov_b32_dpp v16, v4 row_shr:1 row_mask:0xf bank_mask:0xf
	v_cndmask_b32_e64 v16, v16, 0, s[20:21]
	v_add_u32_e32 v4, v16, v4
	s_nop 1
	v_mov_b32_dpp v16, v4 row_shr:2 row_mask:0xf bank_mask:0xf
	v_cndmask_b32_e64 v16, 0, v16, s[22:23]
	v_add_u32_e32 v4, v4, v16
	;; [unrolled: 4-line block ×4, first 2 shown]
	s_nop 1
	v_mov_b32_dpp v16, v4 row_bcast:15 row_mask:0xf bank_mask:0xf
	v_cndmask_b32_e64 v16, v16, 0, s[28:29]
	v_add_u32_e32 v4, v4, v16
	s_nop 1
	v_mov_b32_dpp v16, v4 row_bcast:31 row_mask:0xf bank_mask:0xf
	v_cndmask_b32_e64 v16, 0, v16, s[6:7]
	v_add_u32_e32 v4, v4, v16
	s_and_saveexec_b64 s[34:35], s[8:9]
; %bb.13:                               ;   in Loop: Header=BB349_4 Depth=2
	ds_write_b32 v36, v4
; %bb.14:                               ;   in Loop: Header=BB349_4 Depth=2
	s_or_b64 exec, exec, s[34:35]
	s_waitcnt lgkmcnt(0)
	s_barrier
	s_and_saveexec_b64 s[34:35], s[0:1]
	s_cbranch_execz .LBB349_16
; %bb.15:                               ;   in Loop: Header=BB349_4 Depth=2
	ds_read_b32 v16, v37
	s_waitcnt lgkmcnt(0)
	s_nop 0
	v_mov_b32_dpp v18, v16 row_shr:1 row_mask:0xf bank_mask:0xf
	v_cndmask_b32_e64 v18, v18, 0, s[30:31]
	v_add_u32_e32 v16, v18, v16
	ds_write_b32 v37, v16
.LBB349_16:                             ;   in Loop: Header=BB349_4 Depth=2
	s_or_b64 exec, exec, s[34:35]
	v_mov_b32_e32 v16, 0
	s_waitcnt lgkmcnt(0)
	s_barrier
	s_and_saveexec_b64 s[34:35], s[2:3]
; %bb.17:                               ;   in Loop: Header=BB349_4 Depth=2
	ds_read_b32 v16, v38
; %bb.18:                               ;   in Loop: Header=BB349_4 Depth=2
	s_or_b64 exec, exec, s[34:35]
	s_waitcnt lgkmcnt(0)
	v_add_u32_e32 v4, v16, v4
	ds_bpermute_b32 v4, v42, v4
	v_lshlrev_b32_e32 v5, 3, v5
	s_cmp_gt_u32 s50, 55
	s_mov_b64 s[34:35], -1
	s_waitcnt lgkmcnt(0)
	v_cndmask_b32_e64 v4, v4, v16, s[10:11]
	v_cndmask_b32_e64 v47, v4, 0, s[4:5]
	v_add_u32_e32 v48, v47, v1
	v_add_u32_e32 v1, v48, v2
	;; [unrolled: 1-line block ×3, first 2 shown]
	ds_write2_b64 v35, v[47:48], v[1:2] offset0:1 offset1:2
	s_waitcnt lgkmcnt(0)
	s_barrier
	ds_read_b32 v1, v6 offset:8
	ds_read_b32 v2, v8 offset:8
	;; [unrolled: 1-line block ×4, first 2 shown]
	s_waitcnt lgkmcnt(0)
	v_lshl_add_u32 v18, v1, 3, v5
	v_lshlrev_b32_e32 v1, 3, v9
	v_lshlrev_b32_e32 v5, 3, v7
	v_lshlrev_b32_e32 v2, 3, v2
	v_add3_u32 v47, v1, v5, v2
	v_lshlrev_b32_e32 v1, 3, v12
	v_lshlrev_b32_e32 v2, 3, v10
	v_lshlrev_b32_e32 v3, 3, v3
	v_add3_u32 v48, v1, v2, v3
	;; [unrolled: 4-line block ×3, first 2 shown]
                                        ; implicit-def: $vgpr9_vgpr10
                                        ; implicit-def: $vgpr13_vgpr14
                                        ; implicit-def: $vgpr1_vgpr2
                                        ; implicit-def: $vgpr5_vgpr6
	s_cbranch_scc1 .LBB349_3
; %bb.19:                               ;   in Loop: Header=BB349_4 Depth=2
	s_barrier
	ds_write_b64 v18, v[33:34]
	ds_write_b64 v47, v[31:32]
	;; [unrolled: 1-line block ×4, first 2 shown]
	s_waitcnt lgkmcnt(0)
	s_barrier
	ds_read2st64_b64 v[1:4], v39 offset1:1
	ds_read2st64_b64 v[5:8], v39 offset0:2 offset1:3
	s_waitcnt lgkmcnt(0)
	s_barrier
	ds_write_b64 v18, v[25:26]
	ds_write_b64 v47, v[23:24]
	;; [unrolled: 1-line block ×4, first 2 shown]
	s_waitcnt lgkmcnt(0)
	s_barrier
	ds_read2st64_b64 v[9:12], v39 offset1:1
	ds_read2st64_b64 v[13:16], v39 offset0:2 offset1:3
	s_add_i32 s49, s49, -8
	s_add_i32 s48, s48, 8
	s_add_i32 s50, s50, 8
	s_mov_b64 s[34:35], 0
	s_waitcnt lgkmcnt(0)
	s_barrier
	s_branch .LBB349_3
.LBB349_20:
	s_add_u32 s0, s42, s44
	s_waitcnt lgkmcnt(1)
	v_add_u32_e32 v5, v5, v13
	v_add_u32_e32 v6, v6, v14
	s_addc_u32 s1, s43, s45
	v_lshlrev_b32_e32 v0, 3, v0
	v_add_u32_e32 v7, v7, v15
	v_add_u32_e32 v8, v8, v16
	s_waitcnt lgkmcnt(0)
	v_add_u32_e32 v1, v9, v1
	v_add_u32_e32 v2, v10, v2
	;; [unrolled: 1-line block ×4, first 2 shown]
	global_store_dwordx2 v0, v[5:6], s[0:1]
	global_store_dwordx2 v0, v[7:8], s[0:1] offset:1024
	global_store_dwordx2 v0, v[1:2], s[0:1] offset:2048
	;; [unrolled: 1-line block ×3, first 2 shown]
	s_endpgm
	.section	.rodata,"a",@progbits
	.p2align	6, 0x0
	.amdhsa_kernel _Z17sort_pairs_kernelI22helper_blocked_stripedN15benchmark_utils11custom_typeIiiEELj128ELj4ELj10EEvPKT0_PS4_
		.amdhsa_group_segment_fixed_size 4096
		.amdhsa_private_segment_fixed_size 0
		.amdhsa_kernarg_size 272
		.amdhsa_user_sgpr_count 6
		.amdhsa_user_sgpr_private_segment_buffer 1
		.amdhsa_user_sgpr_dispatch_ptr 0
		.amdhsa_user_sgpr_queue_ptr 0
		.amdhsa_user_sgpr_kernarg_segment_ptr 1
		.amdhsa_user_sgpr_dispatch_id 0
		.amdhsa_user_sgpr_flat_scratch_init 0
		.amdhsa_user_sgpr_private_segment_size 0
		.amdhsa_uses_dynamic_stack 0
		.amdhsa_system_sgpr_private_segment_wavefront_offset 0
		.amdhsa_system_sgpr_workgroup_id_x 1
		.amdhsa_system_sgpr_workgroup_id_y 0
		.amdhsa_system_sgpr_workgroup_id_z 0
		.amdhsa_system_sgpr_workgroup_info 0
		.amdhsa_system_vgpr_workitem_id 2
		.amdhsa_next_free_vgpr 62
		.amdhsa_next_free_sgpr 61
		.amdhsa_reserve_vcc 1
		.amdhsa_reserve_flat_scratch 0
		.amdhsa_float_round_mode_32 0
		.amdhsa_float_round_mode_16_64 0
		.amdhsa_float_denorm_mode_32 3
		.amdhsa_float_denorm_mode_16_64 3
		.amdhsa_dx10_clamp 1
		.amdhsa_ieee_mode 1
		.amdhsa_fp16_overflow 0
		.amdhsa_exception_fp_ieee_invalid_op 0
		.amdhsa_exception_fp_denorm_src 0
		.amdhsa_exception_fp_ieee_div_zero 0
		.amdhsa_exception_fp_ieee_overflow 0
		.amdhsa_exception_fp_ieee_underflow 0
		.amdhsa_exception_fp_ieee_inexact 0
		.amdhsa_exception_int_div_zero 0
	.end_amdhsa_kernel
	.section	.text._Z17sort_pairs_kernelI22helper_blocked_stripedN15benchmark_utils11custom_typeIiiEELj128ELj4ELj10EEvPKT0_PS4_,"axG",@progbits,_Z17sort_pairs_kernelI22helper_blocked_stripedN15benchmark_utils11custom_typeIiiEELj128ELj4ELj10EEvPKT0_PS4_,comdat
.Lfunc_end349:
	.size	_Z17sort_pairs_kernelI22helper_blocked_stripedN15benchmark_utils11custom_typeIiiEELj128ELj4ELj10EEvPKT0_PS4_, .Lfunc_end349-_Z17sort_pairs_kernelI22helper_blocked_stripedN15benchmark_utils11custom_typeIiiEELj128ELj4ELj10EEvPKT0_PS4_
                                        ; -- End function
	.set _Z17sort_pairs_kernelI22helper_blocked_stripedN15benchmark_utils11custom_typeIiiEELj128ELj4ELj10EEvPKT0_PS4_.num_vgpr, 62
	.set _Z17sort_pairs_kernelI22helper_blocked_stripedN15benchmark_utils11custom_typeIiiEELj128ELj4ELj10EEvPKT0_PS4_.num_agpr, 0
	.set _Z17sort_pairs_kernelI22helper_blocked_stripedN15benchmark_utils11custom_typeIiiEELj128ELj4ELj10EEvPKT0_PS4_.numbered_sgpr, 55
	.set _Z17sort_pairs_kernelI22helper_blocked_stripedN15benchmark_utils11custom_typeIiiEELj128ELj4ELj10EEvPKT0_PS4_.num_named_barrier, 0
	.set _Z17sort_pairs_kernelI22helper_blocked_stripedN15benchmark_utils11custom_typeIiiEELj128ELj4ELj10EEvPKT0_PS4_.private_seg_size, 0
	.set _Z17sort_pairs_kernelI22helper_blocked_stripedN15benchmark_utils11custom_typeIiiEELj128ELj4ELj10EEvPKT0_PS4_.uses_vcc, 1
	.set _Z17sort_pairs_kernelI22helper_blocked_stripedN15benchmark_utils11custom_typeIiiEELj128ELj4ELj10EEvPKT0_PS4_.uses_flat_scratch, 0
	.set _Z17sort_pairs_kernelI22helper_blocked_stripedN15benchmark_utils11custom_typeIiiEELj128ELj4ELj10EEvPKT0_PS4_.has_dyn_sized_stack, 0
	.set _Z17sort_pairs_kernelI22helper_blocked_stripedN15benchmark_utils11custom_typeIiiEELj128ELj4ELj10EEvPKT0_PS4_.has_recursion, 0
	.set _Z17sort_pairs_kernelI22helper_blocked_stripedN15benchmark_utils11custom_typeIiiEELj128ELj4ELj10EEvPKT0_PS4_.has_indirect_call, 0
	.section	.AMDGPU.csdata,"",@progbits
; Kernel info:
; codeLenInByte = 4392
; TotalNumSgprs: 59
; NumVgprs: 62
; ScratchSize: 0
; MemoryBound: 0
; FloatMode: 240
; IeeeMode: 1
; LDSByteSize: 4096 bytes/workgroup (compile time only)
; SGPRBlocks: 8
; VGPRBlocks: 15
; NumSGPRsForWavesPerEU: 65
; NumVGPRsForWavesPerEU: 62
; Occupancy: 4
; WaveLimiterHint : 1
; COMPUTE_PGM_RSRC2:SCRATCH_EN: 0
; COMPUTE_PGM_RSRC2:USER_SGPR: 6
; COMPUTE_PGM_RSRC2:TRAP_HANDLER: 0
; COMPUTE_PGM_RSRC2:TGID_X_EN: 1
; COMPUTE_PGM_RSRC2:TGID_Y_EN: 0
; COMPUTE_PGM_RSRC2:TGID_Z_EN: 0
; COMPUTE_PGM_RSRC2:TIDIG_COMP_CNT: 2
	.section	.text._Z16sort_keys_kernelI22helper_blocked_stripedN15benchmark_utils11custom_typeIiiEELj128ELj8ELj10EEvPKT0_PS4_,"axG",@progbits,_Z16sort_keys_kernelI22helper_blocked_stripedN15benchmark_utils11custom_typeIiiEELj128ELj8ELj10EEvPKT0_PS4_,comdat
	.protected	_Z16sort_keys_kernelI22helper_blocked_stripedN15benchmark_utils11custom_typeIiiEELj128ELj8ELj10EEvPKT0_PS4_ ; -- Begin function _Z16sort_keys_kernelI22helper_blocked_stripedN15benchmark_utils11custom_typeIiiEELj128ELj8ELj10EEvPKT0_PS4_
	.globl	_Z16sort_keys_kernelI22helper_blocked_stripedN15benchmark_utils11custom_typeIiiEELj128ELj8ELj10EEvPKT0_PS4_
	.p2align	8
	.type	_Z16sort_keys_kernelI22helper_blocked_stripedN15benchmark_utils11custom_typeIiiEELj128ELj8ELj10EEvPKT0_PS4_,@function
_Z16sort_keys_kernelI22helper_blocked_stripedN15benchmark_utils11custom_typeIiiEELj128ELj8ELj10EEvPKT0_PS4_: ; @_Z16sort_keys_kernelI22helper_blocked_stripedN15benchmark_utils11custom_typeIiiEELj128ELj8ELj10EEvPKT0_PS4_
; %bb.0:
	s_load_dwordx4 s[28:31], s[4:5], 0x0
	s_load_dword s2, s[4:5], 0x1c
	s_lshl_b32 s34, s6, 10
	s_mov_b32 s35, 0
	s_lshl_b64 s[36:37], s[34:35], 3
	s_waitcnt lgkmcnt(0)
	s_add_u32 s0, s28, s36
	s_addc_u32 s1, s29, s37
	v_lshlrev_b32_e32 v19, 6, v0
	global_load_dwordx4 v[11:14], v19, s[0:1] offset:48
	global_load_dwordx4 v[3:6], v19, s[0:1] offset:32
	;; [unrolled: 1-line block ×3, first 2 shown]
	global_load_dwordx4 v[15:18], v19, s[0:1]
	global_load_dwordx2 v[15:16], v19, s[0:1]
	v_mbcnt_lo_u32_b32 v20, -1, 0
                                        ; kill: killed $sgpr0 killed $sgpr1
	v_mbcnt_hi_u32_b32 v20, -1, v20
	s_lshr_b32 s0, s2, 16
	s_and_b32 s1, s2, 0xffff
	v_mad_u32_u24 v1, v2, s0, v1
	v_and_b32_e32 v2, 15, v20
	v_and_b32_e32 v21, 64, v0
	v_mad_u32_u24 v1, v1, s1, v0
	v_cmp_eq_u32_e64 s[0:1], 0, v2
	v_cmp_lt_u32_e64 s[2:3], 1, v2
	v_cmp_lt_u32_e64 s[4:5], 3, v2
	;; [unrolled: 1-line block ×3, first 2 shown]
	v_and_b32_e32 v2, 16, v20
	v_and_b32_e32 v19, 0x1000, v19
	v_cmp_eq_u32_e64 s[8:9], 0, v2
	v_or_b32_e32 v2, 63, v21
	v_lshl_or_b32 v40, v20, 3, v19
	v_cmp_eq_u32_e64 s[12:13], v0, v2
	v_subrev_co_u32_e64 v2, s[18:19], 1, v20
	v_and_b32_e32 v19, 64, v20
	v_cmp_lt_i32_e32 vcc, v2, v19
	v_cndmask_b32_e32 v2, v2, v20, vcc
	v_lshlrev_b32_e32 v41, 4, v0
	v_lshlrev_b32_e32 v42, 2, v2
	v_lshrrev_b32_e32 v2, 4, v0
	v_lshrrev_b32_e32 v1, 4, v1
	s_mov_b32 s34, s35
	s_mov_b32 s24, s35
	v_add_lshl_u32 v39, v20, v21, 6
	v_and_b32_e32 v43, 4, v2
	v_mad_i32_i24 v44, v0, -12, v41
	v_and_b32_e32 v2, 1, v20
	v_and_b32_e32 v46, 0xffffffc, v1
	v_lshlrev_b32_e32 v1, 2, v0
	s_mov_b32 s25, s35
	v_mov_b32_e32 v21, s34
	v_mov_b32_e32 v23, s24
	v_cmp_lt_u32_e64 s[10:11], 31, v20
	v_cmp_gt_u32_e64 s[14:15], 2, v0
	v_cmp_lt_u32_e64 s[16:17], 63, v0
	v_cmp_eq_u32_e64 s[20:21], 0, v0
	v_cmp_eq_u32_e64 s[22:23], 0, v2
	v_add_u32_e32 v45, -4, v43
	v_mov_b32_e32 v19, 0
	v_add_u32_e32 v47, v44, v1
	v_mov_b32_e32 v22, s35
	v_mov_b32_e32 v24, s25
	s_branch .LBB350_2
.LBB350_1:                              ;   in Loop: Header=BB350_2 Depth=1
	s_barrier
	ds_write_b64 v48, v[37:38]
	ds_write_b64 v51, v[35:36]
	;; [unrolled: 1-line block ×8, first 2 shown]
	s_waitcnt lgkmcnt(0)
	s_barrier
	ds_read2st64_b64 v[1:4], v47 offset1:2
	ds_read2st64_b64 v[7:10], v47 offset0:4 offset1:6
	ds_read2st64_b64 v[11:14], v47 offset0:8 offset1:10
	;; [unrolled: 1-line block ×3, first 2 shown]
	s_add_i32 s35, s35, 1
	s_waitcnt lgkmcnt(3)
	v_xor_b32_e32 v15, 0x80000000, v1
	v_xor_b32_e32 v16, 0x80000000, v2
	v_xor_b32_e32 v17, 0x80000000, v3
	v_xor_b32_e32 v18, 0x80000000, v4
	s_waitcnt lgkmcnt(2)
	v_xor_b32_e32 v7, 0x80000000, v7
	v_xor_b32_e32 v8, 0x80000000, v8
	v_xor_b32_e32 v9, 0x80000000, v9
	v_xor_b32_e32 v10, 0x80000000, v10
	;; [unrolled: 5-line block ×3, first 2 shown]
	s_waitcnt lgkmcnt(0)
	v_xor_b32_e32 v11, 0x80000000, v25
	v_xor_b32_e32 v12, 0x80000000, v26
	;; [unrolled: 1-line block ×3, first 2 shown]
	s_cmp_eq_u32 s35, 10
	v_xor_b32_e32 v14, 0x80000000, v28
	s_cbranch_scc1 .LBB350_28
.LBB350_2:                              ; =>This Loop Header: Depth=1
                                        ;     Child Loop BB350_4 Depth 2
	s_waitcnt vmcnt(0)
	v_xor_b32_e32 v2, 0x80000000, v16
	v_xor_b32_e32 v1, 0x80000000, v15
	;; [unrolled: 1-line block ×16, first 2 shown]
	ds_write2_b64 v39, v[1:2], v[15:16] offset1:1
	ds_write2_b64 v39, v[7:8], v[9:10] offset0:2 offset1:3
	ds_write2_b64 v39, v[3:4], v[5:6] offset0:4 offset1:5
	ds_write2_b64 v39, v[11:12], v[13:14] offset0:6 offset1:7
	; wave barrier
	ds_read2st64_b64 v[1:4], v40 offset1:1
	ds_read2st64_b64 v[5:8], v40 offset0:2 offset1:3
	ds_read2st64_b64 v[9:12], v40 offset0:4 offset1:5
	;; [unrolled: 1-line block ×3, first 2 shown]
	s_mov_b32 s33, 8
	s_mov_b32 s34, 32
	;; [unrolled: 1-line block ×3, first 2 shown]
	s_waitcnt lgkmcnt(0)
	s_barrier
	; wave barrier
	s_barrier
	s_branch .LBB350_4
.LBB350_3:                              ;   in Loop: Header=BB350_4 Depth=2
	s_andn2_b64 vcc, exec, s[24:25]
	s_cbranch_vccz .LBB350_1
.LBB350_4:                              ;   Parent Loop BB350_2 Depth=1
                                        ; =>  This Inner Loop Header: Depth=2
	s_min_i32 s26, s33, 32
	s_cmp_lt_u32 s38, 32
	s_cselect_b64 s[24:25], -1, 0
	s_cmp_gt_u32 s38, 31
	s_cselect_b64 vcc, -1, 0
	s_sub_i32 s26, s26, 32
	s_add_i32 s27, s26, s34
	s_lshl_b32 s27, -1, s27
	s_not_b32 s27, s27
	s_cmp_lg_u32 s26, s38
	s_cselect_b32 s40, s27, -1
	s_max_i32 s39, s34, 0
	s_max_i32 s26, s38, 32
	s_sub_i32 s41, s26, 32
	s_sub_i32 s26, s26, s39
	;; [unrolled: 1-line block ×3, first 2 shown]
	s_min_i32 s26, s26, 32
	s_sub_i32 s26, s26, s41
	s_lshl_b32 s27, -1, s26
	v_mov_b32_e32 v38, v2
	s_not_b32 s27, s27
	v_mov_b32_e32 v37, v1
	s_cmp_lg_u32 s26, 32
	s_cselect_b32 s42, s27, -1
	v_lshrrev_b32_e32 v2, s41, v37
	v_lshrrev_b32_e32 v1, s38, v38
	v_and_b32_e32 v2, s42, v2
	v_and_b32_e32 v1, s40, v1
	v_lshlrev_b32_e32 v2, s39, v2
	v_cndmask_b32_e64 v1, 0, v1, s[24:25]
	v_cndmask_b32_e32 v2, 0, v2, vcc
	v_or_b32_e32 v1, v1, v2
	v_mov_b32_e32 v36, v4
	v_and_b32_e32 v2, 1, v1
	v_mov_b32_e32 v35, v3
	v_mov_b32_e32 v34, v6
	v_add_co_u32_e64 v4, s[26:27], -1, v2
	v_mov_b32_e32 v33, v5
	v_addc_co_u32_e64 v5, s[26:27], 0, -1, s[26:27]
	v_cmp_ne_u32_e64 s[26:27], 0, v2
	v_lshlrev_b32_e32 v20, 30, v1
	v_xor_b32_e32 v2, s27, v5
	v_xor_b32_e32 v4, s26, v4
	v_cmp_gt_i64_e64 s[26:27], 0, v[19:20]
	v_not_b32_e32 v5, v20
	v_ashrrev_i32_e32 v5, 31, v5
	v_and_b32_e32 v4, exec_lo, v4
	v_xor_b32_e32 v6, s27, v5
	v_xor_b32_e32 v5, s26, v5
	v_lshlrev_b32_e32 v20, 29, v1
	v_and_b32_e32 v4, v4, v5
	v_cmp_gt_i64_e64 s[26:27], 0, v[19:20]
	v_not_b32_e32 v5, v20
	v_and_b32_e32 v2, exec_hi, v2
	v_ashrrev_i32_e32 v5, 31, v5
	v_and_b32_e32 v2, v2, v6
	v_xor_b32_e32 v6, s27, v5
	v_xor_b32_e32 v5, s26, v5
	v_lshlrev_b32_e32 v20, 28, v1
	v_and_b32_e32 v4, v4, v5
	v_cmp_gt_i64_e64 s[26:27], 0, v[19:20]
	v_not_b32_e32 v5, v20
	v_ashrrev_i32_e32 v5, 31, v5
	v_and_b32_e32 v2, v2, v6
	v_xor_b32_e32 v6, s27, v5
	v_xor_b32_e32 v5, s26, v5
	v_lshlrev_b32_e32 v20, 27, v1
	v_and_b32_e32 v4, v4, v5
	v_cmp_gt_i64_e64 s[26:27], 0, v[19:20]
	v_not_b32_e32 v5, v20
	v_ashrrev_i32_e32 v5, 31, v5
	v_and_b32_e32 v2, v2, v6
	v_xor_b32_e32 v6, s27, v5
	v_xor_b32_e32 v5, s26, v5
	v_lshlrev_b32_e32 v20, 26, v1
	v_and_b32_e32 v4, v4, v5
	v_cmp_gt_i64_e64 s[26:27], 0, v[19:20]
	v_not_b32_e32 v5, v20
	v_ashrrev_i32_e32 v5, 31, v5
	v_and_b32_e32 v2, v2, v6
	v_xor_b32_e32 v6, s27, v5
	v_xor_b32_e32 v5, s26, v5
	v_lshlrev_b32_e32 v20, 25, v1
	v_and_b32_e32 v4, v4, v5
	v_cmp_gt_i64_e64 s[26:27], 0, v[19:20]
	v_not_b32_e32 v5, v20
	v_ashrrev_i32_e32 v5, 31, v5
	v_lshlrev_b32_e32 v20, 24, v1
	v_lshlrev_b32_e32 v3, 3, v1
	v_and_b32_e32 v2, v2, v6
	v_xor_b32_e32 v6, s27, v5
	v_xor_b32_e32 v5, s26, v5
	v_cmp_gt_i64_e64 s[26:27], 0, v[19:20]
	v_not_b32_e32 v1, v20
	v_ashrrev_i32_e32 v1, 31, v1
	v_and_b32_e32 v4, v4, v5
	v_xor_b32_e32 v5, s27, v1
	v_xor_b32_e32 v1, s26, v1
	v_and_b32_e32 v2, v2, v6
	v_and_b32_e32 v1, v4, v1
	;; [unrolled: 1-line block ×3, first 2 shown]
	v_mbcnt_lo_u32_b32 v4, v1, 0
	v_mbcnt_hi_u32_b32 v5, v2, v4
	v_cmp_ne_u64_e64 s[26:27], 0, v[1:2]
	v_mov_b32_e32 v32, v8
	v_mov_b32_e32 v30, v10
	;; [unrolled: 1-line block ×5, first 2 shown]
	v_cmp_eq_u32_e64 s[28:29], 0, v5
	v_mov_b32_e32 v31, v7
	v_mov_b32_e32 v29, v9
	;; [unrolled: 1-line block ×5, first 2 shown]
	s_and_b64 s[28:29], s[28:29], s[26:27]
	v_add_u32_e32 v6, v46, v3
	ds_write2_b64 v41, v[21:22], v[23:24] offset0:1 offset1:2
	s_waitcnt lgkmcnt(0)
	s_barrier
	; wave barrier
	s_and_saveexec_b64 s[26:27], s[28:29]
; %bb.5:                                ;   in Loop: Header=BB350_4 Depth=2
	v_bcnt_u32_b32 v1, v1, 0
	v_bcnt_u32_b32 v1, v2, v1
	ds_write_b32 v6, v1 offset:8
; %bb.6:                                ;   in Loop: Header=BB350_4 Depth=2
	s_or_b64 exec, exec, s[26:27]
	v_lshrrev_b32_e32 v2, s41, v35
	v_lshrrev_b32_e32 v1, s38, v36
	v_and_b32_e32 v2, s42, v2
	v_and_b32_e32 v1, s40, v1
	v_lshlrev_b32_e32 v2, s39, v2
	v_cndmask_b32_e64 v1, 0, v1, s[24:25]
	v_cndmask_b32_e32 v2, 0, v2, vcc
	v_or_b32_e32 v1, v1, v2
	v_lshlrev_b32_e32 v2, 3, v1
	v_add_u32_e32 v8, v46, v2
	v_and_b32_e32 v2, 1, v1
	v_add_co_u32_e64 v3, s[26:27], -1, v2
	v_addc_co_u32_e64 v4, s[26:27], 0, -1, s[26:27]
	v_cmp_ne_u32_e64 s[26:27], 0, v2
	v_lshlrev_b32_e32 v20, 30, v1
	v_xor_b32_e32 v2, s27, v4
	v_xor_b32_e32 v3, s26, v3
	v_cmp_gt_i64_e64 s[26:27], 0, v[19:20]
	v_not_b32_e32 v4, v20
	v_ashrrev_i32_e32 v4, 31, v4
	v_and_b32_e32 v3, exec_lo, v3
	v_xor_b32_e32 v9, s27, v4
	v_xor_b32_e32 v4, s26, v4
	v_lshlrev_b32_e32 v20, 29, v1
	v_and_b32_e32 v3, v3, v4
	v_cmp_gt_i64_e64 s[26:27], 0, v[19:20]
	v_not_b32_e32 v4, v20
	v_and_b32_e32 v2, exec_hi, v2
	v_ashrrev_i32_e32 v4, 31, v4
	v_and_b32_e32 v2, v2, v9
	v_xor_b32_e32 v9, s27, v4
	v_xor_b32_e32 v4, s26, v4
	v_lshlrev_b32_e32 v20, 28, v1
	v_and_b32_e32 v3, v3, v4
	v_cmp_gt_i64_e64 s[26:27], 0, v[19:20]
	v_not_b32_e32 v4, v20
	v_ashrrev_i32_e32 v4, 31, v4
	v_and_b32_e32 v2, v2, v9
	v_xor_b32_e32 v9, s27, v4
	v_xor_b32_e32 v4, s26, v4
	v_lshlrev_b32_e32 v20, 27, v1
	v_and_b32_e32 v3, v3, v4
	v_cmp_gt_i64_e64 s[26:27], 0, v[19:20]
	v_not_b32_e32 v4, v20
	;; [unrolled: 8-line block ×4, first 2 shown]
	v_ashrrev_i32_e32 v4, 31, v4
	v_lshlrev_b32_e32 v20, 24, v1
	v_and_b32_e32 v2, v2, v9
	v_xor_b32_e32 v9, s27, v4
	v_xor_b32_e32 v4, s26, v4
	v_cmp_gt_i64_e64 s[26:27], 0, v[19:20]
	v_not_b32_e32 v1, v20
	v_ashrrev_i32_e32 v1, 31, v1
	v_and_b32_e32 v3, v3, v4
	v_xor_b32_e32 v4, s27, v1
	v_xor_b32_e32 v1, s26, v1
	; wave barrier
	ds_read_b32 v7, v8 offset:8
	v_and_b32_e32 v2, v2, v9
	v_and_b32_e32 v1, v3, v1
	;; [unrolled: 1-line block ×3, first 2 shown]
	v_mbcnt_lo_u32_b32 v3, v1, 0
	v_mbcnt_hi_u32_b32 v9, v2, v3
	v_cmp_ne_u64_e64 s[26:27], 0, v[1:2]
	v_cmp_eq_u32_e64 s[28:29], 0, v9
	s_and_b64 s[28:29], s[28:29], s[26:27]
	; wave barrier
	s_and_saveexec_b64 s[26:27], s[28:29]
	s_cbranch_execz .LBB350_8
; %bb.7:                                ;   in Loop: Header=BB350_4 Depth=2
	v_bcnt_u32_b32 v1, v1, 0
	v_bcnt_u32_b32 v1, v2, v1
	s_waitcnt lgkmcnt(0)
	v_add_u32_e32 v1, v7, v1
	ds_write_b32 v8, v1 offset:8
.LBB350_8:                              ;   in Loop: Header=BB350_4 Depth=2
	s_or_b64 exec, exec, s[26:27]
	v_lshrrev_b32_e32 v2, s41, v33
	v_lshrrev_b32_e32 v1, s38, v34
	v_and_b32_e32 v2, s42, v2
	v_and_b32_e32 v1, s40, v1
	v_lshlrev_b32_e32 v2, s39, v2
	v_cndmask_b32_e64 v1, 0, v1, s[24:25]
	v_cndmask_b32_e32 v2, 0, v2, vcc
	v_or_b32_e32 v1, v1, v2
	v_lshlrev_b32_e32 v2, 3, v1
	v_add_u32_e32 v11, v46, v2
	v_and_b32_e32 v2, 1, v1
	v_add_co_u32_e64 v3, s[26:27], -1, v2
	v_addc_co_u32_e64 v4, s[26:27], 0, -1, s[26:27]
	v_cmp_ne_u32_e64 s[26:27], 0, v2
	v_lshlrev_b32_e32 v20, 30, v1
	v_xor_b32_e32 v2, s27, v4
	v_xor_b32_e32 v3, s26, v3
	v_cmp_gt_i64_e64 s[26:27], 0, v[19:20]
	v_not_b32_e32 v4, v20
	v_ashrrev_i32_e32 v4, 31, v4
	v_and_b32_e32 v3, exec_lo, v3
	v_xor_b32_e32 v12, s27, v4
	v_xor_b32_e32 v4, s26, v4
	v_lshlrev_b32_e32 v20, 29, v1
	v_and_b32_e32 v3, v3, v4
	v_cmp_gt_i64_e64 s[26:27], 0, v[19:20]
	v_not_b32_e32 v4, v20
	v_and_b32_e32 v2, exec_hi, v2
	v_ashrrev_i32_e32 v4, 31, v4
	v_and_b32_e32 v2, v2, v12
	v_xor_b32_e32 v12, s27, v4
	v_xor_b32_e32 v4, s26, v4
	v_lshlrev_b32_e32 v20, 28, v1
	v_and_b32_e32 v3, v3, v4
	v_cmp_gt_i64_e64 s[26:27], 0, v[19:20]
	v_not_b32_e32 v4, v20
	v_ashrrev_i32_e32 v4, 31, v4
	v_and_b32_e32 v2, v2, v12
	v_xor_b32_e32 v12, s27, v4
	v_xor_b32_e32 v4, s26, v4
	v_lshlrev_b32_e32 v20, 27, v1
	v_and_b32_e32 v3, v3, v4
	v_cmp_gt_i64_e64 s[26:27], 0, v[19:20]
	v_not_b32_e32 v4, v20
	v_ashrrev_i32_e32 v4, 31, v4
	v_and_b32_e32 v2, v2, v12
	v_xor_b32_e32 v12, s27, v4
	v_xor_b32_e32 v4, s26, v4
	v_lshlrev_b32_e32 v20, 26, v1
	v_and_b32_e32 v3, v3, v4
	v_cmp_gt_i64_e64 s[26:27], 0, v[19:20]
	v_not_b32_e32 v4, v20
	v_ashrrev_i32_e32 v4, 31, v4
	v_and_b32_e32 v2, v2, v12
	v_xor_b32_e32 v12, s27, v4
	v_xor_b32_e32 v4, s26, v4
	v_lshlrev_b32_e32 v20, 25, v1
	v_and_b32_e32 v3, v3, v4
	v_cmp_gt_i64_e64 s[26:27], 0, v[19:20]
	v_not_b32_e32 v4, v20
	v_ashrrev_i32_e32 v4, 31, v4
	v_lshlrev_b32_e32 v20, 24, v1
	v_and_b32_e32 v2, v2, v12
	v_xor_b32_e32 v12, s27, v4
	v_xor_b32_e32 v4, s26, v4
	v_cmp_gt_i64_e64 s[26:27], 0, v[19:20]
	v_not_b32_e32 v1, v20
	v_ashrrev_i32_e32 v1, 31, v1
	v_and_b32_e32 v3, v3, v4
	v_xor_b32_e32 v4, s27, v1
	v_xor_b32_e32 v1, s26, v1
	; wave barrier
	ds_read_b32 v10, v11 offset:8
	v_and_b32_e32 v2, v2, v12
	v_and_b32_e32 v1, v3, v1
	;; [unrolled: 1-line block ×3, first 2 shown]
	v_mbcnt_lo_u32_b32 v3, v1, 0
	v_mbcnt_hi_u32_b32 v12, v2, v3
	v_cmp_ne_u64_e64 s[26:27], 0, v[1:2]
	v_cmp_eq_u32_e64 s[28:29], 0, v12
	s_and_b64 s[28:29], s[28:29], s[26:27]
	; wave barrier
	s_and_saveexec_b64 s[26:27], s[28:29]
	s_cbranch_execz .LBB350_10
; %bb.9:                                ;   in Loop: Header=BB350_4 Depth=2
	v_bcnt_u32_b32 v1, v1, 0
	v_bcnt_u32_b32 v1, v2, v1
	s_waitcnt lgkmcnt(0)
	v_add_u32_e32 v1, v10, v1
	ds_write_b32 v11, v1 offset:8
.LBB350_10:                             ;   in Loop: Header=BB350_4 Depth=2
	s_or_b64 exec, exec, s[26:27]
	v_lshrrev_b32_e32 v2, s41, v31
	v_lshrrev_b32_e32 v1, s38, v32
	v_and_b32_e32 v2, s42, v2
	v_and_b32_e32 v1, s40, v1
	v_lshlrev_b32_e32 v2, s39, v2
	v_cndmask_b32_e64 v1, 0, v1, s[24:25]
	v_cndmask_b32_e32 v2, 0, v2, vcc
	v_or_b32_e32 v1, v1, v2
	v_lshlrev_b32_e32 v2, 3, v1
	v_add_u32_e32 v14, v46, v2
	v_and_b32_e32 v2, 1, v1
	v_add_co_u32_e64 v3, s[26:27], -1, v2
	v_addc_co_u32_e64 v4, s[26:27], 0, -1, s[26:27]
	v_cmp_ne_u32_e64 s[26:27], 0, v2
	v_lshlrev_b32_e32 v20, 30, v1
	v_xor_b32_e32 v2, s27, v4
	v_xor_b32_e32 v3, s26, v3
	v_cmp_gt_i64_e64 s[26:27], 0, v[19:20]
	v_not_b32_e32 v4, v20
	v_ashrrev_i32_e32 v4, 31, v4
	v_and_b32_e32 v3, exec_lo, v3
	v_xor_b32_e32 v15, s27, v4
	v_xor_b32_e32 v4, s26, v4
	v_lshlrev_b32_e32 v20, 29, v1
	v_and_b32_e32 v3, v3, v4
	v_cmp_gt_i64_e64 s[26:27], 0, v[19:20]
	v_not_b32_e32 v4, v20
	v_and_b32_e32 v2, exec_hi, v2
	v_ashrrev_i32_e32 v4, 31, v4
	v_and_b32_e32 v2, v2, v15
	v_xor_b32_e32 v15, s27, v4
	v_xor_b32_e32 v4, s26, v4
	v_lshlrev_b32_e32 v20, 28, v1
	v_and_b32_e32 v3, v3, v4
	v_cmp_gt_i64_e64 s[26:27], 0, v[19:20]
	v_not_b32_e32 v4, v20
	v_ashrrev_i32_e32 v4, 31, v4
	v_and_b32_e32 v2, v2, v15
	v_xor_b32_e32 v15, s27, v4
	v_xor_b32_e32 v4, s26, v4
	v_lshlrev_b32_e32 v20, 27, v1
	v_and_b32_e32 v3, v3, v4
	v_cmp_gt_i64_e64 s[26:27], 0, v[19:20]
	v_not_b32_e32 v4, v20
	;; [unrolled: 8-line block ×4, first 2 shown]
	v_ashrrev_i32_e32 v4, 31, v4
	v_lshlrev_b32_e32 v20, 24, v1
	v_and_b32_e32 v2, v2, v15
	v_xor_b32_e32 v15, s27, v4
	v_xor_b32_e32 v4, s26, v4
	v_cmp_gt_i64_e64 s[26:27], 0, v[19:20]
	v_not_b32_e32 v1, v20
	v_ashrrev_i32_e32 v1, 31, v1
	v_and_b32_e32 v3, v3, v4
	v_xor_b32_e32 v4, s27, v1
	v_xor_b32_e32 v1, s26, v1
	; wave barrier
	ds_read_b32 v13, v14 offset:8
	v_and_b32_e32 v2, v2, v15
	v_and_b32_e32 v1, v3, v1
	;; [unrolled: 1-line block ×3, first 2 shown]
	v_mbcnt_lo_u32_b32 v3, v1, 0
	v_mbcnt_hi_u32_b32 v15, v2, v3
	v_cmp_ne_u64_e64 s[26:27], 0, v[1:2]
	v_cmp_eq_u32_e64 s[28:29], 0, v15
	s_and_b64 s[28:29], s[28:29], s[26:27]
	; wave barrier
	s_and_saveexec_b64 s[26:27], s[28:29]
	s_cbranch_execz .LBB350_12
; %bb.11:                               ;   in Loop: Header=BB350_4 Depth=2
	v_bcnt_u32_b32 v1, v1, 0
	v_bcnt_u32_b32 v1, v2, v1
	s_waitcnt lgkmcnt(0)
	v_add_u32_e32 v1, v13, v1
	ds_write_b32 v14, v1 offset:8
.LBB350_12:                             ;   in Loop: Header=BB350_4 Depth=2
	s_or_b64 exec, exec, s[26:27]
	v_lshrrev_b32_e32 v2, s41, v29
	v_lshrrev_b32_e32 v1, s38, v30
	v_and_b32_e32 v2, s42, v2
	v_and_b32_e32 v1, s40, v1
	v_lshlrev_b32_e32 v2, s39, v2
	v_cndmask_b32_e64 v1, 0, v1, s[24:25]
	v_cndmask_b32_e32 v2, 0, v2, vcc
	v_or_b32_e32 v1, v1, v2
	v_lshlrev_b32_e32 v2, 3, v1
	v_add_u32_e32 v48, v46, v2
	v_and_b32_e32 v2, 1, v1
	v_add_co_u32_e64 v3, s[26:27], -1, v2
	v_addc_co_u32_e64 v4, s[26:27], 0, -1, s[26:27]
	v_cmp_ne_u32_e64 s[26:27], 0, v2
	v_lshlrev_b32_e32 v20, 30, v1
	v_xor_b32_e32 v2, s27, v4
	v_xor_b32_e32 v3, s26, v3
	v_cmp_gt_i64_e64 s[26:27], 0, v[19:20]
	v_not_b32_e32 v4, v20
	v_ashrrev_i32_e32 v4, 31, v4
	v_and_b32_e32 v2, exec_hi, v2
	v_xor_b32_e32 v20, s27, v4
	v_and_b32_e32 v3, exec_lo, v3
	v_xor_b32_e32 v4, s26, v4
	v_and_b32_e32 v2, v2, v20
	v_lshlrev_b32_e32 v20, 29, v1
	v_and_b32_e32 v3, v3, v4
	v_cmp_gt_i64_e64 s[26:27], 0, v[19:20]
	v_not_b32_e32 v4, v20
	v_ashrrev_i32_e32 v4, 31, v4
	v_xor_b32_e32 v20, s27, v4
	v_xor_b32_e32 v4, s26, v4
	v_and_b32_e32 v2, v2, v20
	v_lshlrev_b32_e32 v20, 28, v1
	v_and_b32_e32 v3, v3, v4
	v_cmp_gt_i64_e64 s[26:27], 0, v[19:20]
	v_not_b32_e32 v4, v20
	v_ashrrev_i32_e32 v4, 31, v4
	v_xor_b32_e32 v20, s27, v4
	;; [unrolled: 8-line block ×5, first 2 shown]
	v_and_b32_e32 v2, v2, v20
	v_lshlrev_b32_e32 v20, 24, v1
	v_xor_b32_e32 v4, s26, v4
	v_cmp_gt_i64_e64 s[26:27], 0, v[19:20]
	v_not_b32_e32 v1, v20
	v_ashrrev_i32_e32 v1, 31, v1
	v_and_b32_e32 v3, v3, v4
	v_xor_b32_e32 v4, s27, v1
	v_xor_b32_e32 v1, s26, v1
	; wave barrier
	ds_read_b32 v16, v48 offset:8
	v_and_b32_e32 v1, v3, v1
	v_and_b32_e32 v2, v2, v4
	v_mbcnt_lo_u32_b32 v3, v1, 0
	v_mbcnt_hi_u32_b32 v49, v2, v3
	v_cmp_ne_u64_e64 s[26:27], 0, v[1:2]
	v_cmp_eq_u32_e64 s[28:29], 0, v49
	s_and_b64 s[28:29], s[28:29], s[26:27]
	; wave barrier
	s_and_saveexec_b64 s[26:27], s[28:29]
	s_cbranch_execz .LBB350_14
; %bb.13:                               ;   in Loop: Header=BB350_4 Depth=2
	v_bcnt_u32_b32 v1, v1, 0
	v_bcnt_u32_b32 v1, v2, v1
	s_waitcnt lgkmcnt(0)
	v_add_u32_e32 v1, v16, v1
	ds_write_b32 v48, v1 offset:8
.LBB350_14:                             ;   in Loop: Header=BB350_4 Depth=2
	s_or_b64 exec, exec, s[26:27]
	v_lshrrev_b32_e32 v2, s41, v27
	v_lshrrev_b32_e32 v1, s38, v28
	v_and_b32_e32 v2, s42, v2
	v_and_b32_e32 v1, s40, v1
	v_lshlrev_b32_e32 v2, s39, v2
	v_cndmask_b32_e64 v1, 0, v1, s[24:25]
	v_cndmask_b32_e32 v2, 0, v2, vcc
	v_or_b32_e32 v1, v1, v2
	v_lshlrev_b32_e32 v2, 3, v1
	v_add_u32_e32 v51, v46, v2
	v_and_b32_e32 v2, 1, v1
	v_add_co_u32_e64 v3, s[26:27], -1, v2
	v_addc_co_u32_e64 v4, s[26:27], 0, -1, s[26:27]
	v_cmp_ne_u32_e64 s[26:27], 0, v2
	v_lshlrev_b32_e32 v20, 30, v1
	v_xor_b32_e32 v2, s27, v4
	v_xor_b32_e32 v3, s26, v3
	v_cmp_gt_i64_e64 s[26:27], 0, v[19:20]
	v_not_b32_e32 v4, v20
	v_ashrrev_i32_e32 v4, 31, v4
	v_and_b32_e32 v2, exec_hi, v2
	v_xor_b32_e32 v20, s27, v4
	v_and_b32_e32 v3, exec_lo, v3
	v_xor_b32_e32 v4, s26, v4
	v_and_b32_e32 v2, v2, v20
	v_lshlrev_b32_e32 v20, 29, v1
	v_and_b32_e32 v3, v3, v4
	v_cmp_gt_i64_e64 s[26:27], 0, v[19:20]
	v_not_b32_e32 v4, v20
	v_ashrrev_i32_e32 v4, 31, v4
	v_xor_b32_e32 v20, s27, v4
	v_xor_b32_e32 v4, s26, v4
	v_and_b32_e32 v2, v2, v20
	v_lshlrev_b32_e32 v20, 28, v1
	v_and_b32_e32 v3, v3, v4
	v_cmp_gt_i64_e64 s[26:27], 0, v[19:20]
	v_not_b32_e32 v4, v20
	v_ashrrev_i32_e32 v4, 31, v4
	v_xor_b32_e32 v20, s27, v4
	;; [unrolled: 8-line block ×5, first 2 shown]
	v_and_b32_e32 v2, v2, v20
	v_lshlrev_b32_e32 v20, 24, v1
	v_xor_b32_e32 v4, s26, v4
	v_cmp_gt_i64_e64 s[26:27], 0, v[19:20]
	v_not_b32_e32 v1, v20
	v_ashrrev_i32_e32 v1, 31, v1
	v_and_b32_e32 v3, v3, v4
	v_xor_b32_e32 v4, s27, v1
	v_xor_b32_e32 v1, s26, v1
	; wave barrier
	ds_read_b32 v50, v51 offset:8
	v_and_b32_e32 v1, v3, v1
	v_and_b32_e32 v2, v2, v4
	v_mbcnt_lo_u32_b32 v3, v1, 0
	v_mbcnt_hi_u32_b32 v52, v2, v3
	v_cmp_ne_u64_e64 s[26:27], 0, v[1:2]
	v_cmp_eq_u32_e64 s[28:29], 0, v52
	s_and_b64 s[28:29], s[28:29], s[26:27]
	; wave barrier
	s_and_saveexec_b64 s[26:27], s[28:29]
	s_cbranch_execz .LBB350_16
; %bb.15:                               ;   in Loop: Header=BB350_4 Depth=2
	v_bcnt_u32_b32 v1, v1, 0
	v_bcnt_u32_b32 v1, v2, v1
	s_waitcnt lgkmcnt(0)
	v_add_u32_e32 v1, v50, v1
	ds_write_b32 v51, v1 offset:8
.LBB350_16:                             ;   in Loop: Header=BB350_4 Depth=2
	s_or_b64 exec, exec, s[26:27]
	v_lshrrev_b32_e32 v2, s41, v25
	v_lshrrev_b32_e32 v1, s38, v26
	v_and_b32_e32 v2, s42, v2
	v_and_b32_e32 v1, s40, v1
	v_lshlrev_b32_e32 v2, s39, v2
	v_cndmask_b32_e64 v1, 0, v1, s[24:25]
	v_cndmask_b32_e32 v2, 0, v2, vcc
	v_or_b32_e32 v1, v1, v2
	v_lshlrev_b32_e32 v2, 3, v1
	v_add_u32_e32 v54, v46, v2
	v_and_b32_e32 v2, 1, v1
	v_add_co_u32_e64 v3, s[26:27], -1, v2
	v_addc_co_u32_e64 v4, s[26:27], 0, -1, s[26:27]
	v_cmp_ne_u32_e64 s[26:27], 0, v2
	v_lshlrev_b32_e32 v20, 30, v1
	v_xor_b32_e32 v2, s27, v4
	v_xor_b32_e32 v3, s26, v3
	v_cmp_gt_i64_e64 s[26:27], 0, v[19:20]
	v_not_b32_e32 v4, v20
	v_ashrrev_i32_e32 v4, 31, v4
	v_and_b32_e32 v2, exec_hi, v2
	v_xor_b32_e32 v20, s27, v4
	v_and_b32_e32 v3, exec_lo, v3
	v_xor_b32_e32 v4, s26, v4
	v_and_b32_e32 v2, v2, v20
	v_lshlrev_b32_e32 v20, 29, v1
	v_and_b32_e32 v3, v3, v4
	v_cmp_gt_i64_e64 s[26:27], 0, v[19:20]
	v_not_b32_e32 v4, v20
	v_ashrrev_i32_e32 v4, 31, v4
	v_xor_b32_e32 v20, s27, v4
	v_xor_b32_e32 v4, s26, v4
	v_and_b32_e32 v2, v2, v20
	v_lshlrev_b32_e32 v20, 28, v1
	v_and_b32_e32 v3, v3, v4
	v_cmp_gt_i64_e64 s[26:27], 0, v[19:20]
	v_not_b32_e32 v4, v20
	v_ashrrev_i32_e32 v4, 31, v4
	v_xor_b32_e32 v20, s27, v4
	;; [unrolled: 8-line block ×5, first 2 shown]
	v_and_b32_e32 v2, v2, v20
	v_lshlrev_b32_e32 v20, 24, v1
	v_xor_b32_e32 v4, s26, v4
	v_cmp_gt_i64_e64 s[26:27], 0, v[19:20]
	v_not_b32_e32 v1, v20
	v_ashrrev_i32_e32 v1, 31, v1
	v_and_b32_e32 v3, v3, v4
	v_xor_b32_e32 v4, s27, v1
	v_xor_b32_e32 v1, s26, v1
	; wave barrier
	ds_read_b32 v53, v54 offset:8
	v_and_b32_e32 v1, v3, v1
	v_and_b32_e32 v2, v2, v4
	v_mbcnt_lo_u32_b32 v3, v1, 0
	v_mbcnt_hi_u32_b32 v55, v2, v3
	v_cmp_ne_u64_e64 s[26:27], 0, v[1:2]
	v_cmp_eq_u32_e64 s[28:29], 0, v55
	s_and_b64 s[28:29], s[28:29], s[26:27]
	; wave barrier
	s_and_saveexec_b64 s[26:27], s[28:29]
	s_cbranch_execz .LBB350_18
; %bb.17:                               ;   in Loop: Header=BB350_4 Depth=2
	v_bcnt_u32_b32 v1, v1, 0
	v_bcnt_u32_b32 v1, v2, v1
	s_waitcnt lgkmcnt(0)
	v_add_u32_e32 v1, v53, v1
	ds_write_b32 v54, v1 offset:8
.LBB350_18:                             ;   in Loop: Header=BB350_4 Depth=2
	s_or_b64 exec, exec, s[26:27]
	v_lshrrev_b32_e32 v2, s41, v17
	v_lshrrev_b32_e32 v1, s38, v18
	v_and_b32_e32 v2, s42, v2
	v_and_b32_e32 v1, s40, v1
	v_lshlrev_b32_e32 v2, s39, v2
	v_cndmask_b32_e64 v1, 0, v1, s[24:25]
	v_cndmask_b32_e32 v2, 0, v2, vcc
	v_or_b32_e32 v1, v1, v2
	v_lshlrev_b32_e32 v2, 3, v1
	v_add_u32_e32 v57, v46, v2
	v_and_b32_e32 v2, 1, v1
	v_add_co_u32_e32 v3, vcc, -1, v2
	v_addc_co_u32_e64 v4, s[24:25], 0, -1, vcc
	v_cmp_ne_u32_e32 vcc, 0, v2
	v_lshlrev_b32_e32 v20, 30, v1
	v_xor_b32_e32 v2, vcc_hi, v4
	v_xor_b32_e32 v3, vcc_lo, v3
	v_cmp_gt_i64_e32 vcc, 0, v[19:20]
	v_not_b32_e32 v4, v20
	v_ashrrev_i32_e32 v4, 31, v4
	v_and_b32_e32 v2, exec_hi, v2
	v_xor_b32_e32 v20, vcc_hi, v4
	v_and_b32_e32 v3, exec_lo, v3
	v_xor_b32_e32 v4, vcc_lo, v4
	v_and_b32_e32 v2, v2, v20
	v_lshlrev_b32_e32 v20, 29, v1
	v_and_b32_e32 v3, v3, v4
	v_cmp_gt_i64_e32 vcc, 0, v[19:20]
	v_not_b32_e32 v4, v20
	v_ashrrev_i32_e32 v4, 31, v4
	v_xor_b32_e32 v20, vcc_hi, v4
	v_xor_b32_e32 v4, vcc_lo, v4
	v_and_b32_e32 v2, v2, v20
	v_lshlrev_b32_e32 v20, 28, v1
	v_and_b32_e32 v3, v3, v4
	v_cmp_gt_i64_e32 vcc, 0, v[19:20]
	v_not_b32_e32 v4, v20
	v_ashrrev_i32_e32 v4, 31, v4
	v_xor_b32_e32 v20, vcc_hi, v4
	;; [unrolled: 8-line block ×5, first 2 shown]
	v_and_b32_e32 v2, v2, v20
	v_lshlrev_b32_e32 v20, 24, v1
	v_xor_b32_e32 v4, vcc_lo, v4
	v_cmp_gt_i64_e32 vcc, 0, v[19:20]
	v_not_b32_e32 v1, v20
	v_ashrrev_i32_e32 v1, 31, v1
	v_and_b32_e32 v3, v3, v4
	v_xor_b32_e32 v4, vcc_hi, v1
	v_xor_b32_e32 v1, vcc_lo, v1
	; wave barrier
	ds_read_b32 v56, v57 offset:8
	v_and_b32_e32 v1, v3, v1
	v_and_b32_e32 v2, v2, v4
	v_mbcnt_lo_u32_b32 v3, v1, 0
	v_mbcnt_hi_u32_b32 v20, v2, v3
	v_cmp_ne_u64_e32 vcc, 0, v[1:2]
	v_cmp_eq_u32_e64 s[24:25], 0, v20
	s_and_b64 s[26:27], s[24:25], vcc
	; wave barrier
	s_and_saveexec_b64 s[24:25], s[26:27]
	s_cbranch_execz .LBB350_20
; %bb.19:                               ;   in Loop: Header=BB350_4 Depth=2
	v_bcnt_u32_b32 v1, v1, 0
	v_bcnt_u32_b32 v1, v2, v1
	s_waitcnt lgkmcnt(0)
	v_add_u32_e32 v1, v56, v1
	ds_write_b32 v57, v1 offset:8
.LBB350_20:                             ;   in Loop: Header=BB350_4 Depth=2
	s_or_b64 exec, exec, s[24:25]
	; wave barrier
	s_waitcnt lgkmcnt(0)
	s_barrier
	ds_read2_b64 v[1:4], v41 offset0:1 offset1:2
	s_waitcnt lgkmcnt(0)
	v_add_u32_e32 v58, v2, v1
	v_add3_u32 v4, v58, v3, v4
	s_nop 1
	v_mov_b32_dpp v58, v4 row_shr:1 row_mask:0xf bank_mask:0xf
	v_cndmask_b32_e64 v58, v58, 0, s[0:1]
	v_add_u32_e32 v4, v58, v4
	s_nop 1
	v_mov_b32_dpp v58, v4 row_shr:2 row_mask:0xf bank_mask:0xf
	v_cndmask_b32_e64 v58, 0, v58, s[2:3]
	v_add_u32_e32 v4, v4, v58
	;; [unrolled: 4-line block ×4, first 2 shown]
	s_nop 1
	v_mov_b32_dpp v58, v4 row_bcast:15 row_mask:0xf bank_mask:0xf
	v_cndmask_b32_e64 v58, v58, 0, s[8:9]
	v_add_u32_e32 v4, v4, v58
	s_nop 1
	v_mov_b32_dpp v58, v4 row_bcast:31 row_mask:0xf bank_mask:0xf
	v_cndmask_b32_e64 v58, 0, v58, s[10:11]
	v_add_u32_e32 v4, v4, v58
	s_and_saveexec_b64 s[24:25], s[12:13]
; %bb.21:                               ;   in Loop: Header=BB350_4 Depth=2
	ds_write_b32 v43, v4
; %bb.22:                               ;   in Loop: Header=BB350_4 Depth=2
	s_or_b64 exec, exec, s[24:25]
	s_waitcnt lgkmcnt(0)
	s_barrier
	s_and_saveexec_b64 s[24:25], s[14:15]
	s_cbranch_execz .LBB350_24
; %bb.23:                               ;   in Loop: Header=BB350_4 Depth=2
	ds_read_b32 v58, v44
	s_waitcnt lgkmcnt(0)
	s_nop 0
	v_mov_b32_dpp v59, v58 row_shr:1 row_mask:0xf bank_mask:0xf
	v_cndmask_b32_e64 v59, v59, 0, s[22:23]
	v_add_u32_e32 v58, v59, v58
	ds_write_b32 v44, v58
.LBB350_24:                             ;   in Loop: Header=BB350_4 Depth=2
	s_or_b64 exec, exec, s[24:25]
	v_mov_b32_e32 v58, 0
	s_waitcnt lgkmcnt(0)
	s_barrier
	s_and_saveexec_b64 s[24:25], s[16:17]
; %bb.25:                               ;   in Loop: Header=BB350_4 Depth=2
	ds_read_b32 v58, v45
; %bb.26:                               ;   in Loop: Header=BB350_4 Depth=2
	s_or_b64 exec, exec, s[24:25]
	s_waitcnt lgkmcnt(0)
	v_add_u32_e32 v4, v58, v4
	ds_bpermute_b32 v4, v42, v4
	v_lshlrev_b32_e32 v5, 3, v5
	s_cmp_gt_u32 s38, 55
	s_mov_b64 s[24:25], -1
	s_waitcnt lgkmcnt(0)
	v_cndmask_b32_e64 v4, v4, v58, s[18:19]
	v_cndmask_b32_e64 v58, v4, 0, s[20:21]
	v_add_u32_e32 v59, v58, v1
	v_add_u32_e32 v1, v59, v2
	;; [unrolled: 1-line block ×3, first 2 shown]
	ds_write2_b64 v41, v[58:59], v[1:2] offset0:1 offset1:2
	s_waitcnt lgkmcnt(0)
	s_barrier
	ds_read_b32 v1, v6 offset:8
	ds_read_b32 v2, v8 offset:8
	;; [unrolled: 1-line block ×8, first 2 shown]
	s_waitcnt lgkmcnt(7)
	v_lshl_add_u32 v48, v1, 3, v5
	v_lshlrev_b32_e32 v1, 3, v9
	v_lshlrev_b32_e32 v5, 3, v7
	s_waitcnt lgkmcnt(6)
	v_lshlrev_b32_e32 v2, 3, v2
	v_add3_u32 v51, v1, v5, v2
	v_lshlrev_b32_e32 v1, 3, v12
	v_lshlrev_b32_e32 v2, 3, v10
	s_waitcnt lgkmcnt(5)
	v_lshlrev_b32_e32 v3, 3, v3
	v_add3_u32 v54, v1, v2, v3
	;; [unrolled: 5-line block ×7, first 2 shown]
                                        ; implicit-def: $vgpr1_vgpr2
                                        ; implicit-def: $vgpr5_vgpr6
                                        ; implicit-def: $vgpr9_vgpr10
                                        ; implicit-def: $vgpr13_vgpr14
	s_cbranch_scc1 .LBB350_3
; %bb.27:                               ;   in Loop: Header=BB350_4 Depth=2
	s_barrier
	ds_write_b64 v48, v[37:38]
	ds_write_b64 v51, v[35:36]
	;; [unrolled: 1-line block ×8, first 2 shown]
	s_waitcnt lgkmcnt(0)
	s_barrier
	ds_read2st64_b64 v[1:4], v40 offset1:1
	ds_read2st64_b64 v[5:8], v40 offset0:2 offset1:3
	ds_read2st64_b64 v[9:12], v40 offset0:4 offset1:5
	;; [unrolled: 1-line block ×3, first 2 shown]
	s_add_i32 s34, s34, -8
	s_add_i32 s33, s33, 8
	s_add_i32 s38, s38, 8
	s_mov_b64 s[24:25], 0
	s_waitcnt lgkmcnt(0)
	s_barrier
	s_branch .LBB350_3
.LBB350_28:
	s_add_u32 s0, s30, s36
	s_addc_u32 s1, s31, s37
	v_lshlrev_b32_e32 v0, 3, v0
	v_mov_b32_e32 v1, s1
	v_add_co_u32_e32 v2, vcc, s0, v0
	v_addc_co_u32_e32 v1, vcc, 0, v1, vcc
	global_store_dwordx2 v0, v[15:16], s[0:1]
	global_store_dwordx2 v0, v[17:18], s[0:1] offset:1024
	global_store_dwordx2 v0, v[7:8], s[0:1] offset:2048
	;; [unrolled: 1-line block ×3, first 2 shown]
	v_add_co_u32_e32 v0, vcc, 0x1000, v2
	v_addc_co_u32_e32 v1, vcc, 0, v1, vcc
	global_store_dwordx2 v[0:1], v[3:4], off
	global_store_dwordx2 v[0:1], v[5:6], off offset:1024
	global_store_dwordx2 v[0:1], v[11:12], off offset:2048
	;; [unrolled: 1-line block ×3, first 2 shown]
	s_endpgm
	.section	.rodata,"a",@progbits
	.p2align	6, 0x0
	.amdhsa_kernel _Z16sort_keys_kernelI22helper_blocked_stripedN15benchmark_utils11custom_typeIiiEELj128ELj8ELj10EEvPKT0_PS4_
		.amdhsa_group_segment_fixed_size 8192
		.amdhsa_private_segment_fixed_size 0
		.amdhsa_kernarg_size 272
		.amdhsa_user_sgpr_count 6
		.amdhsa_user_sgpr_private_segment_buffer 1
		.amdhsa_user_sgpr_dispatch_ptr 0
		.amdhsa_user_sgpr_queue_ptr 0
		.amdhsa_user_sgpr_kernarg_segment_ptr 1
		.amdhsa_user_sgpr_dispatch_id 0
		.amdhsa_user_sgpr_flat_scratch_init 0
		.amdhsa_user_sgpr_private_segment_size 0
		.amdhsa_uses_dynamic_stack 0
		.amdhsa_system_sgpr_private_segment_wavefront_offset 0
		.amdhsa_system_sgpr_workgroup_id_x 1
		.amdhsa_system_sgpr_workgroup_id_y 0
		.amdhsa_system_sgpr_workgroup_id_z 0
		.amdhsa_system_sgpr_workgroup_info 0
		.amdhsa_system_vgpr_workitem_id 2
		.amdhsa_next_free_vgpr 60
		.amdhsa_next_free_sgpr 98
		.amdhsa_reserve_vcc 1
		.amdhsa_reserve_flat_scratch 0
		.amdhsa_float_round_mode_32 0
		.amdhsa_float_round_mode_16_64 0
		.amdhsa_float_denorm_mode_32 3
		.amdhsa_float_denorm_mode_16_64 3
		.amdhsa_dx10_clamp 1
		.amdhsa_ieee_mode 1
		.amdhsa_fp16_overflow 0
		.amdhsa_exception_fp_ieee_invalid_op 0
		.amdhsa_exception_fp_denorm_src 0
		.amdhsa_exception_fp_ieee_div_zero 0
		.amdhsa_exception_fp_ieee_overflow 0
		.amdhsa_exception_fp_ieee_underflow 0
		.amdhsa_exception_fp_ieee_inexact 0
		.amdhsa_exception_int_div_zero 0
	.end_amdhsa_kernel
	.section	.text._Z16sort_keys_kernelI22helper_blocked_stripedN15benchmark_utils11custom_typeIiiEELj128ELj8ELj10EEvPKT0_PS4_,"axG",@progbits,_Z16sort_keys_kernelI22helper_blocked_stripedN15benchmark_utils11custom_typeIiiEELj128ELj8ELj10EEvPKT0_PS4_,comdat
.Lfunc_end350:
	.size	_Z16sort_keys_kernelI22helper_blocked_stripedN15benchmark_utils11custom_typeIiiEELj128ELj8ELj10EEvPKT0_PS4_, .Lfunc_end350-_Z16sort_keys_kernelI22helper_blocked_stripedN15benchmark_utils11custom_typeIiiEELj128ELj8ELj10EEvPKT0_PS4_
                                        ; -- End function
	.set _Z16sort_keys_kernelI22helper_blocked_stripedN15benchmark_utils11custom_typeIiiEELj128ELj8ELj10EEvPKT0_PS4_.num_vgpr, 60
	.set _Z16sort_keys_kernelI22helper_blocked_stripedN15benchmark_utils11custom_typeIiiEELj128ELj8ELj10EEvPKT0_PS4_.num_agpr, 0
	.set _Z16sort_keys_kernelI22helper_blocked_stripedN15benchmark_utils11custom_typeIiiEELj128ELj8ELj10EEvPKT0_PS4_.numbered_sgpr, 43
	.set _Z16sort_keys_kernelI22helper_blocked_stripedN15benchmark_utils11custom_typeIiiEELj128ELj8ELj10EEvPKT0_PS4_.num_named_barrier, 0
	.set _Z16sort_keys_kernelI22helper_blocked_stripedN15benchmark_utils11custom_typeIiiEELj128ELj8ELj10EEvPKT0_PS4_.private_seg_size, 0
	.set _Z16sort_keys_kernelI22helper_blocked_stripedN15benchmark_utils11custom_typeIiiEELj128ELj8ELj10EEvPKT0_PS4_.uses_vcc, 1
	.set _Z16sort_keys_kernelI22helper_blocked_stripedN15benchmark_utils11custom_typeIiiEELj128ELj8ELj10EEvPKT0_PS4_.uses_flat_scratch, 0
	.set _Z16sort_keys_kernelI22helper_blocked_stripedN15benchmark_utils11custom_typeIiiEELj128ELj8ELj10EEvPKT0_PS4_.has_dyn_sized_stack, 0
	.set _Z16sort_keys_kernelI22helper_blocked_stripedN15benchmark_utils11custom_typeIiiEELj128ELj8ELj10EEvPKT0_PS4_.has_recursion, 0
	.set _Z16sort_keys_kernelI22helper_blocked_stripedN15benchmark_utils11custom_typeIiiEELj128ELj8ELj10EEvPKT0_PS4_.has_indirect_call, 0
	.section	.AMDGPU.csdata,"",@progbits
; Kernel info:
; codeLenInByte = 5240
; TotalNumSgprs: 47
; NumVgprs: 60
; ScratchSize: 0
; MemoryBound: 0
; FloatMode: 240
; IeeeMode: 1
; LDSByteSize: 8192 bytes/workgroup (compile time only)
; SGPRBlocks: 12
; VGPRBlocks: 14
; NumSGPRsForWavesPerEU: 102
; NumVGPRsForWavesPerEU: 60
; Occupancy: 4
; WaveLimiterHint : 1
; COMPUTE_PGM_RSRC2:SCRATCH_EN: 0
; COMPUTE_PGM_RSRC2:USER_SGPR: 6
; COMPUTE_PGM_RSRC2:TRAP_HANDLER: 0
; COMPUTE_PGM_RSRC2:TGID_X_EN: 1
; COMPUTE_PGM_RSRC2:TGID_Y_EN: 0
; COMPUTE_PGM_RSRC2:TGID_Z_EN: 0
; COMPUTE_PGM_RSRC2:TIDIG_COMP_CNT: 2
	.section	.text._Z17sort_pairs_kernelI22helper_blocked_stripedN15benchmark_utils11custom_typeIiiEELj128ELj8ELj10EEvPKT0_PS4_,"axG",@progbits,_Z17sort_pairs_kernelI22helper_blocked_stripedN15benchmark_utils11custom_typeIiiEELj128ELj8ELj10EEvPKT0_PS4_,comdat
	.protected	_Z17sort_pairs_kernelI22helper_blocked_stripedN15benchmark_utils11custom_typeIiiEELj128ELj8ELj10EEvPKT0_PS4_ ; -- Begin function _Z17sort_pairs_kernelI22helper_blocked_stripedN15benchmark_utils11custom_typeIiiEELj128ELj8ELj10EEvPKT0_PS4_
	.globl	_Z17sort_pairs_kernelI22helper_blocked_stripedN15benchmark_utils11custom_typeIiiEELj128ELj8ELj10EEvPKT0_PS4_
	.p2align	8
	.type	_Z17sort_pairs_kernelI22helper_blocked_stripedN15benchmark_utils11custom_typeIiiEELj128ELj8ELj10EEvPKT0_PS4_,@function
_Z17sort_pairs_kernelI22helper_blocked_stripedN15benchmark_utils11custom_typeIiiEELj128ELj8ELj10EEvPKT0_PS4_: ; @_Z17sort_pairs_kernelI22helper_blocked_stripedN15benchmark_utils11custom_typeIiiEELj128ELj8ELj10EEvPKT0_PS4_
; %bb.0:
	s_load_dwordx4 s[28:31], s[4:5], 0x0
	s_load_dword s24, s[4:5], 0x1c
	s_lshl_b32 s36, s6, 10
	s_mov_b32 s37, 0
	s_lshl_b64 s[34:35], s[36:37], 3
	s_waitcnt lgkmcnt(0)
	s_add_u32 s0, s28, s34
	s_addc_u32 s1, s29, s35
	v_lshlrev_b32_e32 v19, 6, v0
	global_load_dwordx4 v[3:6], v19, s[0:1]
	global_load_dwordx4 v[7:10], v19, s[0:1] offset:16
	global_load_dwordx4 v[11:14], v19, s[0:1] offset:32
	;; [unrolled: 1-line block ×3, first 2 shown]
	v_mbcnt_lo_u32_b32 v20, -1, 0
	v_mbcnt_hi_u32_b32 v20, -1, v20
	s_lshr_b32 s25, s24, 16
	v_subrev_co_u32_e64 v26, s[8:9], 1, v20
	v_and_b32_e32 v27, 64, v20
	s_and_b32 s24, s24, 0xffff
	v_mad_u32_u24 v1, v2, s25, v1
	v_and_b32_e32 v21, 64, v0
	v_lshlrev_b32_e32 v67, 4, v0
	v_lshrrev_b32_e32 v22, 4, v0
	v_and_b32_e32 v19, 0x1000, v19
	v_cmp_lt_i32_e32 vcc, v26, v27
	v_mad_u32_u24 v1, v1, s24, v0
	v_lshlrev_b32_e32 v23, 2, v0
	v_add_lshl_u32 v68, v20, v21, 6
	v_and_b32_e32 v24, 15, v20
	v_and_b32_e32 v25, 16, v20
	v_or_b32_e32 v21, 63, v21
	v_and_b32_e32 v69, 4, v22
	v_mad_i32_i24 v70, v0, -12, v67
	v_and_b32_e32 v22, 1, v20
	v_lshl_or_b32 v71, v20, 3, v19
	v_cndmask_b32_e32 v19, v26, v20, vcc
	v_lshrrev_b32_e32 v1, 4, v1
	v_mov_b32_e32 v35, 0
	v_cmp_gt_u32_e64 s[0:1], 2, v0
	v_cmp_lt_u32_e64 s[2:3], 63, v0
	v_cmp_eq_u32_e64 s[4:5], 0, v0
	s_mov_b32 s38, s37
	s_mov_b32 s39, s37
	v_cmp_lt_u32_e64 s[6:7], 31, v20
	s_mov_b32 s36, s37
	v_cmp_eq_u32_e64 s[10:11], 0, v24
	v_cmp_lt_u32_e64 s[12:13], 1, v24
	v_cmp_lt_u32_e64 s[14:15], 3, v24
	v_cmp_lt_u32_e64 s[16:17], 7, v24
	v_cmp_eq_u32_e64 s[18:19], 0, v25
	v_cmp_eq_u32_e64 s[20:21], v0, v21
	;; [unrolled: 1-line block ×3, first 2 shown]
	v_add_u32_e32 v72, -4, v69
	v_add_u32_e32 v73, v70, v23
	v_lshlrev_b32_e32 v74, 2, v19
	v_and_b32_e32 v75, 0xffffffc, v1
	s_mov_b32 s33, s37
	s_waitcnt vmcnt(3)
	v_add_u32_e32 v20, 1, v4
	v_add_u32_e32 v19, 1, v3
	v_add_u32_e32 v22, 1, v6
	v_add_u32_e32 v21, 1, v5
	s_waitcnt vmcnt(2)
	v_add_u32_e32 v24, 1, v8
	v_add_u32_e32 v23, 1, v7
	v_add_u32_e32 v26, 1, v10
	v_add_u32_e32 v25, 1, v9
	;; [unrolled: 5-line block ×4, first 2 shown]
	s_branch .LBB351_2
.LBB351_1:                              ;   in Loop: Header=BB351_2 Depth=1
	s_barrier
	ds_write_b64 v36, v[65:66]
	ds_write_b64 v76, v[63:64]
	;; [unrolled: 1-line block ×8, first 2 shown]
	s_waitcnt lgkmcnt(0)
	s_barrier
	ds_read2st64_b64 v[3:6], v73 offset1:2
	ds_read2st64_b64 v[7:10], v73 offset0:4 offset1:6
	ds_read2st64_b64 v[11:14], v73 offset0:8 offset1:10
	;; [unrolled: 1-line block ×3, first 2 shown]
	s_waitcnt lgkmcnt(0)
	s_barrier
	ds_write_b64 v36, v[49:50]
	ds_write_b64 v76, v[47:48]
	;; [unrolled: 1-line block ×8, first 2 shown]
	s_waitcnt lgkmcnt(0)
	s_barrier
	ds_read2st64_b64 v[19:22], v73 offset1:2
	ds_read2st64_b64 v[23:26], v73 offset0:4 offset1:6
	ds_read2st64_b64 v[27:30], v73 offset0:8 offset1:10
	;; [unrolled: 1-line block ×3, first 2 shown]
	s_add_i32 s33, s33, 1
	v_xor_b32_e32 v3, 0x80000000, v3
	v_xor_b32_e32 v4, 0x80000000, v4
	;; [unrolled: 1-line block ×15, first 2 shown]
	s_cmp_lg_u32 s33, 10
	v_xor_b32_e32 v18, 0x80000000, v18
	s_cbranch_scc0 .LBB351_28
.LBB351_2:                              ; =>This Loop Header: Depth=1
                                        ;     Child Loop BB351_4 Depth 2
	v_xor_b32_e32 v2, 0x80000000, v4
	v_xor_b32_e32 v1, 0x80000000, v3
	;; [unrolled: 1-line block ×16, first 2 shown]
	ds_write2_b64 v68, v[1:2], v[3:4] offset1:1
	ds_write2_b64 v68, v[5:6], v[7:8] offset0:2 offset1:3
	ds_write2_b64 v68, v[9:10], v[11:12] offset0:4 offset1:5
	;; [unrolled: 1-line block ×3, first 2 shown]
	; wave barrier
	ds_read2st64_b64 v[1:4], v71 offset1:1
	ds_read2st64_b64 v[5:8], v71 offset0:2 offset1:3
	ds_read2st64_b64 v[9:12], v71 offset0:4 offset1:5
	;; [unrolled: 1-line block ×3, first 2 shown]
	; wave barrier
	s_waitcnt lgkmcnt(11)
	ds_write2_b64 v68, v[19:20], v[21:22] offset1:1
	s_waitcnt lgkmcnt(11)
	ds_write2_b64 v68, v[23:24], v[25:26] offset0:2 offset1:3
	s_waitcnt lgkmcnt(11)
	ds_write2_b64 v68, v[27:28], v[29:30] offset0:4 offset1:5
	;; [unrolled: 2-line block ×3, first 2 shown]
	; wave barrier
	ds_read2st64_b64 v[17:20], v71 offset1:1
	ds_read2st64_b64 v[21:24], v71 offset0:2 offset1:3
	ds_read2st64_b64 v[25:28], v71 offset0:4 offset1:5
	;; [unrolled: 1-line block ×3, first 2 shown]
	s_mov_b32 s40, 8
	s_mov_b32 s41, 32
	;; [unrolled: 1-line block ×3, first 2 shown]
	s_waitcnt lgkmcnt(0)
	s_barrier
	s_branch .LBB351_4
.LBB351_3:                              ;   in Loop: Header=BB351_4 Depth=2
	s_andn2_b64 vcc, exec, s[24:25]
	s_cbranch_vccz .LBB351_1
.LBB351_4:                              ;   Parent Loop BB351_2 Depth=1
                                        ; =>  This Inner Loop Header: Depth=2
	s_min_i32 s26, s40, 32
	s_cmp_lt_u32 s42, 32
	s_cselect_b64 s[24:25], -1, 0
	s_cmp_gt_u32 s42, 31
	s_cselect_b64 vcc, -1, 0
	s_sub_i32 s26, s26, 32
	s_add_i32 s27, s26, s41
	s_lshl_b32 s27, -1, s27
	s_not_b32 s27, s27
	s_cmp_lg_u32 s26, s42
	s_cselect_b32 s44, s27, -1
	s_max_i32 s43, s41, 0
	s_max_i32 s26, s42, 32
	s_sub_i32 s45, s26, 32
	s_sub_i32 s26, s26, s43
	;; [unrolled: 1-line block ×3, first 2 shown]
	s_min_i32 s26, s26, 32
	s_sub_i32 s26, s26, s45
	v_mov_b32_e32 v66, v2
	v_mov_b32_e32 v64, v4
	s_lshl_b32 s27, -1, s26
	v_mov_b32_e32 v65, v1
	v_mov_b32_e32 v63, v3
	;; [unrolled: 1-line block ×4, first 2 shown]
	s_not_b32 s27, s27
	v_mov_b32_e32 v2, s37
	v_mov_b32_e32 v4, s39
	s_cmp_lg_u32 s26, 32
	ds_write2_b64 v67, v[1:2], v[3:4] offset0:1 offset1:2
	s_cselect_b32 s46, s27, -1
	v_lshrrev_b32_e32 v2, s45, v65
	v_lshrrev_b32_e32 v1, s42, v66
	v_and_b32_e32 v2, s46, v2
	v_and_b32_e32 v1, s44, v1
	v_lshlrev_b32_e32 v2, s43, v2
	v_cndmask_b32_e64 v1, 0, v1, s[24:25]
	v_cndmask_b32_e32 v2, 0, v2, vcc
	v_or_b32_e32 v1, v1, v2
	v_and_b32_e32 v2, 1, v1
	v_mov_b32_e32 v62, v6
	v_add_co_u32_e64 v4, s[26:27], -1, v2
	v_mov_b32_e32 v61, v5
	v_addc_co_u32_e64 v5, s[26:27], 0, -1, s[26:27]
	v_cmp_ne_u32_e64 s[26:27], 0, v2
	v_lshlrev_b32_e32 v36, 30, v1
	v_xor_b32_e32 v2, s27, v5
	v_xor_b32_e32 v4, s26, v4
	v_cmp_gt_i64_e64 s[26:27], 0, v[35:36]
	v_not_b32_e32 v5, v36
	v_ashrrev_i32_e32 v5, 31, v5
	v_and_b32_e32 v4, exec_lo, v4
	v_xor_b32_e32 v6, s27, v5
	v_xor_b32_e32 v5, s26, v5
	v_lshlrev_b32_e32 v36, 29, v1
	v_and_b32_e32 v4, v4, v5
	v_cmp_gt_i64_e64 s[26:27], 0, v[35:36]
	v_not_b32_e32 v5, v36
	v_and_b32_e32 v2, exec_hi, v2
	v_ashrrev_i32_e32 v5, 31, v5
	v_and_b32_e32 v2, v2, v6
	v_xor_b32_e32 v6, s27, v5
	v_xor_b32_e32 v5, s26, v5
	v_lshlrev_b32_e32 v36, 28, v1
	v_and_b32_e32 v4, v4, v5
	v_cmp_gt_i64_e64 s[26:27], 0, v[35:36]
	v_not_b32_e32 v5, v36
	v_ashrrev_i32_e32 v5, 31, v5
	v_and_b32_e32 v2, v2, v6
	v_xor_b32_e32 v6, s27, v5
	v_xor_b32_e32 v5, s26, v5
	v_lshlrev_b32_e32 v36, 27, v1
	v_and_b32_e32 v4, v4, v5
	v_cmp_gt_i64_e64 s[26:27], 0, v[35:36]
	v_not_b32_e32 v5, v36
	;; [unrolled: 8-line block ×4, first 2 shown]
	v_ashrrev_i32_e32 v5, 31, v5
	v_lshlrev_b32_e32 v36, 24, v1
	v_lshlrev_b32_e32 v3, 3, v1
	v_and_b32_e32 v2, v2, v6
	v_xor_b32_e32 v6, s27, v5
	v_xor_b32_e32 v5, s26, v5
	v_cmp_gt_i64_e64 s[26:27], 0, v[35:36]
	v_not_b32_e32 v1, v36
	v_ashrrev_i32_e32 v1, 31, v1
	v_and_b32_e32 v4, v4, v5
	v_xor_b32_e32 v5, s27, v1
	v_xor_b32_e32 v1, s26, v1
	v_and_b32_e32 v2, v2, v6
	v_and_b32_e32 v1, v4, v1
	;; [unrolled: 1-line block ×3, first 2 shown]
	v_mbcnt_lo_u32_b32 v4, v1, 0
	v_mbcnt_hi_u32_b32 v5, v2, v4
	v_cmp_ne_u64_e64 s[26:27], 0, v[1:2]
	v_mov_b32_e32 v50, v18
	v_mov_b32_e32 v48, v20
	;; [unrolled: 1-line block ×13, first 2 shown]
	v_cmp_eq_u32_e64 s[28:29], 0, v5
	v_mov_b32_e32 v49, v17
	v_mov_b32_e32 v47, v19
	;; [unrolled: 1-line block ×13, first 2 shown]
	s_and_b64 s[28:29], s[28:29], s[26:27]
	v_add_u32_e32 v6, v75, v3
	s_waitcnt lgkmcnt(0)
	s_barrier
	; wave barrier
	s_and_saveexec_b64 s[26:27], s[28:29]
; %bb.5:                                ;   in Loop: Header=BB351_4 Depth=2
	v_bcnt_u32_b32 v1, v1, 0
	v_bcnt_u32_b32 v1, v2, v1
	ds_write_b32 v6, v1 offset:8
; %bb.6:                                ;   in Loop: Header=BB351_4 Depth=2
	s_or_b64 exec, exec, s[26:27]
	v_lshrrev_b32_e32 v2, s45, v63
	v_lshrrev_b32_e32 v1, s42, v64
	v_and_b32_e32 v2, s46, v2
	v_and_b32_e32 v1, s44, v1
	v_lshlrev_b32_e32 v2, s43, v2
	v_cndmask_b32_e64 v1, 0, v1, s[24:25]
	v_cndmask_b32_e32 v2, 0, v2, vcc
	v_or_b32_e32 v1, v1, v2
	v_lshlrev_b32_e32 v2, 3, v1
	v_add_u32_e32 v8, v75, v2
	v_and_b32_e32 v2, 1, v1
	v_add_co_u32_e64 v3, s[26:27], -1, v2
	v_addc_co_u32_e64 v4, s[26:27], 0, -1, s[26:27]
	v_cmp_ne_u32_e64 s[26:27], 0, v2
	v_lshlrev_b32_e32 v36, 30, v1
	v_xor_b32_e32 v2, s27, v4
	v_xor_b32_e32 v3, s26, v3
	v_cmp_gt_i64_e64 s[26:27], 0, v[35:36]
	v_not_b32_e32 v4, v36
	v_ashrrev_i32_e32 v4, 31, v4
	v_and_b32_e32 v3, exec_lo, v3
	v_xor_b32_e32 v9, s27, v4
	v_xor_b32_e32 v4, s26, v4
	v_lshlrev_b32_e32 v36, 29, v1
	v_and_b32_e32 v3, v3, v4
	v_cmp_gt_i64_e64 s[26:27], 0, v[35:36]
	v_not_b32_e32 v4, v36
	v_and_b32_e32 v2, exec_hi, v2
	v_ashrrev_i32_e32 v4, 31, v4
	v_and_b32_e32 v2, v2, v9
	v_xor_b32_e32 v9, s27, v4
	v_xor_b32_e32 v4, s26, v4
	v_lshlrev_b32_e32 v36, 28, v1
	v_and_b32_e32 v3, v3, v4
	v_cmp_gt_i64_e64 s[26:27], 0, v[35:36]
	v_not_b32_e32 v4, v36
	v_ashrrev_i32_e32 v4, 31, v4
	v_and_b32_e32 v2, v2, v9
	v_xor_b32_e32 v9, s27, v4
	v_xor_b32_e32 v4, s26, v4
	v_lshlrev_b32_e32 v36, 27, v1
	v_and_b32_e32 v3, v3, v4
	v_cmp_gt_i64_e64 s[26:27], 0, v[35:36]
	v_not_b32_e32 v4, v36
	;; [unrolled: 8-line block ×4, first 2 shown]
	v_ashrrev_i32_e32 v4, 31, v4
	v_lshlrev_b32_e32 v36, 24, v1
	v_and_b32_e32 v2, v2, v9
	v_xor_b32_e32 v9, s27, v4
	v_xor_b32_e32 v4, s26, v4
	v_cmp_gt_i64_e64 s[26:27], 0, v[35:36]
	v_not_b32_e32 v1, v36
	v_ashrrev_i32_e32 v1, 31, v1
	v_and_b32_e32 v3, v3, v4
	v_xor_b32_e32 v4, s27, v1
	v_xor_b32_e32 v1, s26, v1
	; wave barrier
	ds_read_b32 v7, v8 offset:8
	v_and_b32_e32 v2, v2, v9
	v_and_b32_e32 v1, v3, v1
	;; [unrolled: 1-line block ×3, first 2 shown]
	v_mbcnt_lo_u32_b32 v3, v1, 0
	v_mbcnt_hi_u32_b32 v9, v2, v3
	v_cmp_ne_u64_e64 s[26:27], 0, v[1:2]
	v_cmp_eq_u32_e64 s[28:29], 0, v9
	s_and_b64 s[28:29], s[28:29], s[26:27]
	; wave barrier
	s_and_saveexec_b64 s[26:27], s[28:29]
	s_cbranch_execz .LBB351_8
; %bb.7:                                ;   in Loop: Header=BB351_4 Depth=2
	v_bcnt_u32_b32 v1, v1, 0
	v_bcnt_u32_b32 v1, v2, v1
	s_waitcnt lgkmcnt(0)
	v_add_u32_e32 v1, v7, v1
	ds_write_b32 v8, v1 offset:8
.LBB351_8:                              ;   in Loop: Header=BB351_4 Depth=2
	s_or_b64 exec, exec, s[26:27]
	v_lshrrev_b32_e32 v2, s45, v61
	v_lshrrev_b32_e32 v1, s42, v62
	v_and_b32_e32 v2, s46, v2
	v_and_b32_e32 v1, s44, v1
	v_lshlrev_b32_e32 v2, s43, v2
	v_cndmask_b32_e64 v1, 0, v1, s[24:25]
	v_cndmask_b32_e32 v2, 0, v2, vcc
	v_or_b32_e32 v1, v1, v2
	v_lshlrev_b32_e32 v2, 3, v1
	v_add_u32_e32 v11, v75, v2
	v_and_b32_e32 v2, 1, v1
	v_add_co_u32_e64 v3, s[26:27], -1, v2
	v_addc_co_u32_e64 v4, s[26:27], 0, -1, s[26:27]
	v_cmp_ne_u32_e64 s[26:27], 0, v2
	v_lshlrev_b32_e32 v36, 30, v1
	v_xor_b32_e32 v2, s27, v4
	v_xor_b32_e32 v3, s26, v3
	v_cmp_gt_i64_e64 s[26:27], 0, v[35:36]
	v_not_b32_e32 v4, v36
	v_ashrrev_i32_e32 v4, 31, v4
	v_and_b32_e32 v3, exec_lo, v3
	v_xor_b32_e32 v12, s27, v4
	v_xor_b32_e32 v4, s26, v4
	v_lshlrev_b32_e32 v36, 29, v1
	v_and_b32_e32 v3, v3, v4
	v_cmp_gt_i64_e64 s[26:27], 0, v[35:36]
	v_not_b32_e32 v4, v36
	v_and_b32_e32 v2, exec_hi, v2
	v_ashrrev_i32_e32 v4, 31, v4
	v_and_b32_e32 v2, v2, v12
	v_xor_b32_e32 v12, s27, v4
	v_xor_b32_e32 v4, s26, v4
	v_lshlrev_b32_e32 v36, 28, v1
	v_and_b32_e32 v3, v3, v4
	v_cmp_gt_i64_e64 s[26:27], 0, v[35:36]
	v_not_b32_e32 v4, v36
	v_ashrrev_i32_e32 v4, 31, v4
	v_and_b32_e32 v2, v2, v12
	v_xor_b32_e32 v12, s27, v4
	v_xor_b32_e32 v4, s26, v4
	v_lshlrev_b32_e32 v36, 27, v1
	v_and_b32_e32 v3, v3, v4
	v_cmp_gt_i64_e64 s[26:27], 0, v[35:36]
	v_not_b32_e32 v4, v36
	;; [unrolled: 8-line block ×4, first 2 shown]
	v_ashrrev_i32_e32 v4, 31, v4
	v_lshlrev_b32_e32 v36, 24, v1
	v_and_b32_e32 v2, v2, v12
	v_xor_b32_e32 v12, s27, v4
	v_xor_b32_e32 v4, s26, v4
	v_cmp_gt_i64_e64 s[26:27], 0, v[35:36]
	v_not_b32_e32 v1, v36
	v_ashrrev_i32_e32 v1, 31, v1
	v_and_b32_e32 v3, v3, v4
	v_xor_b32_e32 v4, s27, v1
	v_xor_b32_e32 v1, s26, v1
	; wave barrier
	ds_read_b32 v10, v11 offset:8
	v_and_b32_e32 v2, v2, v12
	v_and_b32_e32 v1, v3, v1
	;; [unrolled: 1-line block ×3, first 2 shown]
	v_mbcnt_lo_u32_b32 v3, v1, 0
	v_mbcnt_hi_u32_b32 v12, v2, v3
	v_cmp_ne_u64_e64 s[26:27], 0, v[1:2]
	v_cmp_eq_u32_e64 s[28:29], 0, v12
	s_and_b64 s[28:29], s[28:29], s[26:27]
	; wave barrier
	s_and_saveexec_b64 s[26:27], s[28:29]
	s_cbranch_execz .LBB351_10
; %bb.9:                                ;   in Loop: Header=BB351_4 Depth=2
	v_bcnt_u32_b32 v1, v1, 0
	v_bcnt_u32_b32 v1, v2, v1
	s_waitcnt lgkmcnt(0)
	v_add_u32_e32 v1, v10, v1
	ds_write_b32 v11, v1 offset:8
.LBB351_10:                             ;   in Loop: Header=BB351_4 Depth=2
	s_or_b64 exec, exec, s[26:27]
	v_lshrrev_b32_e32 v2, s45, v59
	v_lshrrev_b32_e32 v1, s42, v60
	v_and_b32_e32 v2, s46, v2
	v_and_b32_e32 v1, s44, v1
	v_lshlrev_b32_e32 v2, s43, v2
	v_cndmask_b32_e64 v1, 0, v1, s[24:25]
	v_cndmask_b32_e32 v2, 0, v2, vcc
	v_or_b32_e32 v1, v1, v2
	v_lshlrev_b32_e32 v2, 3, v1
	v_add_u32_e32 v14, v75, v2
	v_and_b32_e32 v2, 1, v1
	v_add_co_u32_e64 v3, s[26:27], -1, v2
	v_addc_co_u32_e64 v4, s[26:27], 0, -1, s[26:27]
	v_cmp_ne_u32_e64 s[26:27], 0, v2
	v_lshlrev_b32_e32 v36, 30, v1
	v_xor_b32_e32 v2, s27, v4
	v_xor_b32_e32 v3, s26, v3
	v_cmp_gt_i64_e64 s[26:27], 0, v[35:36]
	v_not_b32_e32 v4, v36
	v_ashrrev_i32_e32 v4, 31, v4
	v_and_b32_e32 v3, exec_lo, v3
	v_xor_b32_e32 v15, s27, v4
	v_xor_b32_e32 v4, s26, v4
	v_lshlrev_b32_e32 v36, 29, v1
	v_and_b32_e32 v3, v3, v4
	v_cmp_gt_i64_e64 s[26:27], 0, v[35:36]
	v_not_b32_e32 v4, v36
	v_and_b32_e32 v2, exec_hi, v2
	v_ashrrev_i32_e32 v4, 31, v4
	v_and_b32_e32 v2, v2, v15
	v_xor_b32_e32 v15, s27, v4
	v_xor_b32_e32 v4, s26, v4
	v_lshlrev_b32_e32 v36, 28, v1
	v_and_b32_e32 v3, v3, v4
	v_cmp_gt_i64_e64 s[26:27], 0, v[35:36]
	v_not_b32_e32 v4, v36
	v_ashrrev_i32_e32 v4, 31, v4
	v_and_b32_e32 v2, v2, v15
	v_xor_b32_e32 v15, s27, v4
	v_xor_b32_e32 v4, s26, v4
	v_lshlrev_b32_e32 v36, 27, v1
	v_and_b32_e32 v3, v3, v4
	v_cmp_gt_i64_e64 s[26:27], 0, v[35:36]
	v_not_b32_e32 v4, v36
	;; [unrolled: 8-line block ×4, first 2 shown]
	v_ashrrev_i32_e32 v4, 31, v4
	v_lshlrev_b32_e32 v36, 24, v1
	v_and_b32_e32 v2, v2, v15
	v_xor_b32_e32 v15, s27, v4
	v_xor_b32_e32 v4, s26, v4
	v_cmp_gt_i64_e64 s[26:27], 0, v[35:36]
	v_not_b32_e32 v1, v36
	v_ashrrev_i32_e32 v1, 31, v1
	v_and_b32_e32 v3, v3, v4
	v_xor_b32_e32 v4, s27, v1
	v_xor_b32_e32 v1, s26, v1
	; wave barrier
	ds_read_b32 v13, v14 offset:8
	v_and_b32_e32 v2, v2, v15
	v_and_b32_e32 v1, v3, v1
	;; [unrolled: 1-line block ×3, first 2 shown]
	v_mbcnt_lo_u32_b32 v3, v1, 0
	v_mbcnt_hi_u32_b32 v15, v2, v3
	v_cmp_ne_u64_e64 s[26:27], 0, v[1:2]
	v_cmp_eq_u32_e64 s[28:29], 0, v15
	s_and_b64 s[28:29], s[28:29], s[26:27]
	; wave barrier
	s_and_saveexec_b64 s[26:27], s[28:29]
	s_cbranch_execz .LBB351_12
; %bb.11:                               ;   in Loop: Header=BB351_4 Depth=2
	v_bcnt_u32_b32 v1, v1, 0
	v_bcnt_u32_b32 v1, v2, v1
	s_waitcnt lgkmcnt(0)
	v_add_u32_e32 v1, v13, v1
	ds_write_b32 v14, v1 offset:8
.LBB351_12:                             ;   in Loop: Header=BB351_4 Depth=2
	s_or_b64 exec, exec, s[26:27]
	v_lshrrev_b32_e32 v2, s45, v57
	v_lshrrev_b32_e32 v1, s42, v58
	v_and_b32_e32 v2, s46, v2
	v_and_b32_e32 v1, s44, v1
	v_lshlrev_b32_e32 v2, s43, v2
	v_cndmask_b32_e64 v1, 0, v1, s[24:25]
	v_cndmask_b32_e32 v2, 0, v2, vcc
	v_or_b32_e32 v1, v1, v2
	v_lshlrev_b32_e32 v2, 3, v1
	v_add_u32_e32 v17, v75, v2
	v_and_b32_e32 v2, 1, v1
	v_add_co_u32_e64 v3, s[26:27], -1, v2
	v_addc_co_u32_e64 v4, s[26:27], 0, -1, s[26:27]
	v_cmp_ne_u32_e64 s[26:27], 0, v2
	v_lshlrev_b32_e32 v36, 30, v1
	v_xor_b32_e32 v2, s27, v4
	v_xor_b32_e32 v3, s26, v3
	v_cmp_gt_i64_e64 s[26:27], 0, v[35:36]
	v_not_b32_e32 v4, v36
	v_ashrrev_i32_e32 v4, 31, v4
	v_and_b32_e32 v3, exec_lo, v3
	v_xor_b32_e32 v18, s27, v4
	v_xor_b32_e32 v4, s26, v4
	v_lshlrev_b32_e32 v36, 29, v1
	v_and_b32_e32 v3, v3, v4
	v_cmp_gt_i64_e64 s[26:27], 0, v[35:36]
	v_not_b32_e32 v4, v36
	v_and_b32_e32 v2, exec_hi, v2
	v_ashrrev_i32_e32 v4, 31, v4
	v_and_b32_e32 v2, v2, v18
	v_xor_b32_e32 v18, s27, v4
	v_xor_b32_e32 v4, s26, v4
	v_lshlrev_b32_e32 v36, 28, v1
	v_and_b32_e32 v3, v3, v4
	v_cmp_gt_i64_e64 s[26:27], 0, v[35:36]
	v_not_b32_e32 v4, v36
	v_ashrrev_i32_e32 v4, 31, v4
	v_and_b32_e32 v2, v2, v18
	v_xor_b32_e32 v18, s27, v4
	v_xor_b32_e32 v4, s26, v4
	v_lshlrev_b32_e32 v36, 27, v1
	v_and_b32_e32 v3, v3, v4
	v_cmp_gt_i64_e64 s[26:27], 0, v[35:36]
	v_not_b32_e32 v4, v36
	;; [unrolled: 8-line block ×4, first 2 shown]
	v_ashrrev_i32_e32 v4, 31, v4
	v_lshlrev_b32_e32 v36, 24, v1
	v_and_b32_e32 v2, v2, v18
	v_xor_b32_e32 v18, s27, v4
	v_xor_b32_e32 v4, s26, v4
	v_cmp_gt_i64_e64 s[26:27], 0, v[35:36]
	v_not_b32_e32 v1, v36
	v_ashrrev_i32_e32 v1, 31, v1
	v_and_b32_e32 v3, v3, v4
	v_xor_b32_e32 v4, s27, v1
	v_xor_b32_e32 v1, s26, v1
	; wave barrier
	ds_read_b32 v16, v17 offset:8
	v_and_b32_e32 v2, v2, v18
	v_and_b32_e32 v1, v3, v1
	;; [unrolled: 1-line block ×3, first 2 shown]
	v_mbcnt_lo_u32_b32 v3, v1, 0
	v_mbcnt_hi_u32_b32 v18, v2, v3
	v_cmp_ne_u64_e64 s[26:27], 0, v[1:2]
	v_cmp_eq_u32_e64 s[28:29], 0, v18
	s_and_b64 s[28:29], s[28:29], s[26:27]
	; wave barrier
	s_and_saveexec_b64 s[26:27], s[28:29]
	s_cbranch_execz .LBB351_14
; %bb.13:                               ;   in Loop: Header=BB351_4 Depth=2
	v_bcnt_u32_b32 v1, v1, 0
	v_bcnt_u32_b32 v1, v2, v1
	s_waitcnt lgkmcnt(0)
	v_add_u32_e32 v1, v16, v1
	ds_write_b32 v17, v1 offset:8
.LBB351_14:                             ;   in Loop: Header=BB351_4 Depth=2
	s_or_b64 exec, exec, s[26:27]
	v_lshrrev_b32_e32 v2, s45, v55
	v_lshrrev_b32_e32 v1, s42, v56
	v_and_b32_e32 v2, s46, v2
	v_and_b32_e32 v1, s44, v1
	v_lshlrev_b32_e32 v2, s43, v2
	v_cndmask_b32_e64 v1, 0, v1, s[24:25]
	v_cndmask_b32_e32 v2, 0, v2, vcc
	v_or_b32_e32 v1, v1, v2
	v_lshlrev_b32_e32 v2, 3, v1
	v_add_u32_e32 v20, v75, v2
	v_and_b32_e32 v2, 1, v1
	v_add_co_u32_e64 v3, s[26:27], -1, v2
	v_addc_co_u32_e64 v4, s[26:27], 0, -1, s[26:27]
	v_cmp_ne_u32_e64 s[26:27], 0, v2
	v_lshlrev_b32_e32 v36, 30, v1
	v_xor_b32_e32 v2, s27, v4
	v_xor_b32_e32 v3, s26, v3
	v_cmp_gt_i64_e64 s[26:27], 0, v[35:36]
	v_not_b32_e32 v4, v36
	v_ashrrev_i32_e32 v4, 31, v4
	v_and_b32_e32 v3, exec_lo, v3
	v_xor_b32_e32 v21, s27, v4
	v_xor_b32_e32 v4, s26, v4
	v_lshlrev_b32_e32 v36, 29, v1
	v_and_b32_e32 v3, v3, v4
	v_cmp_gt_i64_e64 s[26:27], 0, v[35:36]
	v_not_b32_e32 v4, v36
	v_and_b32_e32 v2, exec_hi, v2
	v_ashrrev_i32_e32 v4, 31, v4
	v_and_b32_e32 v2, v2, v21
	v_xor_b32_e32 v21, s27, v4
	v_xor_b32_e32 v4, s26, v4
	v_lshlrev_b32_e32 v36, 28, v1
	v_and_b32_e32 v3, v3, v4
	v_cmp_gt_i64_e64 s[26:27], 0, v[35:36]
	v_not_b32_e32 v4, v36
	v_ashrrev_i32_e32 v4, 31, v4
	v_and_b32_e32 v2, v2, v21
	v_xor_b32_e32 v21, s27, v4
	v_xor_b32_e32 v4, s26, v4
	v_lshlrev_b32_e32 v36, 27, v1
	v_and_b32_e32 v3, v3, v4
	v_cmp_gt_i64_e64 s[26:27], 0, v[35:36]
	v_not_b32_e32 v4, v36
	;; [unrolled: 8-line block ×4, first 2 shown]
	v_ashrrev_i32_e32 v4, 31, v4
	v_lshlrev_b32_e32 v36, 24, v1
	v_and_b32_e32 v2, v2, v21
	v_xor_b32_e32 v21, s27, v4
	v_xor_b32_e32 v4, s26, v4
	v_cmp_gt_i64_e64 s[26:27], 0, v[35:36]
	v_not_b32_e32 v1, v36
	v_ashrrev_i32_e32 v1, 31, v1
	v_and_b32_e32 v3, v3, v4
	v_xor_b32_e32 v4, s27, v1
	v_xor_b32_e32 v1, s26, v1
	; wave barrier
	ds_read_b32 v19, v20 offset:8
	v_and_b32_e32 v2, v2, v21
	v_and_b32_e32 v1, v3, v1
	;; [unrolled: 1-line block ×3, first 2 shown]
	v_mbcnt_lo_u32_b32 v3, v1, 0
	v_mbcnt_hi_u32_b32 v21, v2, v3
	v_cmp_ne_u64_e64 s[26:27], 0, v[1:2]
	v_cmp_eq_u32_e64 s[28:29], 0, v21
	s_and_b64 s[28:29], s[28:29], s[26:27]
	; wave barrier
	s_and_saveexec_b64 s[26:27], s[28:29]
	s_cbranch_execz .LBB351_16
; %bb.15:                               ;   in Loop: Header=BB351_4 Depth=2
	v_bcnt_u32_b32 v1, v1, 0
	v_bcnt_u32_b32 v1, v2, v1
	s_waitcnt lgkmcnt(0)
	v_add_u32_e32 v1, v19, v1
	ds_write_b32 v20, v1 offset:8
.LBB351_16:                             ;   in Loop: Header=BB351_4 Depth=2
	s_or_b64 exec, exec, s[26:27]
	v_lshrrev_b32_e32 v2, s45, v53
	v_lshrrev_b32_e32 v1, s42, v54
	v_and_b32_e32 v2, s46, v2
	v_and_b32_e32 v1, s44, v1
	v_lshlrev_b32_e32 v2, s43, v2
	v_cndmask_b32_e64 v1, 0, v1, s[24:25]
	v_cndmask_b32_e32 v2, 0, v2, vcc
	v_or_b32_e32 v1, v1, v2
	v_lshlrev_b32_e32 v2, 3, v1
	v_add_u32_e32 v23, v75, v2
	v_and_b32_e32 v2, 1, v1
	v_add_co_u32_e64 v3, s[26:27], -1, v2
	v_addc_co_u32_e64 v4, s[26:27], 0, -1, s[26:27]
	v_cmp_ne_u32_e64 s[26:27], 0, v2
	v_lshlrev_b32_e32 v36, 30, v1
	v_xor_b32_e32 v2, s27, v4
	v_xor_b32_e32 v3, s26, v3
	v_cmp_gt_i64_e64 s[26:27], 0, v[35:36]
	v_not_b32_e32 v4, v36
	v_ashrrev_i32_e32 v4, 31, v4
	v_and_b32_e32 v3, exec_lo, v3
	v_xor_b32_e32 v24, s27, v4
	v_xor_b32_e32 v4, s26, v4
	v_lshlrev_b32_e32 v36, 29, v1
	v_and_b32_e32 v3, v3, v4
	v_cmp_gt_i64_e64 s[26:27], 0, v[35:36]
	v_not_b32_e32 v4, v36
	v_and_b32_e32 v2, exec_hi, v2
	v_ashrrev_i32_e32 v4, 31, v4
	v_and_b32_e32 v2, v2, v24
	v_xor_b32_e32 v24, s27, v4
	v_xor_b32_e32 v4, s26, v4
	v_lshlrev_b32_e32 v36, 28, v1
	v_and_b32_e32 v3, v3, v4
	v_cmp_gt_i64_e64 s[26:27], 0, v[35:36]
	v_not_b32_e32 v4, v36
	v_ashrrev_i32_e32 v4, 31, v4
	v_and_b32_e32 v2, v2, v24
	v_xor_b32_e32 v24, s27, v4
	v_xor_b32_e32 v4, s26, v4
	v_lshlrev_b32_e32 v36, 27, v1
	v_and_b32_e32 v3, v3, v4
	v_cmp_gt_i64_e64 s[26:27], 0, v[35:36]
	v_not_b32_e32 v4, v36
	;; [unrolled: 8-line block ×4, first 2 shown]
	v_ashrrev_i32_e32 v4, 31, v4
	v_lshlrev_b32_e32 v36, 24, v1
	v_and_b32_e32 v2, v2, v24
	v_xor_b32_e32 v24, s27, v4
	v_xor_b32_e32 v4, s26, v4
	v_cmp_gt_i64_e64 s[26:27], 0, v[35:36]
	v_not_b32_e32 v1, v36
	v_ashrrev_i32_e32 v1, 31, v1
	v_and_b32_e32 v3, v3, v4
	v_xor_b32_e32 v4, s27, v1
	v_xor_b32_e32 v1, s26, v1
	; wave barrier
	ds_read_b32 v22, v23 offset:8
	v_and_b32_e32 v2, v2, v24
	v_and_b32_e32 v1, v3, v1
	;; [unrolled: 1-line block ×3, first 2 shown]
	v_mbcnt_lo_u32_b32 v3, v1, 0
	v_mbcnt_hi_u32_b32 v24, v2, v3
	v_cmp_ne_u64_e64 s[26:27], 0, v[1:2]
	v_cmp_eq_u32_e64 s[28:29], 0, v24
	s_and_b64 s[28:29], s[28:29], s[26:27]
	; wave barrier
	s_and_saveexec_b64 s[26:27], s[28:29]
	s_cbranch_execz .LBB351_18
; %bb.17:                               ;   in Loop: Header=BB351_4 Depth=2
	v_bcnt_u32_b32 v1, v1, 0
	v_bcnt_u32_b32 v1, v2, v1
	s_waitcnt lgkmcnt(0)
	v_add_u32_e32 v1, v22, v1
	ds_write_b32 v23, v1 offset:8
.LBB351_18:                             ;   in Loop: Header=BB351_4 Depth=2
	s_or_b64 exec, exec, s[26:27]
	v_lshrrev_b32_e32 v2, s45, v51
	v_lshrrev_b32_e32 v1, s42, v52
	v_and_b32_e32 v2, s46, v2
	v_and_b32_e32 v1, s44, v1
	v_lshlrev_b32_e32 v2, s43, v2
	v_cndmask_b32_e64 v1, 0, v1, s[24:25]
	v_cndmask_b32_e32 v2, 0, v2, vcc
	v_or_b32_e32 v1, v1, v2
	v_lshlrev_b32_e32 v2, 3, v1
	v_add_u32_e32 v26, v75, v2
	v_and_b32_e32 v2, 1, v1
	v_add_co_u32_e32 v3, vcc, -1, v2
	v_addc_co_u32_e64 v4, s[24:25], 0, -1, vcc
	v_cmp_ne_u32_e32 vcc, 0, v2
	v_lshlrev_b32_e32 v36, 30, v1
	v_xor_b32_e32 v2, vcc_hi, v4
	v_xor_b32_e32 v3, vcc_lo, v3
	v_cmp_gt_i64_e32 vcc, 0, v[35:36]
	v_not_b32_e32 v4, v36
	v_ashrrev_i32_e32 v4, 31, v4
	v_and_b32_e32 v3, exec_lo, v3
	v_xor_b32_e32 v27, vcc_hi, v4
	v_xor_b32_e32 v4, vcc_lo, v4
	v_lshlrev_b32_e32 v36, 29, v1
	v_and_b32_e32 v3, v3, v4
	v_cmp_gt_i64_e32 vcc, 0, v[35:36]
	v_not_b32_e32 v4, v36
	v_and_b32_e32 v2, exec_hi, v2
	v_ashrrev_i32_e32 v4, 31, v4
	v_and_b32_e32 v2, v2, v27
	v_xor_b32_e32 v27, vcc_hi, v4
	v_xor_b32_e32 v4, vcc_lo, v4
	v_lshlrev_b32_e32 v36, 28, v1
	v_and_b32_e32 v3, v3, v4
	v_cmp_gt_i64_e32 vcc, 0, v[35:36]
	v_not_b32_e32 v4, v36
	v_ashrrev_i32_e32 v4, 31, v4
	v_and_b32_e32 v2, v2, v27
	v_xor_b32_e32 v27, vcc_hi, v4
	v_xor_b32_e32 v4, vcc_lo, v4
	v_lshlrev_b32_e32 v36, 27, v1
	v_and_b32_e32 v3, v3, v4
	v_cmp_gt_i64_e32 vcc, 0, v[35:36]
	v_not_b32_e32 v4, v36
	;; [unrolled: 8-line block ×4, first 2 shown]
	v_ashrrev_i32_e32 v4, 31, v4
	v_lshlrev_b32_e32 v36, 24, v1
	v_and_b32_e32 v2, v2, v27
	v_xor_b32_e32 v27, vcc_hi, v4
	v_xor_b32_e32 v4, vcc_lo, v4
	v_cmp_gt_i64_e32 vcc, 0, v[35:36]
	v_not_b32_e32 v1, v36
	v_ashrrev_i32_e32 v1, 31, v1
	v_and_b32_e32 v3, v3, v4
	v_xor_b32_e32 v4, vcc_hi, v1
	v_xor_b32_e32 v1, vcc_lo, v1
	; wave barrier
	ds_read_b32 v25, v26 offset:8
	v_and_b32_e32 v2, v2, v27
	v_and_b32_e32 v1, v3, v1
	;; [unrolled: 1-line block ×3, first 2 shown]
	v_mbcnt_lo_u32_b32 v3, v1, 0
	v_mbcnt_hi_u32_b32 v27, v2, v3
	v_cmp_ne_u64_e32 vcc, 0, v[1:2]
	v_cmp_eq_u32_e64 s[24:25], 0, v27
	s_and_b64 s[26:27], s[24:25], vcc
	; wave barrier
	s_and_saveexec_b64 s[24:25], s[26:27]
	s_cbranch_execz .LBB351_20
; %bb.19:                               ;   in Loop: Header=BB351_4 Depth=2
	v_bcnt_u32_b32 v1, v1, 0
	v_bcnt_u32_b32 v1, v2, v1
	s_waitcnt lgkmcnt(0)
	v_add_u32_e32 v1, v25, v1
	ds_write_b32 v26, v1 offset:8
.LBB351_20:                             ;   in Loop: Header=BB351_4 Depth=2
	s_or_b64 exec, exec, s[24:25]
	; wave barrier
	s_waitcnt lgkmcnt(0)
	s_barrier
	ds_read2_b64 v[1:4], v67 offset0:1 offset1:2
	s_waitcnt lgkmcnt(0)
	v_add_u32_e32 v28, v2, v1
	v_add3_u32 v4, v28, v3, v4
	s_nop 1
	v_mov_b32_dpp v28, v4 row_shr:1 row_mask:0xf bank_mask:0xf
	v_cndmask_b32_e64 v28, v28, 0, s[10:11]
	v_add_u32_e32 v4, v28, v4
	s_nop 1
	v_mov_b32_dpp v28, v4 row_shr:2 row_mask:0xf bank_mask:0xf
	v_cndmask_b32_e64 v28, 0, v28, s[12:13]
	v_add_u32_e32 v4, v4, v28
	;; [unrolled: 4-line block ×4, first 2 shown]
	s_nop 1
	v_mov_b32_dpp v28, v4 row_bcast:15 row_mask:0xf bank_mask:0xf
	v_cndmask_b32_e64 v28, v28, 0, s[18:19]
	v_add_u32_e32 v4, v4, v28
	s_nop 1
	v_mov_b32_dpp v28, v4 row_bcast:31 row_mask:0xf bank_mask:0xf
	v_cndmask_b32_e64 v28, 0, v28, s[6:7]
	v_add_u32_e32 v4, v4, v28
	s_and_saveexec_b64 s[24:25], s[20:21]
; %bb.21:                               ;   in Loop: Header=BB351_4 Depth=2
	ds_write_b32 v69, v4
; %bb.22:                               ;   in Loop: Header=BB351_4 Depth=2
	s_or_b64 exec, exec, s[24:25]
	s_waitcnt lgkmcnt(0)
	s_barrier
	s_and_saveexec_b64 s[24:25], s[0:1]
	s_cbranch_execz .LBB351_24
; %bb.23:                               ;   in Loop: Header=BB351_4 Depth=2
	ds_read_b32 v28, v70
	s_waitcnt lgkmcnt(0)
	s_nop 0
	v_mov_b32_dpp v29, v28 row_shr:1 row_mask:0xf bank_mask:0xf
	v_cndmask_b32_e64 v29, v29, 0, s[22:23]
	v_add_u32_e32 v28, v29, v28
	ds_write_b32 v70, v28
.LBB351_24:                             ;   in Loop: Header=BB351_4 Depth=2
	s_or_b64 exec, exec, s[24:25]
	v_mov_b32_e32 v28, 0
	s_waitcnt lgkmcnt(0)
	s_barrier
	s_and_saveexec_b64 s[24:25], s[2:3]
; %bb.25:                               ;   in Loop: Header=BB351_4 Depth=2
	ds_read_b32 v28, v72
; %bb.26:                               ;   in Loop: Header=BB351_4 Depth=2
	s_or_b64 exec, exec, s[24:25]
	s_waitcnt lgkmcnt(0)
	v_add_u32_e32 v4, v28, v4
	ds_bpermute_b32 v4, v74, v4
	v_lshlrev_b32_e32 v5, 3, v5
	s_cmp_gt_u32 s42, 55
	s_mov_b64 s[24:25], -1
	s_waitcnt lgkmcnt(0)
	v_cndmask_b32_e64 v4, v4, v28, s[8:9]
	v_cndmask_b32_e64 v28, v4, 0, s[4:5]
	v_add_u32_e32 v29, v28, v1
	v_add_u32_e32 v1, v29, v2
	;; [unrolled: 1-line block ×3, first 2 shown]
	ds_write2_b64 v67, v[28:29], v[1:2] offset0:1 offset1:2
	s_waitcnt lgkmcnt(0)
	s_barrier
	ds_read_b32 v1, v6 offset:8
	ds_read_b32 v2, v8 offset:8
	;; [unrolled: 1-line block ×8, first 2 shown]
	s_waitcnt lgkmcnt(7)
	v_lshl_add_u32 v36, v1, 3, v5
	v_lshlrev_b32_e32 v1, 3, v9
	v_lshlrev_b32_e32 v5, 3, v7
	s_waitcnt lgkmcnt(6)
	v_lshlrev_b32_e32 v2, 3, v2
	v_add3_u32 v76, v1, v5, v2
	v_lshlrev_b32_e32 v1, 3, v12
	v_lshlrev_b32_e32 v2, 3, v10
	s_waitcnt lgkmcnt(5)
	v_lshlrev_b32_e32 v3, 3, v3
	v_add3_u32 v77, v1, v2, v3
	v_lshlrev_b32_e32 v1, 3, v15
	v_lshlrev_b32_e32 v2, 3, v13
	s_waitcnt lgkmcnt(4)
	v_lshlrev_b32_e32 v3, 3, v4
	v_add3_u32 v78, v1, v2, v3
	v_lshlrev_b32_e32 v1, 3, v18
	v_lshlrev_b32_e32 v2, 3, v16
	s_waitcnt lgkmcnt(3)
	v_lshlrev_b32_e32 v3, 3, v6
	v_add3_u32 v79, v1, v2, v3
	v_lshlrev_b32_e32 v1, 3, v21
	v_lshlrev_b32_e32 v2, 3, v19
	s_waitcnt lgkmcnt(2)
	v_lshlrev_b32_e32 v3, 3, v8
	v_add3_u32 v80, v1, v2, v3
	v_lshlrev_b32_e32 v1, 3, v24
	v_lshlrev_b32_e32 v2, 3, v22
	s_waitcnt lgkmcnt(1)
	v_lshlrev_b32_e32 v3, 3, v11
	v_add3_u32 v81, v1, v2, v3
	v_lshlrev_b32_e32 v1, 3, v27
	v_lshlrev_b32_e32 v2, 3, v25
	s_waitcnt lgkmcnt(0)
	v_lshlrev_b32_e32 v3, 3, v14
	v_add3_u32 v82, v1, v2, v3
                                        ; implicit-def: $vgpr17_vgpr18
                                        ; implicit-def: $vgpr21_vgpr22
                                        ; implicit-def: $vgpr25_vgpr26
                                        ; implicit-def: $vgpr29_vgpr30
                                        ; implicit-def: $vgpr1_vgpr2
                                        ; implicit-def: $vgpr5_vgpr6
                                        ; implicit-def: $vgpr9_vgpr10
                                        ; implicit-def: $vgpr13_vgpr14
	s_cbranch_scc1 .LBB351_3
; %bb.27:                               ;   in Loop: Header=BB351_4 Depth=2
	s_barrier
	ds_write_b64 v36, v[65:66]
	ds_write_b64 v76, v[63:64]
	;; [unrolled: 1-line block ×8, first 2 shown]
	s_waitcnt lgkmcnt(0)
	s_barrier
	ds_read2st64_b64 v[1:4], v71 offset1:1
	ds_read2st64_b64 v[5:8], v71 offset0:2 offset1:3
	ds_read2st64_b64 v[9:12], v71 offset0:4 offset1:5
	;; [unrolled: 1-line block ×3, first 2 shown]
	s_waitcnt lgkmcnt(0)
	s_barrier
	ds_write_b64 v36, v[49:50]
	ds_write_b64 v76, v[47:48]
	ds_write_b64 v77, v[45:46]
	ds_write_b64 v78, v[43:44]
	ds_write_b64 v79, v[41:42]
	ds_write_b64 v80, v[39:40]
	ds_write_b64 v81, v[37:38]
	ds_write_b64 v82, v[33:34]
	s_waitcnt lgkmcnt(0)
	s_barrier
	ds_read2st64_b64 v[17:20], v71 offset1:1
	ds_read2st64_b64 v[21:24], v71 offset0:2 offset1:3
	ds_read2st64_b64 v[25:28], v71 offset0:4 offset1:5
	;; [unrolled: 1-line block ×3, first 2 shown]
	s_add_i32 s41, s41, -8
	s_add_i32 s40, s40, 8
	s_add_i32 s42, s42, 8
	s_mov_b64 s[24:25], 0
	s_waitcnt lgkmcnt(0)
	s_barrier
	s_branch .LBB351_3
.LBB351_28:
	s_add_u32 s0, s30, s34
	s_addc_u32 s1, s31, s35
	v_lshlrev_b32_e32 v0, 3, v0
	s_waitcnt lgkmcnt(3)
	v_add_u32_e32 v1, v3, v19
	v_add_u32_e32 v2, v4, v20
	v_add_u32_e32 v3, v5, v21
	v_add_u32_e32 v4, v6, v22
	s_waitcnt lgkmcnt(2)
	v_add_u32_e32 v5, v7, v23
	v_add_u32_e32 v6, v8, v24
	v_add_u32_e32 v7, v9, v25
	v_add_u32_e32 v8, v10, v26
	;; [unrolled: 5-line block ×4, first 2 shown]
	v_mov_b32_e32 v17, s1
	v_add_co_u32_e32 v18, vcc, s0, v0
	v_addc_co_u32_e32 v17, vcc, 0, v17, vcc
	global_store_dwordx2 v0, v[1:2], s[0:1]
	global_store_dwordx2 v0, v[3:4], s[0:1] offset:1024
	global_store_dwordx2 v0, v[5:6], s[0:1] offset:2048
	;; [unrolled: 1-line block ×3, first 2 shown]
	s_movk_i32 s0, 0x1000
	v_add_co_u32_e32 v0, vcc, s0, v18
	v_addc_co_u32_e32 v1, vcc, 0, v17, vcc
	global_store_dwordx2 v[0:1], v[9:10], off
	global_store_dwordx2 v[0:1], v[11:12], off offset:1024
	global_store_dwordx2 v[0:1], v[13:14], off offset:2048
	;; [unrolled: 1-line block ×3, first 2 shown]
	s_endpgm
	.section	.rodata,"a",@progbits
	.p2align	6, 0x0
	.amdhsa_kernel _Z17sort_pairs_kernelI22helper_blocked_stripedN15benchmark_utils11custom_typeIiiEELj128ELj8ELj10EEvPKT0_PS4_
		.amdhsa_group_segment_fixed_size 8192
		.amdhsa_private_segment_fixed_size 0
		.amdhsa_kernarg_size 272
		.amdhsa_user_sgpr_count 6
		.amdhsa_user_sgpr_private_segment_buffer 1
		.amdhsa_user_sgpr_dispatch_ptr 0
		.amdhsa_user_sgpr_queue_ptr 0
		.amdhsa_user_sgpr_kernarg_segment_ptr 1
		.amdhsa_user_sgpr_dispatch_id 0
		.amdhsa_user_sgpr_flat_scratch_init 0
		.amdhsa_user_sgpr_private_segment_size 0
		.amdhsa_uses_dynamic_stack 0
		.amdhsa_system_sgpr_private_segment_wavefront_offset 0
		.amdhsa_system_sgpr_workgroup_id_x 1
		.amdhsa_system_sgpr_workgroup_id_y 0
		.amdhsa_system_sgpr_workgroup_id_z 0
		.amdhsa_system_sgpr_workgroup_info 0
		.amdhsa_system_vgpr_workitem_id 2
		.amdhsa_next_free_vgpr 83
		.amdhsa_next_free_sgpr 98
		.amdhsa_reserve_vcc 1
		.amdhsa_reserve_flat_scratch 0
		.amdhsa_float_round_mode_32 0
		.amdhsa_float_round_mode_16_64 0
		.amdhsa_float_denorm_mode_32 3
		.amdhsa_float_denorm_mode_16_64 3
		.amdhsa_dx10_clamp 1
		.amdhsa_ieee_mode 1
		.amdhsa_fp16_overflow 0
		.amdhsa_exception_fp_ieee_invalid_op 0
		.amdhsa_exception_fp_denorm_src 0
		.amdhsa_exception_fp_ieee_div_zero 0
		.amdhsa_exception_fp_ieee_overflow 0
		.amdhsa_exception_fp_ieee_underflow 0
		.amdhsa_exception_fp_ieee_inexact 0
		.amdhsa_exception_int_div_zero 0
	.end_amdhsa_kernel
	.section	.text._Z17sort_pairs_kernelI22helper_blocked_stripedN15benchmark_utils11custom_typeIiiEELj128ELj8ELj10EEvPKT0_PS4_,"axG",@progbits,_Z17sort_pairs_kernelI22helper_blocked_stripedN15benchmark_utils11custom_typeIiiEELj128ELj8ELj10EEvPKT0_PS4_,comdat
.Lfunc_end351:
	.size	_Z17sort_pairs_kernelI22helper_blocked_stripedN15benchmark_utils11custom_typeIiiEELj128ELj8ELj10EEvPKT0_PS4_, .Lfunc_end351-_Z17sort_pairs_kernelI22helper_blocked_stripedN15benchmark_utils11custom_typeIiiEELj128ELj8ELj10EEvPKT0_PS4_
                                        ; -- End function
	.set _Z17sort_pairs_kernelI22helper_blocked_stripedN15benchmark_utils11custom_typeIiiEELj128ELj8ELj10EEvPKT0_PS4_.num_vgpr, 83
	.set _Z17sort_pairs_kernelI22helper_blocked_stripedN15benchmark_utils11custom_typeIiiEELj128ELj8ELj10EEvPKT0_PS4_.num_agpr, 0
	.set _Z17sort_pairs_kernelI22helper_blocked_stripedN15benchmark_utils11custom_typeIiiEELj128ELj8ELj10EEvPKT0_PS4_.numbered_sgpr, 47
	.set _Z17sort_pairs_kernelI22helper_blocked_stripedN15benchmark_utils11custom_typeIiiEELj128ELj8ELj10EEvPKT0_PS4_.num_named_barrier, 0
	.set _Z17sort_pairs_kernelI22helper_blocked_stripedN15benchmark_utils11custom_typeIiiEELj128ELj8ELj10EEvPKT0_PS4_.private_seg_size, 0
	.set _Z17sort_pairs_kernelI22helper_blocked_stripedN15benchmark_utils11custom_typeIiiEELj128ELj8ELj10EEvPKT0_PS4_.uses_vcc, 1
	.set _Z17sort_pairs_kernelI22helper_blocked_stripedN15benchmark_utils11custom_typeIiiEELj128ELj8ELj10EEvPKT0_PS4_.uses_flat_scratch, 0
	.set _Z17sort_pairs_kernelI22helper_blocked_stripedN15benchmark_utils11custom_typeIiiEELj128ELj8ELj10EEvPKT0_PS4_.has_dyn_sized_stack, 0
	.set _Z17sort_pairs_kernelI22helper_blocked_stripedN15benchmark_utils11custom_typeIiiEELj128ELj8ELj10EEvPKT0_PS4_.has_recursion, 0
	.set _Z17sort_pairs_kernelI22helper_blocked_stripedN15benchmark_utils11custom_typeIiiEELj128ELj8ELj10EEvPKT0_PS4_.has_indirect_call, 0
	.section	.AMDGPU.csdata,"",@progbits
; Kernel info:
; codeLenInByte = 5740
; TotalNumSgprs: 51
; NumVgprs: 83
; ScratchSize: 0
; MemoryBound: 0
; FloatMode: 240
; IeeeMode: 1
; LDSByteSize: 8192 bytes/workgroup (compile time only)
; SGPRBlocks: 12
; VGPRBlocks: 20
; NumSGPRsForWavesPerEU: 102
; NumVGPRsForWavesPerEU: 83
; Occupancy: 3
; WaveLimiterHint : 1
; COMPUTE_PGM_RSRC2:SCRATCH_EN: 0
; COMPUTE_PGM_RSRC2:USER_SGPR: 6
; COMPUTE_PGM_RSRC2:TRAP_HANDLER: 0
; COMPUTE_PGM_RSRC2:TGID_X_EN: 1
; COMPUTE_PGM_RSRC2:TGID_Y_EN: 0
; COMPUTE_PGM_RSRC2:TGID_Z_EN: 0
; COMPUTE_PGM_RSRC2:TIDIG_COMP_CNT: 2
	.section	.text._Z16sort_keys_kernelI22helper_blocked_stripedN15benchmark_utils11custom_typeIiiEELj192ELj1ELj10EEvPKT0_PS4_,"axG",@progbits,_Z16sort_keys_kernelI22helper_blocked_stripedN15benchmark_utils11custom_typeIiiEELj192ELj1ELj10EEvPKT0_PS4_,comdat
	.protected	_Z16sort_keys_kernelI22helper_blocked_stripedN15benchmark_utils11custom_typeIiiEELj192ELj1ELj10EEvPKT0_PS4_ ; -- Begin function _Z16sort_keys_kernelI22helper_blocked_stripedN15benchmark_utils11custom_typeIiiEELj192ELj1ELj10EEvPKT0_PS4_
	.globl	_Z16sort_keys_kernelI22helper_blocked_stripedN15benchmark_utils11custom_typeIiiEELj192ELj1ELj10EEvPKT0_PS4_
	.p2align	8
	.type	_Z16sort_keys_kernelI22helper_blocked_stripedN15benchmark_utils11custom_typeIiiEELj192ELj1ELj10EEvPKT0_PS4_,@function
_Z16sort_keys_kernelI22helper_blocked_stripedN15benchmark_utils11custom_typeIiiEELj192ELj1ELj10EEvPKT0_PS4_: ; @_Z16sort_keys_kernelI22helper_blocked_stripedN15benchmark_utils11custom_typeIiiEELj192ELj1ELj10EEvPKT0_PS4_
; %bb.0:
	s_load_dwordx4 s[28:31], s[4:5], 0x0
	s_load_dword s24, s[4:5], 0x1c
	s_mul_i32 s0, s6, 0xc0
	s_mov_b32 s1, 0
	s_lshl_b64 s[34:35], s[0:1], 3
	s_waitcnt lgkmcnt(0)
	s_add_u32 s0, s28, s34
	s_addc_u32 s1, s29, s35
	v_lshlrev_b32_e32 v3, 3, v0
	global_load_dwordx2 v[3:4], v3, s[0:1]
	v_mbcnt_lo_u32_b32 v5, -1, 0
	v_mbcnt_hi_u32_b32 v5, -1, v5
	v_subrev_co_u32_e64 v23, s[6:7], 1, v5
	v_and_b32_e32 v24, 64, v5
	v_lshrrev_b32_e32 v7, 4, v0
	v_cmp_lt_i32_e64 s[22:23], v23, v24
	v_and_b32_e32 v19, 12, v7
	v_cndmask_b32_e64 v7, v23, v5, s[22:23]
	s_lshr_b32 s22, s24, 16
	s_and_b32 s23, s24, 0xffff
	v_mad_u32_u24 v1, v2, s22, v1
	v_mad_u64_u32 v[1:2], s[22:23], v1, s23, v[0:1]
	v_and_b32_e32 v6, 0xc0, v0
	v_lshlrev_b32_e32 v18, 4, v0
	v_and_b32_e32 v21, 15, v5
	v_lshlrev_b32_e32 v26, 3, v6
	v_min_u32_e32 v6, 0x80, v6
	v_lshlrev_b32_e32 v8, 2, v0
	v_and_b32_e32 v22, 16, v5
	v_cmp_lt_u32_e64 s[4:5], 31, v5
	v_and_b32_e32 v25, 3, v5
	v_mad_i32_i24 v20, v0, -12, v18
	v_cmp_eq_u32_e64 s[8:9], 0, v21
	v_cmp_lt_u32_e64 s[10:11], 1, v21
	v_cmp_lt_u32_e64 s[12:13], 3, v21
	v_cmp_lt_u32_e64 s[14:15], 7, v21
	v_lshl_add_u32 v21, v5, 3, v26
	v_or_b32_e32 v5, 63, v6
	v_lshrrev_b32_e32 v1, 4, v1
	s_mov_b32 s28, 10
	s_movk_i32 s29, 0xff
	v_mov_b32_e32 v9, 12
	v_mov_b32_e32 v10, 1
	;; [unrolled: 1-line block ×9, first 2 shown]
	v_cmp_gt_u32_e32 vcc, 3, v0
	v_cmp_lt_u32_e64 s[0:1], 63, v0
	v_cmp_eq_u32_e64 s[2:3], 0, v0
	v_cmp_eq_u32_e64 s[16:17], 0, v22
	;; [unrolled: 1-line block ×3, first 2 shown]
	v_cmp_lt_u32_e64 s[20:21], 1, v25
	v_add_u32_e32 v22, v20, v8
	v_add_u32_e32 v23, -4, v19
	v_cmp_eq_u32_e64 s[22:23], v0, v5
	v_lshlrev_b32_e32 v24, 2, v7
	v_and_b32_e32 v25, 0xffffffc, v1
	v_mov_b32_e32 v1, 0
	s_waitcnt vmcnt(0)
	v_xor_b32_e32 v3, 0x80000000, v3
	v_xor_b32_e32 v4, 0x80000000, v4
	s_branch .LBB352_2
.LBB352_1:                              ;   in Loop: Header=BB352_2 Depth=1
	s_or_b64 exec, exec, s[24:25]
	s_waitcnt lgkmcnt(0)
	v_add_u32_e32 v6, v27, v6
	ds_bpermute_b32 v6, v24, v6
	v_lshlrev_b32_e32 v2, 3, v2
	s_add_i32 s28, s28, -1
	s_cmp_eq_u32 s28, 0
	s_waitcnt lgkmcnt(0)
	v_cndmask_b32_e64 v6, v6, v27, s[6:7]
	v_cndmask_b32_e64 v6, v6, 0, s[2:3]
	v_add_u32_e32 v7, v6, v7
	v_add_u32_e32 v8, v7, v8
	;; [unrolled: 1-line block ×3, first 2 shown]
	ds_write2_b32 v18, v6, v7 offset0:3 offset1:4
	ds_write2_b32 v18, v8, v5 offset0:5 offset1:6
	s_waitcnt lgkmcnt(0)
	s_barrier
	ds_read_b32 v5, v26 offset:12
	s_waitcnt lgkmcnt(0)
	s_barrier
	v_lshl_add_u32 v2, v5, 3, v2
	ds_write_b64 v2, v[3:4]
	s_waitcnt lgkmcnt(0)
	s_barrier
	ds_read_b64 v[3:4], v22
	s_cbranch_scc1 .LBB352_66
.LBB352_2:                              ; =>This Inner Loop Header: Depth=1
	s_waitcnt lgkmcnt(0)
	v_and_b32_e32 v2, 1, v4
	v_add_co_u32_e64 v5, s[24:25], -1, v2
	v_addc_co_u32_e64 v6, s[24:25], 0, -1, s[24:25]
	v_cmp_ne_u32_e64 s[24:25], 0, v2
	v_xor_b32_e32 v2, s25, v6
	v_and_b32_e32 v6, exec_hi, v2
	v_lshlrev_b32_e32 v2, 30, v4
	v_xor_b32_e32 v5, s24, v5
	v_cmp_gt_i64_e64 s[24:25], 0, v[1:2]
	v_not_b32_e32 v2, v2
	v_ashrrev_i32_e32 v2, 31, v2
	v_and_b32_e32 v5, exec_lo, v5
	v_xor_b32_e32 v8, s25, v2
	v_xor_b32_e32 v2, s24, v2
	v_and_b32_e32 v5, v5, v2
	v_lshlrev_b32_e32 v2, 29, v4
	v_cmp_gt_i64_e64 s[24:25], 0, v[1:2]
	v_not_b32_e32 v2, v2
	v_ashrrev_i32_e32 v2, 31, v2
	v_and_b32_e32 v6, v6, v8
	v_xor_b32_e32 v8, s25, v2
	v_xor_b32_e32 v2, s24, v2
	v_and_b32_e32 v5, v5, v2
	v_lshlrev_b32_e32 v2, 28, v4
	v_cmp_gt_i64_e64 s[24:25], 0, v[1:2]
	v_not_b32_e32 v2, v2
	v_ashrrev_i32_e32 v2, 31, v2
	v_and_b32_e32 v6, v6, v8
	;; [unrolled: 8-line block ×6, first 2 shown]
	v_xor_b32_e32 v8, s25, v2
	v_xor_b32_e32 v2, s24, v2
	v_and_b32_e32 v5, v5, v2
	v_and_b32_e32 v6, v6, v8
	v_mbcnt_lo_u32_b32 v2, v5, 0
	v_mbcnt_hi_u32_b32 v2, v6, v2
	v_cmp_ne_u64_e64 s[24:25], 0, v[5:6]
	v_mul_u32_u24_sdwa v7, v4, v9 dst_sel:DWORD dst_unused:UNUSED_PAD src0_sel:BYTE_0 src1_sel:DWORD
	v_cmp_eq_u32_e64 s[26:27], 0, v2
	s_and_b64 s[26:27], s[26:27], s[24:25]
	v_add_u32_e32 v26, v25, v7
	ds_write2_b32 v18, v1, v1 offset0:3 offset1:4
	ds_write2_b32 v18, v1, v1 offset0:5 offset1:6
	s_waitcnt lgkmcnt(0)
	s_barrier
	; wave barrier
	s_and_saveexec_b64 s[24:25], s[26:27]
; %bb.3:                                ;   in Loop: Header=BB352_2 Depth=1
	v_bcnt_u32_b32 v5, v5, 0
	v_bcnt_u32_b32 v5, v6, v5
	ds_write_b32 v26, v5 offset:12
; %bb.4:                                ;   in Loop: Header=BB352_2 Depth=1
	s_or_b64 exec, exec, s[24:25]
	; wave barrier
	s_waitcnt lgkmcnt(0)
	s_barrier
	ds_read2_b32 v[7:8], v18 offset0:3 offset1:4
	ds_read2_b32 v[5:6], v18 offset0:5 offset1:6
	s_waitcnt lgkmcnt(1)
	v_add_u32_e32 v27, v8, v7
	s_waitcnt lgkmcnt(0)
	v_add3_u32 v6, v27, v5, v6
	s_nop 1
	v_mov_b32_dpp v27, v6 row_shr:1 row_mask:0xf bank_mask:0xf
	v_cndmask_b32_e64 v27, v27, 0, s[8:9]
	v_add_u32_e32 v6, v27, v6
	s_nop 1
	v_mov_b32_dpp v27, v6 row_shr:2 row_mask:0xf bank_mask:0xf
	v_cndmask_b32_e64 v27, 0, v27, s[10:11]
	v_add_u32_e32 v6, v6, v27
	;; [unrolled: 4-line block ×4, first 2 shown]
	s_nop 1
	v_mov_b32_dpp v27, v6 row_bcast:15 row_mask:0xf bank_mask:0xf
	v_cndmask_b32_e64 v27, v27, 0, s[16:17]
	v_add_u32_e32 v6, v6, v27
	s_nop 1
	v_mov_b32_dpp v27, v6 row_bcast:31 row_mask:0xf bank_mask:0xf
	v_cndmask_b32_e64 v27, 0, v27, s[4:5]
	v_add_u32_e32 v6, v6, v27
	s_and_saveexec_b64 s[24:25], s[22:23]
; %bb.5:                                ;   in Loop: Header=BB352_2 Depth=1
	ds_write_b32 v19, v6
; %bb.6:                                ;   in Loop: Header=BB352_2 Depth=1
	s_or_b64 exec, exec, s[24:25]
	s_waitcnt lgkmcnt(0)
	s_barrier
	s_and_saveexec_b64 s[24:25], vcc
	s_cbranch_execz .LBB352_8
; %bb.7:                                ;   in Loop: Header=BB352_2 Depth=1
	ds_read_b32 v27, v20
	s_waitcnt lgkmcnt(0)
	s_nop 0
	v_mov_b32_dpp v28, v27 row_shr:1 row_mask:0xf bank_mask:0xf
	v_cndmask_b32_e64 v28, v28, 0, s[18:19]
	v_add_u32_e32 v27, v28, v27
	s_nop 1
	v_mov_b32_dpp v28, v27 row_shr:2 row_mask:0xf bank_mask:0xf
	v_cndmask_b32_e64 v28, 0, v28, s[20:21]
	v_add_u32_e32 v27, v27, v28
	ds_write_b32 v20, v27
.LBB352_8:                              ;   in Loop: Header=BB352_2 Depth=1
	s_or_b64 exec, exec, s[24:25]
	v_mov_b32_e32 v27, 0
	s_waitcnt lgkmcnt(0)
	s_barrier
	s_and_saveexec_b64 s[24:25], s[0:1]
; %bb.9:                                ;   in Loop: Header=BB352_2 Depth=1
	ds_read_b32 v27, v23
; %bb.10:                               ;   in Loop: Header=BB352_2 Depth=1
	s_or_b64 exec, exec, s[24:25]
	s_waitcnt lgkmcnt(0)
	v_add_u32_e32 v6, v27, v6
	ds_bpermute_b32 v6, v24, v6
	v_lshlrev_b32_e32 v2, 3, v2
	s_waitcnt lgkmcnt(0)
	v_cndmask_b32_e64 v6, v6, v27, s[6:7]
	v_cndmask_b32_e64 v6, v6, 0, s[2:3]
	v_add_u32_e32 v7, v6, v7
	v_add_u32_e32 v8, v7, v8
	;; [unrolled: 1-line block ×3, first 2 shown]
	ds_write2_b32 v18, v6, v7 offset0:3 offset1:4
	ds_write2_b32 v18, v8, v5 offset0:5 offset1:6
	s_waitcnt lgkmcnt(0)
	s_barrier
	ds_read_b32 v5, v26 offset:12
	s_waitcnt lgkmcnt(0)
	s_barrier
	v_lshl_add_u32 v2, v5, 3, v2
	ds_write_b64 v2, v[3:4]
	s_waitcnt lgkmcnt(0)
	s_barrier
	ds_read_b64 v[3:4], v21
	s_waitcnt lgkmcnt(0)
	s_barrier
	ds_write2_b32 v18, v1, v1 offset0:3 offset1:4
	ds_write2_b32 v18, v1, v1 offset0:5 offset1:6
	v_lshrrev_b32_e32 v5, 8, v4
	v_and_b32_e32 v2, 1, v5
	v_add_co_u32_e64 v6, s[24:25], -1, v2
	v_addc_co_u32_e64 v8, s[24:25], 0, -1, s[24:25]
	v_cmp_ne_u32_e64 s[24:25], 0, v2
	v_xor_b32_e32 v2, s25, v8
	v_and_b32_e32 v8, exec_hi, v2
	v_lshlrev_b32_e32 v2, 30, v5
	v_xor_b32_e32 v6, s24, v6
	v_cmp_gt_i64_e64 s[24:25], 0, v[1:2]
	v_not_b32_e32 v2, v2
	v_ashrrev_i32_e32 v2, 31, v2
	v_and_b32_e32 v6, exec_lo, v6
	v_xor_b32_e32 v26, s25, v2
	v_xor_b32_e32 v2, s24, v2
	v_and_b32_e32 v6, v6, v2
	v_lshlrev_b32_e32 v2, 29, v5
	v_cmp_gt_i64_e64 s[24:25], 0, v[1:2]
	v_not_b32_e32 v2, v2
	v_ashrrev_i32_e32 v2, 31, v2
	v_and_b32_e32 v8, v8, v26
	v_xor_b32_e32 v26, s25, v2
	v_xor_b32_e32 v2, s24, v2
	v_and_b32_e32 v6, v6, v2
	v_lshlrev_b32_e32 v2, 28, v5
	v_cmp_gt_i64_e64 s[24:25], 0, v[1:2]
	v_not_b32_e32 v2, v2
	v_ashrrev_i32_e32 v2, 31, v2
	v_and_b32_e32 v8, v8, v26
	;; [unrolled: 8-line block ×5, first 2 shown]
	v_xor_b32_e32 v26, s25, v2
	v_xor_b32_e32 v2, s24, v2
	v_and_b32_e32 v8, v8, v26
	v_and_b32_e32 v26, v6, v2
	v_lshlrev_b32_e32 v2, 24, v5
	v_cmp_gt_i64_e64 s[24:25], 0, v[1:2]
	v_not_b32_e32 v2, v2
	v_ashrrev_i32_e32 v2, 31, v2
	v_mul_u32_u24_sdwa v7, v5, v9 dst_sel:DWORD dst_unused:UNUSED_PAD src0_sel:BYTE_0 src1_sel:DWORD
	v_xor_b32_e32 v5, s25, v2
	v_xor_b32_e32 v2, s24, v2
	v_and_b32_e32 v6, v8, v5
	v_and_b32_e32 v5, v26, v2
	v_mbcnt_lo_u32_b32 v2, v5, 0
	v_mbcnt_hi_u32_b32 v2, v6, v2
	v_cmp_ne_u64_e64 s[24:25], 0, v[5:6]
	v_cmp_eq_u32_e64 s[26:27], 0, v2
	s_and_b64 s[26:27], s[26:27], s[24:25]
	v_add_u32_e32 v26, v25, v7
	s_waitcnt lgkmcnt(0)
	s_barrier
	; wave barrier
	s_and_saveexec_b64 s[24:25], s[26:27]
; %bb.11:                               ;   in Loop: Header=BB352_2 Depth=1
	v_bcnt_u32_b32 v5, v5, 0
	v_bcnt_u32_b32 v5, v6, v5
	ds_write_b32 v26, v5 offset:12
; %bb.12:                               ;   in Loop: Header=BB352_2 Depth=1
	s_or_b64 exec, exec, s[24:25]
	; wave barrier
	s_waitcnt lgkmcnt(0)
	s_barrier
	ds_read2_b32 v[7:8], v18 offset0:3 offset1:4
	ds_read2_b32 v[5:6], v18 offset0:5 offset1:6
	s_waitcnt lgkmcnt(1)
	v_add_u32_e32 v27, v8, v7
	s_waitcnt lgkmcnt(0)
	v_add3_u32 v6, v27, v5, v6
	s_nop 1
	v_mov_b32_dpp v27, v6 row_shr:1 row_mask:0xf bank_mask:0xf
	v_cndmask_b32_e64 v27, v27, 0, s[8:9]
	v_add_u32_e32 v6, v27, v6
	s_nop 1
	v_mov_b32_dpp v27, v6 row_shr:2 row_mask:0xf bank_mask:0xf
	v_cndmask_b32_e64 v27, 0, v27, s[10:11]
	v_add_u32_e32 v6, v6, v27
	;; [unrolled: 4-line block ×4, first 2 shown]
	s_nop 1
	v_mov_b32_dpp v27, v6 row_bcast:15 row_mask:0xf bank_mask:0xf
	v_cndmask_b32_e64 v27, v27, 0, s[16:17]
	v_add_u32_e32 v6, v6, v27
	s_nop 1
	v_mov_b32_dpp v27, v6 row_bcast:31 row_mask:0xf bank_mask:0xf
	v_cndmask_b32_e64 v27, 0, v27, s[4:5]
	v_add_u32_e32 v6, v6, v27
	s_and_saveexec_b64 s[24:25], s[22:23]
; %bb.13:                               ;   in Loop: Header=BB352_2 Depth=1
	ds_write_b32 v19, v6
; %bb.14:                               ;   in Loop: Header=BB352_2 Depth=1
	s_or_b64 exec, exec, s[24:25]
	s_waitcnt lgkmcnt(0)
	s_barrier
	s_and_saveexec_b64 s[24:25], vcc
	s_cbranch_execz .LBB352_16
; %bb.15:                               ;   in Loop: Header=BB352_2 Depth=1
	ds_read_b32 v27, v20
	s_waitcnt lgkmcnt(0)
	s_nop 0
	v_mov_b32_dpp v28, v27 row_shr:1 row_mask:0xf bank_mask:0xf
	v_cndmask_b32_e64 v28, v28, 0, s[18:19]
	v_add_u32_e32 v27, v28, v27
	s_nop 1
	v_mov_b32_dpp v28, v27 row_shr:2 row_mask:0xf bank_mask:0xf
	v_cndmask_b32_e64 v28, 0, v28, s[20:21]
	v_add_u32_e32 v27, v27, v28
	ds_write_b32 v20, v27
.LBB352_16:                             ;   in Loop: Header=BB352_2 Depth=1
	s_or_b64 exec, exec, s[24:25]
	v_mov_b32_e32 v27, 0
	s_waitcnt lgkmcnt(0)
	s_barrier
	s_and_saveexec_b64 s[24:25], s[0:1]
; %bb.17:                               ;   in Loop: Header=BB352_2 Depth=1
	ds_read_b32 v27, v23
; %bb.18:                               ;   in Loop: Header=BB352_2 Depth=1
	s_or_b64 exec, exec, s[24:25]
	s_waitcnt lgkmcnt(0)
	v_add_u32_e32 v6, v27, v6
	ds_bpermute_b32 v6, v24, v6
	v_lshlrev_b32_e32 v2, 3, v2
	s_waitcnt lgkmcnt(0)
	v_cndmask_b32_e64 v6, v6, v27, s[6:7]
	v_cndmask_b32_e64 v6, v6, 0, s[2:3]
	v_add_u32_e32 v7, v6, v7
	v_add_u32_e32 v8, v7, v8
	;; [unrolled: 1-line block ×3, first 2 shown]
	ds_write2_b32 v18, v6, v7 offset0:3 offset1:4
	ds_write2_b32 v18, v8, v5 offset0:5 offset1:6
	s_waitcnt lgkmcnt(0)
	s_barrier
	ds_read_b32 v5, v26 offset:12
	s_waitcnt lgkmcnt(0)
	s_barrier
	v_lshl_add_u32 v2, v5, 3, v2
	ds_write_b64 v2, v[3:4]
	s_waitcnt lgkmcnt(0)
	s_barrier
	ds_read_b64 v[3:4], v21
	s_waitcnt lgkmcnt(0)
	s_barrier
	ds_write2_b32 v18, v1, v1 offset0:3 offset1:4
	ds_write2_b32 v18, v1, v1 offset0:5 offset1:6
	v_and_b32_sdwa v2, v4, s29 dst_sel:DWORD dst_unused:UNUSED_PAD src0_sel:WORD_1 src1_sel:DWORD
	v_mul_u32_u24_e32 v7, 12, v2
	v_and_b32_sdwa v2, v4, v10 dst_sel:DWORD dst_unused:UNUSED_PAD src0_sel:WORD_1 src1_sel:DWORD
	v_add_co_u32_e64 v5, s[24:25], -1, v2
	v_addc_co_u32_e64 v6, s[24:25], 0, -1, s[24:25]
	v_cmp_ne_u32_e64 s[24:25], 0, v2
	v_xor_b32_e32 v2, s25, v6
	v_and_b32_e32 v6, exec_hi, v2
	v_lshlrev_b32_sdwa v2, v11, v4 dst_sel:DWORD dst_unused:UNUSED_PAD src0_sel:DWORD src1_sel:WORD_1
	v_xor_b32_e32 v5, s24, v5
	v_cmp_gt_i64_e64 s[24:25], 0, v[1:2]
	v_not_b32_e32 v2, v2
	v_ashrrev_i32_e32 v2, 31, v2
	v_and_b32_e32 v5, exec_lo, v5
	v_xor_b32_e32 v8, s25, v2
	v_xor_b32_e32 v2, s24, v2
	v_and_b32_e32 v5, v5, v2
	v_lshlrev_b32_sdwa v2, v12, v4 dst_sel:DWORD dst_unused:UNUSED_PAD src0_sel:DWORD src1_sel:WORD_1
	v_cmp_gt_i64_e64 s[24:25], 0, v[1:2]
	v_not_b32_e32 v2, v2
	v_ashrrev_i32_e32 v2, 31, v2
	v_and_b32_e32 v6, v6, v8
	v_xor_b32_e32 v8, s25, v2
	v_xor_b32_e32 v2, s24, v2
	v_and_b32_e32 v5, v5, v2
	v_lshlrev_b32_sdwa v2, v13, v4 dst_sel:DWORD dst_unused:UNUSED_PAD src0_sel:DWORD src1_sel:WORD_1
	v_cmp_gt_i64_e64 s[24:25], 0, v[1:2]
	v_not_b32_e32 v2, v2
	v_ashrrev_i32_e32 v2, 31, v2
	v_and_b32_e32 v6, v6, v8
	;; [unrolled: 8-line block ×6, first 2 shown]
	v_xor_b32_e32 v8, s25, v2
	v_xor_b32_e32 v2, s24, v2
	v_and_b32_e32 v5, v5, v2
	v_and_b32_e32 v6, v6, v8
	v_mbcnt_lo_u32_b32 v2, v5, 0
	v_mbcnt_hi_u32_b32 v2, v6, v2
	v_cmp_ne_u64_e64 s[24:25], 0, v[5:6]
	v_cmp_eq_u32_e64 s[26:27], 0, v2
	s_and_b64 s[26:27], s[26:27], s[24:25]
	v_add_u32_e32 v26, v25, v7
	s_waitcnt lgkmcnt(0)
	s_barrier
	; wave barrier
	s_and_saveexec_b64 s[24:25], s[26:27]
; %bb.19:                               ;   in Loop: Header=BB352_2 Depth=1
	v_bcnt_u32_b32 v5, v5, 0
	v_bcnt_u32_b32 v5, v6, v5
	ds_write_b32 v26, v5 offset:12
; %bb.20:                               ;   in Loop: Header=BB352_2 Depth=1
	s_or_b64 exec, exec, s[24:25]
	; wave barrier
	s_waitcnt lgkmcnt(0)
	s_barrier
	ds_read2_b32 v[7:8], v18 offset0:3 offset1:4
	ds_read2_b32 v[5:6], v18 offset0:5 offset1:6
	s_waitcnt lgkmcnt(1)
	v_add_u32_e32 v27, v8, v7
	s_waitcnt lgkmcnt(0)
	v_add3_u32 v6, v27, v5, v6
	s_nop 1
	v_mov_b32_dpp v27, v6 row_shr:1 row_mask:0xf bank_mask:0xf
	v_cndmask_b32_e64 v27, v27, 0, s[8:9]
	v_add_u32_e32 v6, v27, v6
	s_nop 1
	v_mov_b32_dpp v27, v6 row_shr:2 row_mask:0xf bank_mask:0xf
	v_cndmask_b32_e64 v27, 0, v27, s[10:11]
	v_add_u32_e32 v6, v6, v27
	s_nop 1
	v_mov_b32_dpp v27, v6 row_shr:4 row_mask:0xf bank_mask:0xf
	v_cndmask_b32_e64 v27, 0, v27, s[12:13]
	v_add_u32_e32 v6, v6, v27
	s_nop 1
	v_mov_b32_dpp v27, v6 row_shr:8 row_mask:0xf bank_mask:0xf
	v_cndmask_b32_e64 v27, 0, v27, s[14:15]
	v_add_u32_e32 v6, v6, v27
	s_nop 1
	v_mov_b32_dpp v27, v6 row_bcast:15 row_mask:0xf bank_mask:0xf
	v_cndmask_b32_e64 v27, v27, 0, s[16:17]
	v_add_u32_e32 v6, v6, v27
	s_nop 1
	v_mov_b32_dpp v27, v6 row_bcast:31 row_mask:0xf bank_mask:0xf
	v_cndmask_b32_e64 v27, 0, v27, s[4:5]
	v_add_u32_e32 v6, v6, v27
	s_and_saveexec_b64 s[24:25], s[22:23]
; %bb.21:                               ;   in Loop: Header=BB352_2 Depth=1
	ds_write_b32 v19, v6
; %bb.22:                               ;   in Loop: Header=BB352_2 Depth=1
	s_or_b64 exec, exec, s[24:25]
	s_waitcnt lgkmcnt(0)
	s_barrier
	s_and_saveexec_b64 s[24:25], vcc
	s_cbranch_execz .LBB352_24
; %bb.23:                               ;   in Loop: Header=BB352_2 Depth=1
	ds_read_b32 v27, v20
	s_waitcnt lgkmcnt(0)
	s_nop 0
	v_mov_b32_dpp v28, v27 row_shr:1 row_mask:0xf bank_mask:0xf
	v_cndmask_b32_e64 v28, v28, 0, s[18:19]
	v_add_u32_e32 v27, v28, v27
	s_nop 1
	v_mov_b32_dpp v28, v27 row_shr:2 row_mask:0xf bank_mask:0xf
	v_cndmask_b32_e64 v28, 0, v28, s[20:21]
	v_add_u32_e32 v27, v27, v28
	ds_write_b32 v20, v27
.LBB352_24:                             ;   in Loop: Header=BB352_2 Depth=1
	s_or_b64 exec, exec, s[24:25]
	v_mov_b32_e32 v27, 0
	s_waitcnt lgkmcnt(0)
	s_barrier
	s_and_saveexec_b64 s[24:25], s[0:1]
; %bb.25:                               ;   in Loop: Header=BB352_2 Depth=1
	ds_read_b32 v27, v23
; %bb.26:                               ;   in Loop: Header=BB352_2 Depth=1
	s_or_b64 exec, exec, s[24:25]
	s_waitcnt lgkmcnt(0)
	v_add_u32_e32 v6, v27, v6
	ds_bpermute_b32 v6, v24, v6
	v_lshlrev_b32_e32 v2, 3, v2
	s_waitcnt lgkmcnt(0)
	v_cndmask_b32_e64 v6, v6, v27, s[6:7]
	v_cndmask_b32_e64 v6, v6, 0, s[2:3]
	v_add_u32_e32 v7, v6, v7
	v_add_u32_e32 v8, v7, v8
	v_add_u32_e32 v5, v8, v5
	ds_write2_b32 v18, v6, v7 offset0:3 offset1:4
	ds_write2_b32 v18, v8, v5 offset0:5 offset1:6
	s_waitcnt lgkmcnt(0)
	s_barrier
	ds_read_b32 v5, v26 offset:12
	s_waitcnt lgkmcnt(0)
	s_barrier
	v_lshl_add_u32 v2, v5, 3, v2
	ds_write_b64 v2, v[3:4]
	s_waitcnt lgkmcnt(0)
	s_barrier
	ds_read_b64 v[3:4], v21
	s_waitcnt lgkmcnt(0)
	s_barrier
	ds_write2_b32 v18, v1, v1 offset0:3 offset1:4
	ds_write2_b32 v18, v1, v1 offset0:5 offset1:6
	v_and_b32_sdwa v2, v4, v10 dst_sel:DWORD dst_unused:UNUSED_PAD src0_sel:BYTE_3 src1_sel:DWORD
	v_add_co_u32_e64 v5, s[24:25], -1, v2
	v_addc_co_u32_e64 v6, s[24:25], 0, -1, s[24:25]
	v_cmp_ne_u32_e64 s[24:25], 0, v2
	v_xor_b32_e32 v2, s25, v6
	v_and_b32_e32 v6, exec_hi, v2
	v_lshlrev_b32_sdwa v2, v11, v4 dst_sel:DWORD dst_unused:UNUSED_PAD src0_sel:DWORD src1_sel:BYTE_3
	v_xor_b32_e32 v5, s24, v5
	v_cmp_gt_i64_e64 s[24:25], 0, v[1:2]
	v_not_b32_e32 v2, v2
	v_ashrrev_i32_e32 v2, 31, v2
	v_and_b32_e32 v5, exec_lo, v5
	v_xor_b32_e32 v8, s25, v2
	v_xor_b32_e32 v2, s24, v2
	v_and_b32_e32 v5, v5, v2
	v_lshlrev_b32_sdwa v2, v12, v4 dst_sel:DWORD dst_unused:UNUSED_PAD src0_sel:DWORD src1_sel:BYTE_3
	v_cmp_gt_i64_e64 s[24:25], 0, v[1:2]
	v_not_b32_e32 v2, v2
	v_ashrrev_i32_e32 v2, 31, v2
	v_and_b32_e32 v6, v6, v8
	v_xor_b32_e32 v8, s25, v2
	v_xor_b32_e32 v2, s24, v2
	v_and_b32_e32 v5, v5, v2
	v_lshlrev_b32_sdwa v2, v13, v4 dst_sel:DWORD dst_unused:UNUSED_PAD src0_sel:DWORD src1_sel:BYTE_3
	v_cmp_gt_i64_e64 s[24:25], 0, v[1:2]
	v_not_b32_e32 v2, v2
	v_ashrrev_i32_e32 v2, 31, v2
	v_and_b32_e32 v6, v6, v8
	;; [unrolled: 8-line block ×6, first 2 shown]
	v_xor_b32_e32 v8, s25, v2
	v_xor_b32_e32 v2, s24, v2
	v_and_b32_e32 v5, v5, v2
	v_and_b32_e32 v6, v6, v8
	v_mbcnt_lo_u32_b32 v2, v5, 0
	v_mbcnt_hi_u32_b32 v2, v6, v2
	v_cmp_ne_u64_e64 s[24:25], 0, v[5:6]
	v_mul_u32_u24_sdwa v7, v4, v9 dst_sel:DWORD dst_unused:UNUSED_PAD src0_sel:BYTE_3 src1_sel:DWORD
	v_cmp_eq_u32_e64 s[26:27], 0, v2
	s_and_b64 s[26:27], s[26:27], s[24:25]
	v_add_u32_e32 v26, v25, v7
	s_waitcnt lgkmcnt(0)
	s_barrier
	; wave barrier
	s_and_saveexec_b64 s[24:25], s[26:27]
; %bb.27:                               ;   in Loop: Header=BB352_2 Depth=1
	v_bcnt_u32_b32 v5, v5, 0
	v_bcnt_u32_b32 v5, v6, v5
	ds_write_b32 v26, v5 offset:12
; %bb.28:                               ;   in Loop: Header=BB352_2 Depth=1
	s_or_b64 exec, exec, s[24:25]
	; wave barrier
	s_waitcnt lgkmcnt(0)
	s_barrier
	ds_read2_b32 v[7:8], v18 offset0:3 offset1:4
	ds_read2_b32 v[5:6], v18 offset0:5 offset1:6
	s_waitcnt lgkmcnt(1)
	v_add_u32_e32 v27, v8, v7
	s_waitcnt lgkmcnt(0)
	v_add3_u32 v6, v27, v5, v6
	s_nop 1
	v_mov_b32_dpp v27, v6 row_shr:1 row_mask:0xf bank_mask:0xf
	v_cndmask_b32_e64 v27, v27, 0, s[8:9]
	v_add_u32_e32 v6, v27, v6
	s_nop 1
	v_mov_b32_dpp v27, v6 row_shr:2 row_mask:0xf bank_mask:0xf
	v_cndmask_b32_e64 v27, 0, v27, s[10:11]
	v_add_u32_e32 v6, v6, v27
	;; [unrolled: 4-line block ×4, first 2 shown]
	s_nop 1
	v_mov_b32_dpp v27, v6 row_bcast:15 row_mask:0xf bank_mask:0xf
	v_cndmask_b32_e64 v27, v27, 0, s[16:17]
	v_add_u32_e32 v6, v6, v27
	s_nop 1
	v_mov_b32_dpp v27, v6 row_bcast:31 row_mask:0xf bank_mask:0xf
	v_cndmask_b32_e64 v27, 0, v27, s[4:5]
	v_add_u32_e32 v6, v6, v27
	s_and_saveexec_b64 s[24:25], s[22:23]
; %bb.29:                               ;   in Loop: Header=BB352_2 Depth=1
	ds_write_b32 v19, v6
; %bb.30:                               ;   in Loop: Header=BB352_2 Depth=1
	s_or_b64 exec, exec, s[24:25]
	s_waitcnt lgkmcnt(0)
	s_barrier
	s_and_saveexec_b64 s[24:25], vcc
	s_cbranch_execz .LBB352_32
; %bb.31:                               ;   in Loop: Header=BB352_2 Depth=1
	ds_read_b32 v27, v20
	s_waitcnt lgkmcnt(0)
	s_nop 0
	v_mov_b32_dpp v28, v27 row_shr:1 row_mask:0xf bank_mask:0xf
	v_cndmask_b32_e64 v28, v28, 0, s[18:19]
	v_add_u32_e32 v27, v28, v27
	s_nop 1
	v_mov_b32_dpp v28, v27 row_shr:2 row_mask:0xf bank_mask:0xf
	v_cndmask_b32_e64 v28, 0, v28, s[20:21]
	v_add_u32_e32 v27, v27, v28
	ds_write_b32 v20, v27
.LBB352_32:                             ;   in Loop: Header=BB352_2 Depth=1
	s_or_b64 exec, exec, s[24:25]
	v_mov_b32_e32 v27, 0
	s_waitcnt lgkmcnt(0)
	s_barrier
	s_and_saveexec_b64 s[24:25], s[0:1]
; %bb.33:                               ;   in Loop: Header=BB352_2 Depth=1
	ds_read_b32 v27, v23
; %bb.34:                               ;   in Loop: Header=BB352_2 Depth=1
	s_or_b64 exec, exec, s[24:25]
	s_waitcnt lgkmcnt(0)
	v_add_u32_e32 v6, v27, v6
	ds_bpermute_b32 v6, v24, v6
	v_lshlrev_b32_e32 v2, 3, v2
	s_waitcnt lgkmcnt(0)
	v_cndmask_b32_e64 v6, v6, v27, s[6:7]
	v_cndmask_b32_e64 v6, v6, 0, s[2:3]
	v_add_u32_e32 v7, v6, v7
	v_add_u32_e32 v8, v7, v8
	;; [unrolled: 1-line block ×3, first 2 shown]
	ds_write2_b32 v18, v6, v7 offset0:3 offset1:4
	ds_write2_b32 v18, v8, v5 offset0:5 offset1:6
	s_waitcnt lgkmcnt(0)
	s_barrier
	ds_read_b32 v5, v26 offset:12
	s_waitcnt lgkmcnt(0)
	s_barrier
	v_lshl_add_u32 v2, v5, 3, v2
	ds_write_b64 v2, v[3:4]
	s_waitcnt lgkmcnt(0)
	s_barrier
	ds_read_b64 v[3:4], v21
	s_waitcnt lgkmcnt(0)
	s_barrier
	ds_write2_b32 v18, v1, v1 offset0:3 offset1:4
	ds_write2_b32 v18, v1, v1 offset0:5 offset1:6
	v_and_b32_e32 v2, 1, v3
	v_add_co_u32_e64 v5, s[24:25], -1, v2
	v_addc_co_u32_e64 v6, s[24:25], 0, -1, s[24:25]
	v_cmp_ne_u32_e64 s[24:25], 0, v2
	v_xor_b32_e32 v2, s25, v6
	v_and_b32_e32 v6, exec_hi, v2
	v_lshlrev_b32_e32 v2, 30, v3
	v_xor_b32_e32 v5, s24, v5
	v_cmp_gt_i64_e64 s[24:25], 0, v[1:2]
	v_not_b32_e32 v2, v2
	v_ashrrev_i32_e32 v2, 31, v2
	v_and_b32_e32 v5, exec_lo, v5
	v_xor_b32_e32 v8, s25, v2
	v_xor_b32_e32 v2, s24, v2
	v_and_b32_e32 v5, v5, v2
	v_lshlrev_b32_e32 v2, 29, v3
	v_cmp_gt_i64_e64 s[24:25], 0, v[1:2]
	v_not_b32_e32 v2, v2
	v_ashrrev_i32_e32 v2, 31, v2
	v_and_b32_e32 v6, v6, v8
	v_xor_b32_e32 v8, s25, v2
	v_xor_b32_e32 v2, s24, v2
	v_and_b32_e32 v5, v5, v2
	v_lshlrev_b32_e32 v2, 28, v3
	v_cmp_gt_i64_e64 s[24:25], 0, v[1:2]
	v_not_b32_e32 v2, v2
	v_ashrrev_i32_e32 v2, 31, v2
	v_and_b32_e32 v6, v6, v8
	v_xor_b32_e32 v8, s25, v2
	v_xor_b32_e32 v2, s24, v2
	v_and_b32_e32 v5, v5, v2
	v_lshlrev_b32_e32 v2, 27, v3
	v_cmp_gt_i64_e64 s[24:25], 0, v[1:2]
	v_not_b32_e32 v2, v2
	v_ashrrev_i32_e32 v2, 31, v2
	v_and_b32_e32 v6, v6, v8
	v_xor_b32_e32 v8, s25, v2
	v_xor_b32_e32 v2, s24, v2
	v_and_b32_e32 v5, v5, v2
	v_lshlrev_b32_e32 v2, 26, v3
	v_cmp_gt_i64_e64 s[24:25], 0, v[1:2]
	v_not_b32_e32 v2, v2
	v_ashrrev_i32_e32 v2, 31, v2
	v_and_b32_e32 v6, v6, v8
	v_xor_b32_e32 v8, s25, v2
	v_xor_b32_e32 v2, s24, v2
	v_and_b32_e32 v5, v5, v2
	v_lshlrev_b32_e32 v2, 25, v3
	v_cmp_gt_i64_e64 s[24:25], 0, v[1:2]
	v_not_b32_e32 v2, v2
	v_ashrrev_i32_e32 v2, 31, v2
	v_and_b32_e32 v6, v6, v8
	v_xor_b32_e32 v8, s25, v2
	v_xor_b32_e32 v2, s24, v2
	v_and_b32_e32 v5, v5, v2
	v_lshlrev_b32_e32 v2, 24, v3
	v_cmp_gt_i64_e64 s[24:25], 0, v[1:2]
	v_not_b32_e32 v2, v2
	v_ashrrev_i32_e32 v2, 31, v2
	v_and_b32_e32 v6, v6, v8
	v_xor_b32_e32 v8, s25, v2
	v_xor_b32_e32 v2, s24, v2
	v_and_b32_e32 v5, v5, v2
	v_and_b32_e32 v6, v6, v8
	v_mbcnt_lo_u32_b32 v2, v5, 0
	v_mbcnt_hi_u32_b32 v2, v6, v2
	v_cmp_ne_u64_e64 s[24:25], 0, v[5:6]
	v_mul_u32_u24_sdwa v7, v3, v9 dst_sel:DWORD dst_unused:UNUSED_PAD src0_sel:BYTE_0 src1_sel:DWORD
	v_cmp_eq_u32_e64 s[26:27], 0, v2
	s_and_b64 s[26:27], s[26:27], s[24:25]
	v_add_u32_e32 v26, v25, v7
	s_waitcnt lgkmcnt(0)
	s_barrier
	; wave barrier
	s_and_saveexec_b64 s[24:25], s[26:27]
; %bb.35:                               ;   in Loop: Header=BB352_2 Depth=1
	v_bcnt_u32_b32 v5, v5, 0
	v_bcnt_u32_b32 v5, v6, v5
	ds_write_b32 v26, v5 offset:12
; %bb.36:                               ;   in Loop: Header=BB352_2 Depth=1
	s_or_b64 exec, exec, s[24:25]
	; wave barrier
	s_waitcnt lgkmcnt(0)
	s_barrier
	ds_read2_b32 v[7:8], v18 offset0:3 offset1:4
	ds_read2_b32 v[5:6], v18 offset0:5 offset1:6
	s_waitcnt lgkmcnt(1)
	v_add_u32_e32 v27, v8, v7
	s_waitcnt lgkmcnt(0)
	v_add3_u32 v6, v27, v5, v6
	s_nop 1
	v_mov_b32_dpp v27, v6 row_shr:1 row_mask:0xf bank_mask:0xf
	v_cndmask_b32_e64 v27, v27, 0, s[8:9]
	v_add_u32_e32 v6, v27, v6
	s_nop 1
	v_mov_b32_dpp v27, v6 row_shr:2 row_mask:0xf bank_mask:0xf
	v_cndmask_b32_e64 v27, 0, v27, s[10:11]
	v_add_u32_e32 v6, v6, v27
	;; [unrolled: 4-line block ×4, first 2 shown]
	s_nop 1
	v_mov_b32_dpp v27, v6 row_bcast:15 row_mask:0xf bank_mask:0xf
	v_cndmask_b32_e64 v27, v27, 0, s[16:17]
	v_add_u32_e32 v6, v6, v27
	s_nop 1
	v_mov_b32_dpp v27, v6 row_bcast:31 row_mask:0xf bank_mask:0xf
	v_cndmask_b32_e64 v27, 0, v27, s[4:5]
	v_add_u32_e32 v6, v6, v27
	s_and_saveexec_b64 s[24:25], s[22:23]
; %bb.37:                               ;   in Loop: Header=BB352_2 Depth=1
	ds_write_b32 v19, v6
; %bb.38:                               ;   in Loop: Header=BB352_2 Depth=1
	s_or_b64 exec, exec, s[24:25]
	s_waitcnt lgkmcnt(0)
	s_barrier
	s_and_saveexec_b64 s[24:25], vcc
	s_cbranch_execz .LBB352_40
; %bb.39:                               ;   in Loop: Header=BB352_2 Depth=1
	ds_read_b32 v27, v20
	s_waitcnt lgkmcnt(0)
	s_nop 0
	v_mov_b32_dpp v28, v27 row_shr:1 row_mask:0xf bank_mask:0xf
	v_cndmask_b32_e64 v28, v28, 0, s[18:19]
	v_add_u32_e32 v27, v28, v27
	s_nop 1
	v_mov_b32_dpp v28, v27 row_shr:2 row_mask:0xf bank_mask:0xf
	v_cndmask_b32_e64 v28, 0, v28, s[20:21]
	v_add_u32_e32 v27, v27, v28
	ds_write_b32 v20, v27
.LBB352_40:                             ;   in Loop: Header=BB352_2 Depth=1
	s_or_b64 exec, exec, s[24:25]
	v_mov_b32_e32 v27, 0
	s_waitcnt lgkmcnt(0)
	s_barrier
	s_and_saveexec_b64 s[24:25], s[0:1]
; %bb.41:                               ;   in Loop: Header=BB352_2 Depth=1
	ds_read_b32 v27, v23
; %bb.42:                               ;   in Loop: Header=BB352_2 Depth=1
	s_or_b64 exec, exec, s[24:25]
	s_waitcnt lgkmcnt(0)
	v_add_u32_e32 v6, v27, v6
	ds_bpermute_b32 v6, v24, v6
	v_lshlrev_b32_e32 v2, 3, v2
	s_waitcnt lgkmcnt(0)
	v_cndmask_b32_e64 v6, v6, v27, s[6:7]
	v_cndmask_b32_e64 v6, v6, 0, s[2:3]
	v_add_u32_e32 v7, v6, v7
	v_add_u32_e32 v8, v7, v8
	;; [unrolled: 1-line block ×3, first 2 shown]
	ds_write2_b32 v18, v6, v7 offset0:3 offset1:4
	ds_write2_b32 v18, v8, v5 offset0:5 offset1:6
	s_waitcnt lgkmcnt(0)
	s_barrier
	ds_read_b32 v5, v26 offset:12
	s_waitcnt lgkmcnt(0)
	s_barrier
	v_lshl_add_u32 v2, v5, 3, v2
	ds_write_b64 v2, v[3:4]
	s_waitcnt lgkmcnt(0)
	s_barrier
	ds_read_b64 v[3:4], v21
	s_waitcnt lgkmcnt(0)
	s_barrier
	ds_write2_b32 v18, v1, v1 offset0:3 offset1:4
	ds_write2_b32 v18, v1, v1 offset0:5 offset1:6
	v_lshrrev_b32_e32 v5, 8, v3
	v_and_b32_e32 v2, 1, v5
	v_add_co_u32_e64 v6, s[24:25], -1, v2
	v_addc_co_u32_e64 v8, s[24:25], 0, -1, s[24:25]
	v_cmp_ne_u32_e64 s[24:25], 0, v2
	v_xor_b32_e32 v2, s25, v8
	v_and_b32_e32 v8, exec_hi, v2
	v_lshlrev_b32_e32 v2, 30, v5
	v_xor_b32_e32 v6, s24, v6
	v_cmp_gt_i64_e64 s[24:25], 0, v[1:2]
	v_not_b32_e32 v2, v2
	v_ashrrev_i32_e32 v2, 31, v2
	v_and_b32_e32 v6, exec_lo, v6
	v_xor_b32_e32 v26, s25, v2
	v_xor_b32_e32 v2, s24, v2
	v_and_b32_e32 v6, v6, v2
	v_lshlrev_b32_e32 v2, 29, v5
	v_cmp_gt_i64_e64 s[24:25], 0, v[1:2]
	v_not_b32_e32 v2, v2
	v_ashrrev_i32_e32 v2, 31, v2
	v_and_b32_e32 v8, v8, v26
	v_xor_b32_e32 v26, s25, v2
	v_xor_b32_e32 v2, s24, v2
	v_and_b32_e32 v6, v6, v2
	v_lshlrev_b32_e32 v2, 28, v5
	v_cmp_gt_i64_e64 s[24:25], 0, v[1:2]
	v_not_b32_e32 v2, v2
	v_ashrrev_i32_e32 v2, 31, v2
	v_and_b32_e32 v8, v8, v26
	;; [unrolled: 8-line block ×5, first 2 shown]
	v_xor_b32_e32 v26, s25, v2
	v_xor_b32_e32 v2, s24, v2
	v_and_b32_e32 v8, v8, v26
	v_and_b32_e32 v26, v6, v2
	v_lshlrev_b32_e32 v2, 24, v5
	v_cmp_gt_i64_e64 s[24:25], 0, v[1:2]
	v_not_b32_e32 v2, v2
	v_ashrrev_i32_e32 v2, 31, v2
	v_mul_u32_u24_sdwa v7, v5, v9 dst_sel:DWORD dst_unused:UNUSED_PAD src0_sel:BYTE_0 src1_sel:DWORD
	v_xor_b32_e32 v5, s25, v2
	v_xor_b32_e32 v2, s24, v2
	v_and_b32_e32 v6, v8, v5
	v_and_b32_e32 v5, v26, v2
	v_mbcnt_lo_u32_b32 v2, v5, 0
	v_mbcnt_hi_u32_b32 v2, v6, v2
	v_cmp_ne_u64_e64 s[24:25], 0, v[5:6]
	v_cmp_eq_u32_e64 s[26:27], 0, v2
	s_and_b64 s[26:27], s[26:27], s[24:25]
	v_add_u32_e32 v26, v25, v7
	s_waitcnt lgkmcnt(0)
	s_barrier
	; wave barrier
	s_and_saveexec_b64 s[24:25], s[26:27]
; %bb.43:                               ;   in Loop: Header=BB352_2 Depth=1
	v_bcnt_u32_b32 v5, v5, 0
	v_bcnt_u32_b32 v5, v6, v5
	ds_write_b32 v26, v5 offset:12
; %bb.44:                               ;   in Loop: Header=BB352_2 Depth=1
	s_or_b64 exec, exec, s[24:25]
	; wave barrier
	s_waitcnt lgkmcnt(0)
	s_barrier
	ds_read2_b32 v[7:8], v18 offset0:3 offset1:4
	ds_read2_b32 v[5:6], v18 offset0:5 offset1:6
	s_waitcnt lgkmcnt(1)
	v_add_u32_e32 v27, v8, v7
	s_waitcnt lgkmcnt(0)
	v_add3_u32 v6, v27, v5, v6
	s_nop 1
	v_mov_b32_dpp v27, v6 row_shr:1 row_mask:0xf bank_mask:0xf
	v_cndmask_b32_e64 v27, v27, 0, s[8:9]
	v_add_u32_e32 v6, v27, v6
	s_nop 1
	v_mov_b32_dpp v27, v6 row_shr:2 row_mask:0xf bank_mask:0xf
	v_cndmask_b32_e64 v27, 0, v27, s[10:11]
	v_add_u32_e32 v6, v6, v27
	;; [unrolled: 4-line block ×4, first 2 shown]
	s_nop 1
	v_mov_b32_dpp v27, v6 row_bcast:15 row_mask:0xf bank_mask:0xf
	v_cndmask_b32_e64 v27, v27, 0, s[16:17]
	v_add_u32_e32 v6, v6, v27
	s_nop 1
	v_mov_b32_dpp v27, v6 row_bcast:31 row_mask:0xf bank_mask:0xf
	v_cndmask_b32_e64 v27, 0, v27, s[4:5]
	v_add_u32_e32 v6, v6, v27
	s_and_saveexec_b64 s[24:25], s[22:23]
; %bb.45:                               ;   in Loop: Header=BB352_2 Depth=1
	ds_write_b32 v19, v6
; %bb.46:                               ;   in Loop: Header=BB352_2 Depth=1
	s_or_b64 exec, exec, s[24:25]
	s_waitcnt lgkmcnt(0)
	s_barrier
	s_and_saveexec_b64 s[24:25], vcc
	s_cbranch_execz .LBB352_48
; %bb.47:                               ;   in Loop: Header=BB352_2 Depth=1
	ds_read_b32 v27, v20
	s_waitcnt lgkmcnt(0)
	s_nop 0
	v_mov_b32_dpp v28, v27 row_shr:1 row_mask:0xf bank_mask:0xf
	v_cndmask_b32_e64 v28, v28, 0, s[18:19]
	v_add_u32_e32 v27, v28, v27
	s_nop 1
	v_mov_b32_dpp v28, v27 row_shr:2 row_mask:0xf bank_mask:0xf
	v_cndmask_b32_e64 v28, 0, v28, s[20:21]
	v_add_u32_e32 v27, v27, v28
	ds_write_b32 v20, v27
.LBB352_48:                             ;   in Loop: Header=BB352_2 Depth=1
	s_or_b64 exec, exec, s[24:25]
	v_mov_b32_e32 v27, 0
	s_waitcnt lgkmcnt(0)
	s_barrier
	s_and_saveexec_b64 s[24:25], s[0:1]
; %bb.49:                               ;   in Loop: Header=BB352_2 Depth=1
	ds_read_b32 v27, v23
; %bb.50:                               ;   in Loop: Header=BB352_2 Depth=1
	s_or_b64 exec, exec, s[24:25]
	s_waitcnt lgkmcnt(0)
	v_add_u32_e32 v6, v27, v6
	ds_bpermute_b32 v6, v24, v6
	v_lshlrev_b32_e32 v2, 3, v2
	s_waitcnt lgkmcnt(0)
	v_cndmask_b32_e64 v6, v6, v27, s[6:7]
	v_cndmask_b32_e64 v6, v6, 0, s[2:3]
	v_add_u32_e32 v7, v6, v7
	v_add_u32_e32 v8, v7, v8
	;; [unrolled: 1-line block ×3, first 2 shown]
	ds_write2_b32 v18, v6, v7 offset0:3 offset1:4
	ds_write2_b32 v18, v8, v5 offset0:5 offset1:6
	s_waitcnt lgkmcnt(0)
	s_barrier
	ds_read_b32 v5, v26 offset:12
	s_waitcnt lgkmcnt(0)
	s_barrier
	v_lshl_add_u32 v2, v5, 3, v2
	ds_write_b64 v2, v[3:4]
	s_waitcnt lgkmcnt(0)
	s_barrier
	ds_read_b64 v[3:4], v21
	s_waitcnt lgkmcnt(0)
	s_barrier
	ds_write2_b32 v18, v1, v1 offset0:3 offset1:4
	ds_write2_b32 v18, v1, v1 offset0:5 offset1:6
	v_and_b32_sdwa v2, v3, s29 dst_sel:DWORD dst_unused:UNUSED_PAD src0_sel:WORD_1 src1_sel:DWORD
	v_mul_u32_u24_e32 v7, 12, v2
	v_and_b32_sdwa v2, v3, v10 dst_sel:DWORD dst_unused:UNUSED_PAD src0_sel:WORD_1 src1_sel:DWORD
	v_add_co_u32_e64 v5, s[24:25], -1, v2
	v_addc_co_u32_e64 v6, s[24:25], 0, -1, s[24:25]
	v_cmp_ne_u32_e64 s[24:25], 0, v2
	v_xor_b32_e32 v2, s25, v6
	v_and_b32_e32 v6, exec_hi, v2
	v_lshlrev_b32_sdwa v2, v11, v3 dst_sel:DWORD dst_unused:UNUSED_PAD src0_sel:DWORD src1_sel:WORD_1
	v_xor_b32_e32 v5, s24, v5
	v_cmp_gt_i64_e64 s[24:25], 0, v[1:2]
	v_not_b32_e32 v2, v2
	v_ashrrev_i32_e32 v2, 31, v2
	v_and_b32_e32 v5, exec_lo, v5
	v_xor_b32_e32 v8, s25, v2
	v_xor_b32_e32 v2, s24, v2
	v_and_b32_e32 v5, v5, v2
	v_lshlrev_b32_sdwa v2, v12, v3 dst_sel:DWORD dst_unused:UNUSED_PAD src0_sel:DWORD src1_sel:WORD_1
	v_cmp_gt_i64_e64 s[24:25], 0, v[1:2]
	v_not_b32_e32 v2, v2
	v_ashrrev_i32_e32 v2, 31, v2
	v_and_b32_e32 v6, v6, v8
	v_xor_b32_e32 v8, s25, v2
	v_xor_b32_e32 v2, s24, v2
	v_and_b32_e32 v5, v5, v2
	v_lshlrev_b32_sdwa v2, v13, v3 dst_sel:DWORD dst_unused:UNUSED_PAD src0_sel:DWORD src1_sel:WORD_1
	v_cmp_gt_i64_e64 s[24:25], 0, v[1:2]
	v_not_b32_e32 v2, v2
	v_ashrrev_i32_e32 v2, 31, v2
	v_and_b32_e32 v6, v6, v8
	;; [unrolled: 8-line block ×6, first 2 shown]
	v_xor_b32_e32 v8, s25, v2
	v_xor_b32_e32 v2, s24, v2
	v_and_b32_e32 v5, v5, v2
	v_and_b32_e32 v6, v6, v8
	v_mbcnt_lo_u32_b32 v2, v5, 0
	v_mbcnt_hi_u32_b32 v2, v6, v2
	v_cmp_ne_u64_e64 s[24:25], 0, v[5:6]
	v_cmp_eq_u32_e64 s[26:27], 0, v2
	s_and_b64 s[26:27], s[26:27], s[24:25]
	v_add_u32_e32 v26, v25, v7
	s_waitcnt lgkmcnt(0)
	s_barrier
	; wave barrier
	s_and_saveexec_b64 s[24:25], s[26:27]
; %bb.51:                               ;   in Loop: Header=BB352_2 Depth=1
	v_bcnt_u32_b32 v5, v5, 0
	v_bcnt_u32_b32 v5, v6, v5
	ds_write_b32 v26, v5 offset:12
; %bb.52:                               ;   in Loop: Header=BB352_2 Depth=1
	s_or_b64 exec, exec, s[24:25]
	; wave barrier
	s_waitcnt lgkmcnt(0)
	s_barrier
	ds_read2_b32 v[7:8], v18 offset0:3 offset1:4
	ds_read2_b32 v[5:6], v18 offset0:5 offset1:6
	s_waitcnt lgkmcnt(1)
	v_add_u32_e32 v27, v8, v7
	s_waitcnt lgkmcnt(0)
	v_add3_u32 v6, v27, v5, v6
	s_nop 1
	v_mov_b32_dpp v27, v6 row_shr:1 row_mask:0xf bank_mask:0xf
	v_cndmask_b32_e64 v27, v27, 0, s[8:9]
	v_add_u32_e32 v6, v27, v6
	s_nop 1
	v_mov_b32_dpp v27, v6 row_shr:2 row_mask:0xf bank_mask:0xf
	v_cndmask_b32_e64 v27, 0, v27, s[10:11]
	v_add_u32_e32 v6, v6, v27
	;; [unrolled: 4-line block ×4, first 2 shown]
	s_nop 1
	v_mov_b32_dpp v27, v6 row_bcast:15 row_mask:0xf bank_mask:0xf
	v_cndmask_b32_e64 v27, v27, 0, s[16:17]
	v_add_u32_e32 v6, v6, v27
	s_nop 1
	v_mov_b32_dpp v27, v6 row_bcast:31 row_mask:0xf bank_mask:0xf
	v_cndmask_b32_e64 v27, 0, v27, s[4:5]
	v_add_u32_e32 v6, v6, v27
	s_and_saveexec_b64 s[24:25], s[22:23]
; %bb.53:                               ;   in Loop: Header=BB352_2 Depth=1
	ds_write_b32 v19, v6
; %bb.54:                               ;   in Loop: Header=BB352_2 Depth=1
	s_or_b64 exec, exec, s[24:25]
	s_waitcnt lgkmcnt(0)
	s_barrier
	s_and_saveexec_b64 s[24:25], vcc
	s_cbranch_execz .LBB352_56
; %bb.55:                               ;   in Loop: Header=BB352_2 Depth=1
	ds_read_b32 v27, v20
	s_waitcnt lgkmcnt(0)
	s_nop 0
	v_mov_b32_dpp v28, v27 row_shr:1 row_mask:0xf bank_mask:0xf
	v_cndmask_b32_e64 v28, v28, 0, s[18:19]
	v_add_u32_e32 v27, v28, v27
	s_nop 1
	v_mov_b32_dpp v28, v27 row_shr:2 row_mask:0xf bank_mask:0xf
	v_cndmask_b32_e64 v28, 0, v28, s[20:21]
	v_add_u32_e32 v27, v27, v28
	ds_write_b32 v20, v27
.LBB352_56:                             ;   in Loop: Header=BB352_2 Depth=1
	s_or_b64 exec, exec, s[24:25]
	v_mov_b32_e32 v27, 0
	s_waitcnt lgkmcnt(0)
	s_barrier
	s_and_saveexec_b64 s[24:25], s[0:1]
; %bb.57:                               ;   in Loop: Header=BB352_2 Depth=1
	ds_read_b32 v27, v23
; %bb.58:                               ;   in Loop: Header=BB352_2 Depth=1
	s_or_b64 exec, exec, s[24:25]
	s_waitcnt lgkmcnt(0)
	v_add_u32_e32 v6, v27, v6
	ds_bpermute_b32 v6, v24, v6
	v_lshlrev_b32_e32 v2, 3, v2
	s_waitcnt lgkmcnt(0)
	v_cndmask_b32_e64 v6, v6, v27, s[6:7]
	v_cndmask_b32_e64 v6, v6, 0, s[2:3]
	v_add_u32_e32 v7, v6, v7
	v_add_u32_e32 v8, v7, v8
	v_add_u32_e32 v5, v8, v5
	ds_write2_b32 v18, v6, v7 offset0:3 offset1:4
	ds_write2_b32 v18, v8, v5 offset0:5 offset1:6
	s_waitcnt lgkmcnt(0)
	s_barrier
	ds_read_b32 v5, v26 offset:12
	s_waitcnt lgkmcnt(0)
	s_barrier
	v_lshl_add_u32 v2, v5, 3, v2
	ds_write_b64 v2, v[3:4]
	s_waitcnt lgkmcnt(0)
	s_barrier
	ds_read_b64 v[3:4], v21
	s_waitcnt lgkmcnt(0)
	s_barrier
	ds_write2_b32 v18, v1, v1 offset0:3 offset1:4
	ds_write2_b32 v18, v1, v1 offset0:5 offset1:6
	v_and_b32_sdwa v2, v3, v10 dst_sel:DWORD dst_unused:UNUSED_PAD src0_sel:BYTE_3 src1_sel:DWORD
	v_add_co_u32_e64 v5, s[24:25], -1, v2
	v_addc_co_u32_e64 v6, s[24:25], 0, -1, s[24:25]
	v_cmp_ne_u32_e64 s[24:25], 0, v2
	v_xor_b32_e32 v2, s25, v6
	v_and_b32_e32 v6, exec_hi, v2
	v_lshlrev_b32_sdwa v2, v11, v3 dst_sel:DWORD dst_unused:UNUSED_PAD src0_sel:DWORD src1_sel:BYTE_3
	v_xor_b32_e32 v5, s24, v5
	v_cmp_gt_i64_e64 s[24:25], 0, v[1:2]
	v_not_b32_e32 v2, v2
	v_ashrrev_i32_e32 v2, 31, v2
	v_and_b32_e32 v5, exec_lo, v5
	v_xor_b32_e32 v8, s25, v2
	v_xor_b32_e32 v2, s24, v2
	v_and_b32_e32 v5, v5, v2
	v_lshlrev_b32_sdwa v2, v12, v3 dst_sel:DWORD dst_unused:UNUSED_PAD src0_sel:DWORD src1_sel:BYTE_3
	v_cmp_gt_i64_e64 s[24:25], 0, v[1:2]
	v_not_b32_e32 v2, v2
	v_ashrrev_i32_e32 v2, 31, v2
	v_and_b32_e32 v6, v6, v8
	v_xor_b32_e32 v8, s25, v2
	v_xor_b32_e32 v2, s24, v2
	v_and_b32_e32 v5, v5, v2
	v_lshlrev_b32_sdwa v2, v13, v3 dst_sel:DWORD dst_unused:UNUSED_PAD src0_sel:DWORD src1_sel:BYTE_3
	v_cmp_gt_i64_e64 s[24:25], 0, v[1:2]
	v_not_b32_e32 v2, v2
	v_ashrrev_i32_e32 v2, 31, v2
	v_and_b32_e32 v6, v6, v8
	;; [unrolled: 8-line block ×6, first 2 shown]
	v_xor_b32_e32 v8, s25, v2
	v_xor_b32_e32 v2, s24, v2
	v_and_b32_e32 v5, v5, v2
	v_and_b32_e32 v6, v6, v8
	v_mbcnt_lo_u32_b32 v2, v5, 0
	v_mbcnt_hi_u32_b32 v2, v6, v2
	v_cmp_ne_u64_e64 s[24:25], 0, v[5:6]
	v_mul_u32_u24_sdwa v7, v3, v9 dst_sel:DWORD dst_unused:UNUSED_PAD src0_sel:BYTE_3 src1_sel:DWORD
	v_cmp_eq_u32_e64 s[26:27], 0, v2
	s_and_b64 s[26:27], s[26:27], s[24:25]
	v_add_u32_e32 v26, v25, v7
	s_waitcnt lgkmcnt(0)
	s_barrier
	; wave barrier
	s_and_saveexec_b64 s[24:25], s[26:27]
; %bb.59:                               ;   in Loop: Header=BB352_2 Depth=1
	v_bcnt_u32_b32 v5, v5, 0
	v_bcnt_u32_b32 v5, v6, v5
	ds_write_b32 v26, v5 offset:12
; %bb.60:                               ;   in Loop: Header=BB352_2 Depth=1
	s_or_b64 exec, exec, s[24:25]
	; wave barrier
	s_waitcnt lgkmcnt(0)
	s_barrier
	ds_read2_b32 v[7:8], v18 offset0:3 offset1:4
	ds_read2_b32 v[5:6], v18 offset0:5 offset1:6
	s_waitcnt lgkmcnt(1)
	v_add_u32_e32 v27, v8, v7
	s_waitcnt lgkmcnt(0)
	v_add3_u32 v6, v27, v5, v6
	s_nop 1
	v_mov_b32_dpp v27, v6 row_shr:1 row_mask:0xf bank_mask:0xf
	v_cndmask_b32_e64 v27, v27, 0, s[8:9]
	v_add_u32_e32 v6, v27, v6
	s_nop 1
	v_mov_b32_dpp v27, v6 row_shr:2 row_mask:0xf bank_mask:0xf
	v_cndmask_b32_e64 v27, 0, v27, s[10:11]
	v_add_u32_e32 v6, v6, v27
	s_nop 1
	v_mov_b32_dpp v27, v6 row_shr:4 row_mask:0xf bank_mask:0xf
	v_cndmask_b32_e64 v27, 0, v27, s[12:13]
	v_add_u32_e32 v6, v6, v27
	s_nop 1
	v_mov_b32_dpp v27, v6 row_shr:8 row_mask:0xf bank_mask:0xf
	v_cndmask_b32_e64 v27, 0, v27, s[14:15]
	v_add_u32_e32 v6, v6, v27
	s_nop 1
	v_mov_b32_dpp v27, v6 row_bcast:15 row_mask:0xf bank_mask:0xf
	v_cndmask_b32_e64 v27, v27, 0, s[16:17]
	v_add_u32_e32 v6, v6, v27
	s_nop 1
	v_mov_b32_dpp v27, v6 row_bcast:31 row_mask:0xf bank_mask:0xf
	v_cndmask_b32_e64 v27, 0, v27, s[4:5]
	v_add_u32_e32 v6, v6, v27
	s_and_saveexec_b64 s[24:25], s[22:23]
; %bb.61:                               ;   in Loop: Header=BB352_2 Depth=1
	ds_write_b32 v19, v6
; %bb.62:                               ;   in Loop: Header=BB352_2 Depth=1
	s_or_b64 exec, exec, s[24:25]
	s_waitcnt lgkmcnt(0)
	s_barrier
	s_and_saveexec_b64 s[24:25], vcc
	s_cbranch_execz .LBB352_64
; %bb.63:                               ;   in Loop: Header=BB352_2 Depth=1
	ds_read_b32 v27, v20
	s_waitcnt lgkmcnt(0)
	s_nop 0
	v_mov_b32_dpp v28, v27 row_shr:1 row_mask:0xf bank_mask:0xf
	v_cndmask_b32_e64 v28, v28, 0, s[18:19]
	v_add_u32_e32 v27, v28, v27
	s_nop 1
	v_mov_b32_dpp v28, v27 row_shr:2 row_mask:0xf bank_mask:0xf
	v_cndmask_b32_e64 v28, 0, v28, s[20:21]
	v_add_u32_e32 v27, v27, v28
	ds_write_b32 v20, v27
.LBB352_64:                             ;   in Loop: Header=BB352_2 Depth=1
	s_or_b64 exec, exec, s[24:25]
	v_mov_b32_e32 v27, 0
	s_waitcnt lgkmcnt(0)
	s_barrier
	s_and_saveexec_b64 s[24:25], s[0:1]
	s_cbranch_execz .LBB352_1
; %bb.65:                               ;   in Loop: Header=BB352_2 Depth=1
	ds_read_b32 v27, v23
	s_branch .LBB352_1
.LBB352_66:
	s_add_u32 s0, s30, s34
	s_waitcnt lgkmcnt(0)
	v_xor_b32_e32 v2, 0x80000000, v4
	v_xor_b32_e32 v1, 0x80000000, v3
	s_addc_u32 s1, s31, s35
	v_lshlrev_b32_e32 v0, 3, v0
	global_store_dwordx2 v0, v[1:2], s[0:1]
	s_endpgm
	.section	.rodata,"a",@progbits
	.p2align	6, 0x0
	.amdhsa_kernel _Z16sort_keys_kernelI22helper_blocked_stripedN15benchmark_utils11custom_typeIiiEELj192ELj1ELj10EEvPKT0_PS4_
		.amdhsa_group_segment_fixed_size 3088
		.amdhsa_private_segment_fixed_size 0
		.amdhsa_kernarg_size 272
		.amdhsa_user_sgpr_count 6
		.amdhsa_user_sgpr_private_segment_buffer 1
		.amdhsa_user_sgpr_dispatch_ptr 0
		.amdhsa_user_sgpr_queue_ptr 0
		.amdhsa_user_sgpr_kernarg_segment_ptr 1
		.amdhsa_user_sgpr_dispatch_id 0
		.amdhsa_user_sgpr_flat_scratch_init 0
		.amdhsa_user_sgpr_private_segment_size 0
		.amdhsa_uses_dynamic_stack 0
		.amdhsa_system_sgpr_private_segment_wavefront_offset 0
		.amdhsa_system_sgpr_workgroup_id_x 1
		.amdhsa_system_sgpr_workgroup_id_y 0
		.amdhsa_system_sgpr_workgroup_id_z 0
		.amdhsa_system_sgpr_workgroup_info 0
		.amdhsa_system_vgpr_workitem_id 2
		.amdhsa_next_free_vgpr 29
		.amdhsa_next_free_sgpr 36
		.amdhsa_reserve_vcc 1
		.amdhsa_reserve_flat_scratch 0
		.amdhsa_float_round_mode_32 0
		.amdhsa_float_round_mode_16_64 0
		.amdhsa_float_denorm_mode_32 3
		.amdhsa_float_denorm_mode_16_64 3
		.amdhsa_dx10_clamp 1
		.amdhsa_ieee_mode 1
		.amdhsa_fp16_overflow 0
		.amdhsa_exception_fp_ieee_invalid_op 0
		.amdhsa_exception_fp_denorm_src 0
		.amdhsa_exception_fp_ieee_div_zero 0
		.amdhsa_exception_fp_ieee_overflow 0
		.amdhsa_exception_fp_ieee_underflow 0
		.amdhsa_exception_fp_ieee_inexact 0
		.amdhsa_exception_int_div_zero 0
	.end_amdhsa_kernel
	.section	.text._Z16sort_keys_kernelI22helper_blocked_stripedN15benchmark_utils11custom_typeIiiEELj192ELj1ELj10EEvPKT0_PS4_,"axG",@progbits,_Z16sort_keys_kernelI22helper_blocked_stripedN15benchmark_utils11custom_typeIiiEELj192ELj1ELj10EEvPKT0_PS4_,comdat
.Lfunc_end352:
	.size	_Z16sort_keys_kernelI22helper_blocked_stripedN15benchmark_utils11custom_typeIiiEELj192ELj1ELj10EEvPKT0_PS4_, .Lfunc_end352-_Z16sort_keys_kernelI22helper_blocked_stripedN15benchmark_utils11custom_typeIiiEELj192ELj1ELj10EEvPKT0_PS4_
                                        ; -- End function
	.set _Z16sort_keys_kernelI22helper_blocked_stripedN15benchmark_utils11custom_typeIiiEELj192ELj1ELj10EEvPKT0_PS4_.num_vgpr, 29
	.set _Z16sort_keys_kernelI22helper_blocked_stripedN15benchmark_utils11custom_typeIiiEELj192ELj1ELj10EEvPKT0_PS4_.num_agpr, 0
	.set _Z16sort_keys_kernelI22helper_blocked_stripedN15benchmark_utils11custom_typeIiiEELj192ELj1ELj10EEvPKT0_PS4_.numbered_sgpr, 36
	.set _Z16sort_keys_kernelI22helper_blocked_stripedN15benchmark_utils11custom_typeIiiEELj192ELj1ELj10EEvPKT0_PS4_.num_named_barrier, 0
	.set _Z16sort_keys_kernelI22helper_blocked_stripedN15benchmark_utils11custom_typeIiiEELj192ELj1ELj10EEvPKT0_PS4_.private_seg_size, 0
	.set _Z16sort_keys_kernelI22helper_blocked_stripedN15benchmark_utils11custom_typeIiiEELj192ELj1ELj10EEvPKT0_PS4_.uses_vcc, 1
	.set _Z16sort_keys_kernelI22helper_blocked_stripedN15benchmark_utils11custom_typeIiiEELj192ELj1ELj10EEvPKT0_PS4_.uses_flat_scratch, 0
	.set _Z16sort_keys_kernelI22helper_blocked_stripedN15benchmark_utils11custom_typeIiiEELj192ELj1ELj10EEvPKT0_PS4_.has_dyn_sized_stack, 0
	.set _Z16sort_keys_kernelI22helper_blocked_stripedN15benchmark_utils11custom_typeIiiEELj192ELj1ELj10EEvPKT0_PS4_.has_recursion, 0
	.set _Z16sort_keys_kernelI22helper_blocked_stripedN15benchmark_utils11custom_typeIiiEELj192ELj1ELj10EEvPKT0_PS4_.has_indirect_call, 0
	.section	.AMDGPU.csdata,"",@progbits
; Kernel info:
; codeLenInByte = 7404
; TotalNumSgprs: 40
; NumVgprs: 29
; ScratchSize: 0
; MemoryBound: 0
; FloatMode: 240
; IeeeMode: 1
; LDSByteSize: 3088 bytes/workgroup (compile time only)
; SGPRBlocks: 4
; VGPRBlocks: 7
; NumSGPRsForWavesPerEU: 40
; NumVGPRsForWavesPerEU: 29
; Occupancy: 8
; WaveLimiterHint : 0
; COMPUTE_PGM_RSRC2:SCRATCH_EN: 0
; COMPUTE_PGM_RSRC2:USER_SGPR: 6
; COMPUTE_PGM_RSRC2:TRAP_HANDLER: 0
; COMPUTE_PGM_RSRC2:TGID_X_EN: 1
; COMPUTE_PGM_RSRC2:TGID_Y_EN: 0
; COMPUTE_PGM_RSRC2:TGID_Z_EN: 0
; COMPUTE_PGM_RSRC2:TIDIG_COMP_CNT: 2
	.section	.text._Z17sort_pairs_kernelI22helper_blocked_stripedN15benchmark_utils11custom_typeIiiEELj192ELj1ELj10EEvPKT0_PS4_,"axG",@progbits,_Z17sort_pairs_kernelI22helper_blocked_stripedN15benchmark_utils11custom_typeIiiEELj192ELj1ELj10EEvPKT0_PS4_,comdat
	.protected	_Z17sort_pairs_kernelI22helper_blocked_stripedN15benchmark_utils11custom_typeIiiEELj192ELj1ELj10EEvPKT0_PS4_ ; -- Begin function _Z17sort_pairs_kernelI22helper_blocked_stripedN15benchmark_utils11custom_typeIiiEELj192ELj1ELj10EEvPKT0_PS4_
	.globl	_Z17sort_pairs_kernelI22helper_blocked_stripedN15benchmark_utils11custom_typeIiiEELj192ELj1ELj10EEvPKT0_PS4_
	.p2align	8
	.type	_Z17sort_pairs_kernelI22helper_blocked_stripedN15benchmark_utils11custom_typeIiiEELj192ELj1ELj10EEvPKT0_PS4_,@function
_Z17sort_pairs_kernelI22helper_blocked_stripedN15benchmark_utils11custom_typeIiiEELj192ELj1ELj10EEvPKT0_PS4_: ; @_Z17sort_pairs_kernelI22helper_blocked_stripedN15benchmark_utils11custom_typeIiiEELj192ELj1ELj10EEvPKT0_PS4_
; %bb.0:
	s_load_dwordx4 s[28:31], s[4:5], 0x0
	s_load_dword s24, s[4:5], 0x1c
	s_mul_i32 s36, s6, 0xc0
	s_mov_b32 s37, 0
	s_lshl_b64 s[34:35], s[36:37], 3
	s_waitcnt lgkmcnt(0)
	s_add_u32 s0, s28, s34
	s_addc_u32 s1, s29, s35
	v_lshlrev_b32_e32 v3, 3, v0
	global_load_dwordx2 v[3:4], v3, s[0:1]
	s_lshr_b32 s25, s24, 16
	s_and_b32 s24, s24, 0xffff
	v_mad_u32_u24 v1, v2, s25, v1
	v_mbcnt_lo_u32_b32 v5, -1, 0
	v_mad_u64_u32 v[1:2], s[24:25], v1, s24, v[0:1]
	v_mbcnt_hi_u32_b32 v5, -1, v5
	v_and_b32_e32 v6, 0xc0, v0
	v_subrev_co_u32_e64 v19, s[8:9], 1, v5
	v_and_b32_e32 v20, 64, v5
	v_lshlrev_b32_e32 v16, 4, v0
	v_lshrrev_b32_e32 v7, 4, v0
	v_lshlrev_b32_e32 v22, 3, v6
	v_min_u32_e32 v6, 0x80, v6
	v_cmp_lt_i32_e32 vcc, v19, v20
	v_lshlrev_b32_e32 v8, 2, v0
	v_and_b32_e32 v9, 15, v5
	v_and_b32_e32 v10, 16, v5
	v_cmp_lt_u32_e64 s[6:7], 31, v5
	v_and_b32_e32 v21, 3, v5
	v_and_b32_e32 v17, 12, v7
	v_mad_i32_i24 v18, v0, -12, v16
	v_cndmask_b32_e32 v7, v19, v5, vcc
	v_lshl_add_u32 v19, v5, 3, v22
	v_or_b32_e32 v5, 63, v6
	v_lshrrev_b32_e32 v1, 4, v1
	s_movk_i32 s28, 0xff
	v_mov_b32_e32 v11, 12
	v_mov_b32_e32 v12, 27
	;; [unrolled: 1-line block ×5, first 2 shown]
	v_cmp_gt_u32_e64 s[0:1], 3, v0
	v_cmp_lt_u32_e64 s[2:3], 63, v0
	v_cmp_eq_u32_e64 s[4:5], 0, v0
	v_cmp_eq_u32_e64 s[10:11], 0, v9
	v_cmp_lt_u32_e64 s[12:13], 1, v9
	v_cmp_lt_u32_e64 s[14:15], 3, v9
	;; [unrolled: 1-line block ×3, first 2 shown]
	v_cmp_eq_u32_e64 s[18:19], 0, v10
	v_cmp_eq_u32_e64 s[20:21], 0, v21
	v_cmp_lt_u32_e64 s[22:23], 1, v21
	v_add_u32_e32 v20, v18, v8
	v_add_u32_e32 v21, -4, v17
	v_cmp_eq_u32_e64 s[24:25], v0, v5
	v_lshlrev_b32_e32 v22, 2, v7
	v_and_b32_e32 v23, 0xffffffc, v1
	v_mov_b32_e32 v1, 0
	s_waitcnt vmcnt(0)
	v_add_u32_e32 v6, 1, v4
	v_add_u32_e32 v5, 1, v3
	v_xor_b32_e32 v3, 0x80000000, v3
	v_xor_b32_e32 v4, 0x80000000, v4
	s_branch .LBB353_2
.LBB353_1:                              ;   in Loop: Header=BB353_2 Depth=1
	s_barrier
	ds_write_b64 v2, v[9:10]
	s_waitcnt lgkmcnt(0)
	s_barrier
	ds_read_b64 v[3:4], v20
	s_waitcnt lgkmcnt(0)
	s_barrier
	ds_write_b64 v2, v[7:8]
	s_waitcnt lgkmcnt(0)
	s_barrier
	ds_read_b64 v[5:6], v20
	s_add_i32 s37, s37, 1
	s_cmp_eq_u32 s37, 10
	s_cbranch_scc1 .LBB353_38
.LBB353_2:                              ; =>This Loop Header: Depth=1
                                        ;     Child Loop BB353_28 Depth 2
	v_and_b32_e32 v2, 1, v4
	v_add_co_u32_e32 v7, vcc, -1, v2
	v_addc_co_u32_e64 v8, s[26:27], 0, -1, vcc
	v_cmp_ne_u32_e32 vcc, 0, v2
	v_xor_b32_e32 v2, vcc_hi, v8
	v_and_b32_e32 v8, exec_hi, v2
	v_lshlrev_b32_e32 v2, 30, v4
	v_xor_b32_e32 v7, vcc_lo, v7
	v_cmp_gt_i64_e32 vcc, 0, v[1:2]
	v_not_b32_e32 v2, v2
	v_ashrrev_i32_e32 v2, 31, v2
	v_and_b32_e32 v7, exec_lo, v7
	v_xor_b32_e32 v10, vcc_hi, v2
	v_xor_b32_e32 v2, vcc_lo, v2
	v_and_b32_e32 v7, v7, v2
	v_lshlrev_b32_e32 v2, 29, v4
	v_cmp_gt_i64_e32 vcc, 0, v[1:2]
	v_not_b32_e32 v2, v2
	v_ashrrev_i32_e32 v2, 31, v2
	v_and_b32_e32 v8, v8, v10
	v_xor_b32_e32 v10, vcc_hi, v2
	v_xor_b32_e32 v2, vcc_lo, v2
	v_and_b32_e32 v7, v7, v2
	v_lshlrev_b32_e32 v2, 28, v4
	v_cmp_gt_i64_e32 vcc, 0, v[1:2]
	v_not_b32_e32 v2, v2
	v_ashrrev_i32_e32 v2, 31, v2
	v_and_b32_e32 v8, v8, v10
	v_xor_b32_e32 v10, vcc_hi, v2
	v_xor_b32_e32 v2, vcc_lo, v2
	v_and_b32_e32 v7, v7, v2
	v_lshlrev_b32_e32 v2, 27, v4
	v_cmp_gt_i64_e32 vcc, 0, v[1:2]
	v_not_b32_e32 v2, v2
	v_ashrrev_i32_e32 v2, 31, v2
	v_and_b32_e32 v8, v8, v10
	v_xor_b32_e32 v10, vcc_hi, v2
	v_xor_b32_e32 v2, vcc_lo, v2
	v_and_b32_e32 v7, v7, v2
	v_lshlrev_b32_e32 v2, 26, v4
	v_cmp_gt_i64_e32 vcc, 0, v[1:2]
	v_not_b32_e32 v2, v2
	v_ashrrev_i32_e32 v2, 31, v2
	v_and_b32_e32 v8, v8, v10
	v_xor_b32_e32 v10, vcc_hi, v2
	v_xor_b32_e32 v2, vcc_lo, v2
	v_and_b32_e32 v7, v7, v2
	v_lshlrev_b32_e32 v2, 25, v4
	v_cmp_gt_i64_e32 vcc, 0, v[1:2]
	v_not_b32_e32 v2, v2
	v_ashrrev_i32_e32 v2, 31, v2
	v_and_b32_e32 v8, v8, v10
	v_xor_b32_e32 v10, vcc_hi, v2
	v_xor_b32_e32 v2, vcc_lo, v2
	v_and_b32_e32 v7, v7, v2
	v_lshlrev_b32_e32 v2, 24, v4
	v_cmp_gt_i64_e32 vcc, 0, v[1:2]
	v_not_b32_e32 v2, v2
	v_ashrrev_i32_e32 v2, 31, v2
	v_and_b32_e32 v8, v8, v10
	v_xor_b32_e32 v10, vcc_hi, v2
	v_xor_b32_e32 v2, vcc_lo, v2
	v_and_b32_e32 v7, v7, v2
	v_and_b32_e32 v8, v8, v10
	v_mbcnt_lo_u32_b32 v2, v7, 0
	v_mbcnt_hi_u32_b32 v2, v8, v2
	v_cmp_ne_u64_e32 vcc, 0, v[7:8]
	v_mul_u32_u24_sdwa v9, v4, v11 dst_sel:DWORD dst_unused:UNUSED_PAD src0_sel:BYTE_0 src1_sel:DWORD
	v_cmp_eq_u32_e64 s[26:27], 0, v2
	s_and_b64 s[38:39], s[26:27], vcc
	v_add_u32_e32 v24, v23, v9
	ds_write2_b32 v16, v1, v1 offset0:3 offset1:4
	ds_write2_b32 v16, v1, v1 offset0:5 offset1:6
	s_waitcnt lgkmcnt(0)
	s_barrier
	; wave barrier
	s_and_saveexec_b64 s[26:27], s[38:39]
; %bb.3:                                ;   in Loop: Header=BB353_2 Depth=1
	v_bcnt_u32_b32 v7, v7, 0
	v_bcnt_u32_b32 v7, v8, v7
	ds_write_b32 v24, v7 offset:12
; %bb.4:                                ;   in Loop: Header=BB353_2 Depth=1
	s_or_b64 exec, exec, s[26:27]
	; wave barrier
	s_waitcnt lgkmcnt(0)
	s_barrier
	ds_read2_b32 v[9:10], v16 offset0:3 offset1:4
	ds_read2_b32 v[7:8], v16 offset0:5 offset1:6
	s_waitcnt lgkmcnt(1)
	v_add_u32_e32 v25, v10, v9
	s_waitcnt lgkmcnt(0)
	v_add3_u32 v8, v25, v7, v8
	s_nop 1
	v_mov_b32_dpp v25, v8 row_shr:1 row_mask:0xf bank_mask:0xf
	v_cndmask_b32_e64 v25, v25, 0, s[10:11]
	v_add_u32_e32 v8, v25, v8
	s_nop 1
	v_mov_b32_dpp v25, v8 row_shr:2 row_mask:0xf bank_mask:0xf
	v_cndmask_b32_e64 v25, 0, v25, s[12:13]
	v_add_u32_e32 v8, v8, v25
	;; [unrolled: 4-line block ×4, first 2 shown]
	s_nop 1
	v_mov_b32_dpp v25, v8 row_bcast:15 row_mask:0xf bank_mask:0xf
	v_cndmask_b32_e64 v25, v25, 0, s[18:19]
	v_add_u32_e32 v8, v8, v25
	s_nop 1
	v_mov_b32_dpp v25, v8 row_bcast:31 row_mask:0xf bank_mask:0xf
	v_cndmask_b32_e64 v25, 0, v25, s[6:7]
	v_add_u32_e32 v8, v8, v25
	s_and_saveexec_b64 s[26:27], s[24:25]
; %bb.5:                                ;   in Loop: Header=BB353_2 Depth=1
	ds_write_b32 v17, v8
; %bb.6:                                ;   in Loop: Header=BB353_2 Depth=1
	s_or_b64 exec, exec, s[26:27]
	s_waitcnt lgkmcnt(0)
	s_barrier
	s_and_saveexec_b64 s[26:27], s[0:1]
	s_cbranch_execz .LBB353_8
; %bb.7:                                ;   in Loop: Header=BB353_2 Depth=1
	ds_read_b32 v25, v18
	s_waitcnt lgkmcnt(0)
	s_nop 0
	v_mov_b32_dpp v26, v25 row_shr:1 row_mask:0xf bank_mask:0xf
	v_cndmask_b32_e64 v26, v26, 0, s[20:21]
	v_add_u32_e32 v25, v26, v25
	s_nop 1
	v_mov_b32_dpp v26, v25 row_shr:2 row_mask:0xf bank_mask:0xf
	v_cndmask_b32_e64 v26, 0, v26, s[22:23]
	v_add_u32_e32 v25, v25, v26
	ds_write_b32 v18, v25
.LBB353_8:                              ;   in Loop: Header=BB353_2 Depth=1
	s_or_b64 exec, exec, s[26:27]
	v_mov_b32_e32 v25, 0
	s_waitcnt lgkmcnt(0)
	s_barrier
	s_and_saveexec_b64 s[26:27], s[2:3]
; %bb.9:                                ;   in Loop: Header=BB353_2 Depth=1
	ds_read_b32 v25, v21
; %bb.10:                               ;   in Loop: Header=BB353_2 Depth=1
	s_or_b64 exec, exec, s[26:27]
	s_waitcnt lgkmcnt(0)
	v_add_u32_e32 v8, v25, v8
	ds_bpermute_b32 v8, v22, v8
	v_lshlrev_b32_e32 v2, 3, v2
	s_waitcnt lgkmcnt(0)
	v_cndmask_b32_e64 v8, v8, v25, s[8:9]
	v_cndmask_b32_e64 v8, v8, 0, s[4:5]
	v_add_u32_e32 v9, v8, v9
	v_add_u32_e32 v10, v9, v10
	;; [unrolled: 1-line block ×3, first 2 shown]
	ds_write2_b32 v16, v8, v9 offset0:3 offset1:4
	ds_write2_b32 v16, v10, v7 offset0:5 offset1:6
	s_waitcnt lgkmcnt(0)
	s_barrier
	ds_read_b32 v7, v24 offset:12
	s_waitcnt lgkmcnt(0)
	s_barrier
	v_lshl_add_u32 v2, v7, 3, v2
	ds_write_b64 v2, v[3:4]
	s_waitcnt lgkmcnt(0)
	s_barrier
	ds_read_b64 v[3:4], v19
	s_waitcnt lgkmcnt(0)
	s_barrier
	ds_write_b64 v2, v[5:6]
	v_lshrrev_b32_e32 v7, 8, v4
	v_and_b32_e32 v2, 1, v7
	v_add_co_u32_e32 v8, vcc, -1, v2
	v_addc_co_u32_e64 v10, s[26:27], 0, -1, vcc
	v_cmp_ne_u32_e32 vcc, 0, v2
	v_xor_b32_e32 v2, vcc_hi, v10
	v_and_b32_e32 v10, exec_hi, v2
	v_lshlrev_b32_e32 v2, 30, v7
	v_xor_b32_e32 v8, vcc_lo, v8
	v_cmp_gt_i64_e32 vcc, 0, v[1:2]
	v_not_b32_e32 v2, v2
	v_ashrrev_i32_e32 v2, 31, v2
	v_and_b32_e32 v8, exec_lo, v8
	v_xor_b32_e32 v24, vcc_hi, v2
	v_xor_b32_e32 v2, vcc_lo, v2
	v_and_b32_e32 v8, v8, v2
	v_lshlrev_b32_e32 v2, 29, v7
	v_cmp_gt_i64_e32 vcc, 0, v[1:2]
	v_not_b32_e32 v2, v2
	v_ashrrev_i32_e32 v2, 31, v2
	v_and_b32_e32 v10, v10, v24
	v_xor_b32_e32 v24, vcc_hi, v2
	v_xor_b32_e32 v2, vcc_lo, v2
	v_and_b32_e32 v8, v8, v2
	v_lshlrev_b32_e32 v2, 28, v7
	v_cmp_gt_i64_e32 vcc, 0, v[1:2]
	v_not_b32_e32 v2, v2
	v_ashrrev_i32_e32 v2, 31, v2
	v_and_b32_e32 v10, v10, v24
	;; [unrolled: 8-line block ×5, first 2 shown]
	v_xor_b32_e32 v24, vcc_hi, v2
	v_xor_b32_e32 v2, vcc_lo, v2
	v_and_b32_e32 v10, v10, v24
	v_and_b32_e32 v24, v8, v2
	v_lshlrev_b32_e32 v2, 24, v7
	v_cmp_gt_i64_e32 vcc, 0, v[1:2]
	v_not_b32_e32 v2, v2
	v_ashrrev_i32_e32 v2, 31, v2
	v_mul_u32_u24_sdwa v9, v7, v11 dst_sel:DWORD dst_unused:UNUSED_PAD src0_sel:BYTE_0 src1_sel:DWORD
	v_xor_b32_e32 v7, vcc_hi, v2
	v_xor_b32_e32 v2, vcc_lo, v2
	s_waitcnt lgkmcnt(0)
	s_barrier
	ds_read_b64 v[5:6], v19
	v_and_b32_e32 v8, v10, v7
	v_and_b32_e32 v7, v24, v2
	v_mbcnt_lo_u32_b32 v2, v7, 0
	v_mbcnt_hi_u32_b32 v2, v8, v2
	v_cmp_ne_u64_e32 vcc, 0, v[7:8]
	v_cmp_eq_u32_e64 s[26:27], 0, v2
	s_and_b64 s[38:39], s[26:27], vcc
	v_add_u32_e32 v24, v23, v9
	s_waitcnt lgkmcnt(0)
	s_barrier
	ds_write2_b32 v16, v1, v1 offset0:3 offset1:4
	ds_write2_b32 v16, v1, v1 offset0:5 offset1:6
	s_waitcnt lgkmcnt(0)
	s_barrier
	; wave barrier
	s_and_saveexec_b64 s[26:27], s[38:39]
; %bb.11:                               ;   in Loop: Header=BB353_2 Depth=1
	v_bcnt_u32_b32 v7, v7, 0
	v_bcnt_u32_b32 v7, v8, v7
	ds_write_b32 v24, v7 offset:12
; %bb.12:                               ;   in Loop: Header=BB353_2 Depth=1
	s_or_b64 exec, exec, s[26:27]
	; wave barrier
	s_waitcnt lgkmcnt(0)
	s_barrier
	ds_read2_b32 v[9:10], v16 offset0:3 offset1:4
	ds_read2_b32 v[7:8], v16 offset0:5 offset1:6
	s_waitcnt lgkmcnt(1)
	v_add_u32_e32 v25, v10, v9
	s_waitcnt lgkmcnt(0)
	v_add3_u32 v8, v25, v7, v8
	s_nop 1
	v_mov_b32_dpp v25, v8 row_shr:1 row_mask:0xf bank_mask:0xf
	v_cndmask_b32_e64 v25, v25, 0, s[10:11]
	v_add_u32_e32 v8, v25, v8
	s_nop 1
	v_mov_b32_dpp v25, v8 row_shr:2 row_mask:0xf bank_mask:0xf
	v_cndmask_b32_e64 v25, 0, v25, s[12:13]
	v_add_u32_e32 v8, v8, v25
	;; [unrolled: 4-line block ×4, first 2 shown]
	s_nop 1
	v_mov_b32_dpp v25, v8 row_bcast:15 row_mask:0xf bank_mask:0xf
	v_cndmask_b32_e64 v25, v25, 0, s[18:19]
	v_add_u32_e32 v8, v8, v25
	s_nop 1
	v_mov_b32_dpp v25, v8 row_bcast:31 row_mask:0xf bank_mask:0xf
	v_cndmask_b32_e64 v25, 0, v25, s[6:7]
	v_add_u32_e32 v8, v8, v25
	s_and_saveexec_b64 s[26:27], s[24:25]
; %bb.13:                               ;   in Loop: Header=BB353_2 Depth=1
	ds_write_b32 v17, v8
; %bb.14:                               ;   in Loop: Header=BB353_2 Depth=1
	s_or_b64 exec, exec, s[26:27]
	s_waitcnt lgkmcnt(0)
	s_barrier
	s_and_saveexec_b64 s[26:27], s[0:1]
	s_cbranch_execz .LBB353_16
; %bb.15:                               ;   in Loop: Header=BB353_2 Depth=1
	ds_read_b32 v25, v18
	s_waitcnt lgkmcnt(0)
	s_nop 0
	v_mov_b32_dpp v26, v25 row_shr:1 row_mask:0xf bank_mask:0xf
	v_cndmask_b32_e64 v26, v26, 0, s[20:21]
	v_add_u32_e32 v25, v26, v25
	s_nop 1
	v_mov_b32_dpp v26, v25 row_shr:2 row_mask:0xf bank_mask:0xf
	v_cndmask_b32_e64 v26, 0, v26, s[22:23]
	v_add_u32_e32 v25, v25, v26
	ds_write_b32 v18, v25
.LBB353_16:                             ;   in Loop: Header=BB353_2 Depth=1
	s_or_b64 exec, exec, s[26:27]
	v_mov_b32_e32 v25, 0
	s_waitcnt lgkmcnt(0)
	s_barrier
	s_and_saveexec_b64 s[26:27], s[2:3]
; %bb.17:                               ;   in Loop: Header=BB353_2 Depth=1
	ds_read_b32 v25, v21
; %bb.18:                               ;   in Loop: Header=BB353_2 Depth=1
	s_or_b64 exec, exec, s[26:27]
	s_waitcnt lgkmcnt(0)
	v_add_u32_e32 v8, v25, v8
	ds_bpermute_b32 v8, v22, v8
	v_lshlrev_b32_e32 v2, 3, v2
	s_waitcnt lgkmcnt(0)
	v_cndmask_b32_e64 v8, v8, v25, s[8:9]
	v_cndmask_b32_e64 v8, v8, 0, s[4:5]
	v_add_u32_e32 v9, v8, v9
	v_add_u32_e32 v10, v9, v10
	;; [unrolled: 1-line block ×3, first 2 shown]
	ds_write2_b32 v16, v8, v9 offset0:3 offset1:4
	ds_write2_b32 v16, v10, v7 offset0:5 offset1:6
	s_waitcnt lgkmcnt(0)
	s_barrier
	ds_read_b32 v7, v24 offset:12
	s_waitcnt lgkmcnt(0)
	s_barrier
	v_lshl_add_u32 v2, v7, 3, v2
	ds_write_b64 v2, v[3:4]
	s_waitcnt lgkmcnt(0)
	s_barrier
	ds_read_b64 v[3:4], v19
	s_waitcnt lgkmcnt(0)
	s_barrier
	ds_write_b64 v2, v[5:6]
	v_and_b32_sdwa v2, v4, s28 dst_sel:DWORD dst_unused:UNUSED_PAD src0_sel:WORD_1 src1_sel:DWORD
	v_mul_u32_u24_e32 v9, 12, v2
	v_mov_b32_e32 v2, 1
	v_and_b32_sdwa v2, v4, v2 dst_sel:DWORD dst_unused:UNUSED_PAD src0_sel:WORD_1 src1_sel:DWORD
	v_add_co_u32_e32 v7, vcc, -1, v2
	v_addc_co_u32_e64 v8, s[26:27], 0, -1, vcc
	v_cmp_ne_u32_e32 vcc, 0, v2
	v_xor_b32_e32 v2, vcc_hi, v8
	v_and_b32_e32 v8, exec_hi, v2
	v_mov_b32_e32 v2, 30
	v_lshlrev_b32_sdwa v2, v2, v4 dst_sel:DWORD dst_unused:UNUSED_PAD src0_sel:DWORD src1_sel:WORD_1
	v_xor_b32_e32 v7, vcc_lo, v7
	v_cmp_gt_i64_e32 vcc, 0, v[1:2]
	v_not_b32_e32 v2, v2
	v_ashrrev_i32_e32 v2, 31, v2
	v_and_b32_e32 v7, exec_lo, v7
	v_xor_b32_e32 v10, vcc_hi, v2
	v_xor_b32_e32 v2, vcc_lo, v2
	v_and_b32_e32 v7, v7, v2
	v_mov_b32_e32 v2, 29
	v_lshlrev_b32_sdwa v2, v2, v4 dst_sel:DWORD dst_unused:UNUSED_PAD src0_sel:DWORD src1_sel:WORD_1
	v_cmp_gt_i64_e32 vcc, 0, v[1:2]
	v_not_b32_e32 v2, v2
	v_ashrrev_i32_e32 v2, 31, v2
	v_and_b32_e32 v8, v8, v10
	v_xor_b32_e32 v10, vcc_hi, v2
	v_xor_b32_e32 v2, vcc_lo, v2
	v_and_b32_e32 v7, v7, v2
	v_mov_b32_e32 v2, 28
	v_lshlrev_b32_sdwa v2, v2, v4 dst_sel:DWORD dst_unused:UNUSED_PAD src0_sel:DWORD src1_sel:WORD_1
	v_cmp_gt_i64_e32 vcc, 0, v[1:2]
	v_not_b32_e32 v2, v2
	v_ashrrev_i32_e32 v2, 31, v2
	v_and_b32_e32 v8, v8, v10
	v_xor_b32_e32 v10, vcc_hi, v2
	v_xor_b32_e32 v2, vcc_lo, v2
	v_and_b32_e32 v7, v7, v2
	v_lshlrev_b32_sdwa v2, v12, v4 dst_sel:DWORD dst_unused:UNUSED_PAD src0_sel:DWORD src1_sel:WORD_1
	v_cmp_gt_i64_e32 vcc, 0, v[1:2]
	v_not_b32_e32 v2, v2
	v_ashrrev_i32_e32 v2, 31, v2
	v_and_b32_e32 v8, v8, v10
	v_xor_b32_e32 v10, vcc_hi, v2
	v_xor_b32_e32 v2, vcc_lo, v2
	v_and_b32_e32 v7, v7, v2
	;; [unrolled: 8-line block ×4, first 2 shown]
	v_lshlrev_b32_sdwa v2, v15, v4 dst_sel:DWORD dst_unused:UNUSED_PAD src0_sel:DWORD src1_sel:WORD_1
	v_cmp_gt_i64_e32 vcc, 0, v[1:2]
	v_not_b32_e32 v2, v2
	v_ashrrev_i32_e32 v2, 31, v2
	v_and_b32_e32 v8, v8, v10
	v_xor_b32_e32 v10, vcc_hi, v2
	v_xor_b32_e32 v2, vcc_lo, v2
	s_waitcnt lgkmcnt(0)
	s_barrier
	ds_read_b64 v[5:6], v19
	v_and_b32_e32 v7, v7, v2
	v_and_b32_e32 v8, v8, v10
	v_mbcnt_lo_u32_b32 v2, v7, 0
	v_mbcnt_hi_u32_b32 v2, v8, v2
	v_cmp_ne_u64_e32 vcc, 0, v[7:8]
	v_cmp_eq_u32_e64 s[26:27], 0, v2
	s_and_b64 s[38:39], s[26:27], vcc
	v_add_u32_e32 v24, v23, v9
	s_waitcnt lgkmcnt(0)
	s_barrier
	ds_write2_b32 v16, v1, v1 offset0:3 offset1:4
	ds_write2_b32 v16, v1, v1 offset0:5 offset1:6
	s_waitcnt lgkmcnt(0)
	s_barrier
	; wave barrier
	s_and_saveexec_b64 s[26:27], s[38:39]
; %bb.19:                               ;   in Loop: Header=BB353_2 Depth=1
	v_bcnt_u32_b32 v7, v7, 0
	v_bcnt_u32_b32 v7, v8, v7
	ds_write_b32 v24, v7 offset:12
; %bb.20:                               ;   in Loop: Header=BB353_2 Depth=1
	s_or_b64 exec, exec, s[26:27]
	; wave barrier
	s_waitcnt lgkmcnt(0)
	s_barrier
	ds_read2_b32 v[9:10], v16 offset0:3 offset1:4
	ds_read2_b32 v[7:8], v16 offset0:5 offset1:6
	s_waitcnt lgkmcnt(1)
	v_add_u32_e32 v25, v10, v9
	s_waitcnt lgkmcnt(0)
	v_add3_u32 v8, v25, v7, v8
	s_nop 1
	v_mov_b32_dpp v25, v8 row_shr:1 row_mask:0xf bank_mask:0xf
	v_cndmask_b32_e64 v25, v25, 0, s[10:11]
	v_add_u32_e32 v8, v25, v8
	s_nop 1
	v_mov_b32_dpp v25, v8 row_shr:2 row_mask:0xf bank_mask:0xf
	v_cndmask_b32_e64 v25, 0, v25, s[12:13]
	v_add_u32_e32 v8, v8, v25
	;; [unrolled: 4-line block ×4, first 2 shown]
	s_nop 1
	v_mov_b32_dpp v25, v8 row_bcast:15 row_mask:0xf bank_mask:0xf
	v_cndmask_b32_e64 v25, v25, 0, s[18:19]
	v_add_u32_e32 v8, v8, v25
	s_nop 1
	v_mov_b32_dpp v25, v8 row_bcast:31 row_mask:0xf bank_mask:0xf
	v_cndmask_b32_e64 v25, 0, v25, s[6:7]
	v_add_u32_e32 v8, v8, v25
	s_and_saveexec_b64 s[26:27], s[24:25]
; %bb.21:                               ;   in Loop: Header=BB353_2 Depth=1
	ds_write_b32 v17, v8
; %bb.22:                               ;   in Loop: Header=BB353_2 Depth=1
	s_or_b64 exec, exec, s[26:27]
	s_waitcnt lgkmcnt(0)
	s_barrier
	s_and_saveexec_b64 s[26:27], s[0:1]
	s_cbranch_execz .LBB353_24
; %bb.23:                               ;   in Loop: Header=BB353_2 Depth=1
	ds_read_b32 v25, v18
	s_waitcnt lgkmcnt(0)
	s_nop 0
	v_mov_b32_dpp v26, v25 row_shr:1 row_mask:0xf bank_mask:0xf
	v_cndmask_b32_e64 v26, v26, 0, s[20:21]
	v_add_u32_e32 v25, v26, v25
	s_nop 1
	v_mov_b32_dpp v26, v25 row_shr:2 row_mask:0xf bank_mask:0xf
	v_cndmask_b32_e64 v26, 0, v26, s[22:23]
	v_add_u32_e32 v25, v25, v26
	ds_write_b32 v18, v25
.LBB353_24:                             ;   in Loop: Header=BB353_2 Depth=1
	s_or_b64 exec, exec, s[26:27]
	v_mov_b32_e32 v25, 0
	s_waitcnt lgkmcnt(0)
	s_barrier
	s_and_saveexec_b64 s[26:27], s[2:3]
; %bb.25:                               ;   in Loop: Header=BB353_2 Depth=1
	ds_read_b32 v25, v21
; %bb.26:                               ;   in Loop: Header=BB353_2 Depth=1
	s_or_b64 exec, exec, s[26:27]
	s_waitcnt lgkmcnt(0)
	v_add_u32_e32 v8, v25, v8
	ds_bpermute_b32 v8, v22, v8
	v_lshlrev_b32_e32 v2, 3, v2
	s_mov_b32 s29, 24
	s_mov_b32 s33, 8
	s_waitcnt lgkmcnt(0)
	v_cndmask_b32_e64 v8, v8, v25, s[8:9]
	v_cndmask_b32_e64 v8, v8, 0, s[4:5]
	v_add_u32_e32 v9, v8, v9
	v_add_u32_e32 v10, v9, v10
	;; [unrolled: 1-line block ×3, first 2 shown]
	ds_write2_b32 v16, v8, v9 offset0:3 offset1:4
	ds_write2_b32 v16, v10, v7 offset0:5 offset1:6
	s_waitcnt lgkmcnt(0)
	s_barrier
	ds_read_b32 v7, v24 offset:12
	s_waitcnt lgkmcnt(0)
	s_barrier
	v_lshl_add_u32 v2, v7, 3, v2
	ds_write_b64 v2, v[3:4]
	s_waitcnt lgkmcnt(0)
	s_barrier
	ds_read_b64 v[3:4], v19
	s_waitcnt lgkmcnt(0)
	s_barrier
	ds_write_b64 v2, v[5:6]
	s_waitcnt lgkmcnt(0)
	s_barrier
	ds_read_b64 v[5:6], v19
	s_waitcnt lgkmcnt(0)
	s_barrier
	s_branch .LBB353_28
.LBB353_27:                             ;   in Loop: Header=BB353_28 Depth=2
	s_barrier
	ds_write_b64 v2, v[9:10]
	s_waitcnt lgkmcnt(0)
	s_barrier
	ds_read_b64 v[3:4], v19
	s_waitcnt lgkmcnt(0)
	s_barrier
	ds_write_b64 v2, v[7:8]
	s_waitcnt lgkmcnt(0)
	s_barrier
	ds_read_b64 v[5:6], v19
	s_add_i32 s33, s33, -8
	s_add_i32 s29, s29, 8
	s_waitcnt lgkmcnt(0)
	s_barrier
	s_cbranch_execz .LBB353_1
.LBB353_28:                             ;   Parent Loop BB353_2 Depth=1
                                        ; =>  This Inner Loop Header: Depth=2
	s_cmp_lt_u32 s29, 32
	s_cselect_b64 vcc, -1, 0
	s_cmp_gt_u32 s29, 31
	s_cselect_b64 s[26:27], -1, 0
	s_max_i32 s36, s33, 0
	s_max_i32 s38, s29, 32
	s_sub_i32 s39, s38, 32
	s_sub_i32 s38, s38, s36
	;; [unrolled: 1-line block ×3, first 2 shown]
	s_min_i32 s38, s38, 32
	s_sub_i32 s38, s38, s39
	s_lshl_b32 s40, -1, s38
	s_not_b32 s40, s40
	s_cmp_lg_u32 s38, 32
	s_cselect_b32 s38, s40, -1
	v_lshrrev_b32_e32 v7, s39, v3
	v_lshrrev_b32_e32 v2, s29, v4
	v_and_b32_e32 v7, s38, v7
	v_bfe_u32 v2, v2, 0, s33
	v_lshlrev_b32_e32 v7, s36, v7
	v_cndmask_b32_e32 v2, 0, v2, vcc
	v_cndmask_b32_e64 v7, 0, v7, s[26:27]
	v_or_b32_e32 v7, v2, v7
	v_and_b32_e32 v2, 1, v7
	v_add_co_u32_e32 v8, vcc, -1, v2
	v_addc_co_u32_e64 v10, s[26:27], 0, -1, vcc
	v_cmp_ne_u32_e32 vcc, 0, v2
	v_xor_b32_e32 v2, vcc_hi, v10
	v_and_b32_e32 v10, exec_hi, v2
	v_lshlrev_b32_e32 v2, 30, v7
	v_xor_b32_e32 v8, vcc_lo, v8
	v_cmp_gt_i64_e32 vcc, 0, v[1:2]
	v_not_b32_e32 v2, v2
	v_ashrrev_i32_e32 v2, 31, v2
	v_and_b32_e32 v8, exec_lo, v8
	v_xor_b32_e32 v24, vcc_hi, v2
	v_xor_b32_e32 v2, vcc_lo, v2
	v_and_b32_e32 v8, v8, v2
	v_lshlrev_b32_e32 v2, 29, v7
	v_cmp_gt_i64_e32 vcc, 0, v[1:2]
	v_not_b32_e32 v2, v2
	v_ashrrev_i32_e32 v2, 31, v2
	v_and_b32_e32 v10, v10, v24
	v_xor_b32_e32 v24, vcc_hi, v2
	v_xor_b32_e32 v2, vcc_lo, v2
	v_and_b32_e32 v8, v8, v2
	v_lshlrev_b32_e32 v2, 28, v7
	v_cmp_gt_i64_e32 vcc, 0, v[1:2]
	v_not_b32_e32 v2, v2
	v_ashrrev_i32_e32 v2, 31, v2
	v_and_b32_e32 v10, v10, v24
	;; [unrolled: 8-line block ×5, first 2 shown]
	v_xor_b32_e32 v24, vcc_hi, v2
	v_xor_b32_e32 v2, vcc_lo, v2
	v_and_b32_e32 v10, v10, v24
	v_and_b32_e32 v24, v8, v2
	v_lshlrev_b32_e32 v2, 24, v7
	v_cmp_gt_i64_e32 vcc, 0, v[1:2]
	v_not_b32_e32 v2, v2
	v_ashrrev_i32_e32 v2, 31, v2
	v_mul_lo_u32 v9, v7, 12
	v_xor_b32_e32 v7, vcc_hi, v2
	v_xor_b32_e32 v2, vcc_lo, v2
	v_and_b32_e32 v8, v10, v7
	v_and_b32_e32 v7, v24, v2
	v_mbcnt_lo_u32_b32 v2, v7, 0
	v_mbcnt_hi_u32_b32 v2, v8, v2
	v_cmp_ne_u64_e32 vcc, 0, v[7:8]
	v_cmp_eq_u32_e64 s[26:27], 0, v2
	s_and_b64 s[38:39], s[26:27], vcc
	v_add_u32_e32 v24, v23, v9
	ds_write2_b32 v16, v1, v1 offset0:3 offset1:4
	ds_write2_b32 v16, v1, v1 offset0:5 offset1:6
	s_waitcnt lgkmcnt(0)
	s_barrier
	; wave barrier
	s_and_saveexec_b64 s[26:27], s[38:39]
; %bb.29:                               ;   in Loop: Header=BB353_28 Depth=2
	v_bcnt_u32_b32 v7, v7, 0
	v_bcnt_u32_b32 v7, v8, v7
	ds_write_b32 v24, v7 offset:12
; %bb.30:                               ;   in Loop: Header=BB353_28 Depth=2
	s_or_b64 exec, exec, s[26:27]
	; wave barrier
	s_waitcnt lgkmcnt(0)
	s_barrier
	ds_read2_b32 v[9:10], v16 offset0:3 offset1:4
	ds_read2_b32 v[7:8], v16 offset0:5 offset1:6
	s_waitcnt lgkmcnt(1)
	v_add_u32_e32 v25, v10, v9
	s_waitcnt lgkmcnt(0)
	v_add3_u32 v8, v25, v7, v8
	s_nop 1
	v_mov_b32_dpp v25, v8 row_shr:1 row_mask:0xf bank_mask:0xf
	v_cndmask_b32_e64 v25, v25, 0, s[10:11]
	v_add_u32_e32 v8, v25, v8
	s_nop 1
	v_mov_b32_dpp v25, v8 row_shr:2 row_mask:0xf bank_mask:0xf
	v_cndmask_b32_e64 v25, 0, v25, s[12:13]
	v_add_u32_e32 v8, v8, v25
	;; [unrolled: 4-line block ×4, first 2 shown]
	s_nop 1
	v_mov_b32_dpp v25, v8 row_bcast:15 row_mask:0xf bank_mask:0xf
	v_cndmask_b32_e64 v25, v25, 0, s[18:19]
	v_add_u32_e32 v8, v8, v25
	s_nop 1
	v_mov_b32_dpp v25, v8 row_bcast:31 row_mask:0xf bank_mask:0xf
	v_cndmask_b32_e64 v25, 0, v25, s[6:7]
	v_add_u32_e32 v8, v8, v25
	s_and_saveexec_b64 s[26:27], s[24:25]
; %bb.31:                               ;   in Loop: Header=BB353_28 Depth=2
	ds_write_b32 v17, v8
; %bb.32:                               ;   in Loop: Header=BB353_28 Depth=2
	s_or_b64 exec, exec, s[26:27]
	s_waitcnt lgkmcnt(0)
	s_barrier
	s_and_saveexec_b64 s[26:27], s[0:1]
	s_cbranch_execz .LBB353_34
; %bb.33:                               ;   in Loop: Header=BB353_28 Depth=2
	ds_read_b32 v25, v18
	s_waitcnt lgkmcnt(0)
	s_nop 0
	v_mov_b32_dpp v26, v25 row_shr:1 row_mask:0xf bank_mask:0xf
	v_cndmask_b32_e64 v26, v26, 0, s[20:21]
	v_add_u32_e32 v25, v26, v25
	s_nop 1
	v_mov_b32_dpp v26, v25 row_shr:2 row_mask:0xf bank_mask:0xf
	v_cndmask_b32_e64 v26, 0, v26, s[22:23]
	v_add_u32_e32 v25, v25, v26
	ds_write_b32 v18, v25
.LBB353_34:                             ;   in Loop: Header=BB353_28 Depth=2
	s_or_b64 exec, exec, s[26:27]
	v_mov_b32_e32 v25, 0
	s_waitcnt lgkmcnt(0)
	s_barrier
	s_and_saveexec_b64 s[26:27], s[2:3]
; %bb.35:                               ;   in Loop: Header=BB353_28 Depth=2
	ds_read_b32 v25, v21
; %bb.36:                               ;   in Loop: Header=BB353_28 Depth=2
	s_or_b64 exec, exec, s[26:27]
	s_waitcnt lgkmcnt(0)
	v_add_u32_e32 v8, v25, v8
	ds_bpermute_b32 v8, v22, v8
	v_lshlrev_b32_e32 v2, 3, v2
	s_cmp_gt_u32 s29, 55
	s_waitcnt lgkmcnt(0)
	v_cndmask_b32_e64 v8, v8, v25, s[8:9]
	v_cndmask_b32_e64 v8, v8, 0, s[4:5]
	v_add_u32_e32 v9, v8, v9
	v_add_u32_e32 v10, v9, v10
	;; [unrolled: 1-line block ×3, first 2 shown]
	ds_write2_b32 v16, v8, v9 offset0:3 offset1:4
	ds_write2_b32 v16, v10, v7 offset0:5 offset1:6
	s_waitcnt lgkmcnt(0)
	s_barrier
	ds_read_b32 v7, v24 offset:12
	v_mov_b32_e32 v9, v3
	v_mov_b32_e32 v10, v4
	;; [unrolled: 1-line block ×3, first 2 shown]
	s_waitcnt lgkmcnt(0)
	v_lshl_add_u32 v2, v7, 3, v2
	v_mov_b32_e32 v7, v5
	s_cbranch_scc0 .LBB353_27
; %bb.37:                               ;   in Loop: Header=BB353_2 Depth=1
                                        ; implicit-def: $sgpr29
                                        ; implicit-def: $vgpr5
                                        ; implicit-def: $vgpr3
                                        ; implicit-def: $sgpr33
	s_branch .LBB353_1
.LBB353_38:
	s_brev_b32 s0, 1
	s_waitcnt lgkmcnt(0)
	v_add3_u32 v1, v5, v3, s0
	v_add3_u32 v2, v6, v4, s0
	s_add_u32 s0, s30, s34
	s_addc_u32 s1, s31, s35
	v_lshlrev_b32_e32 v0, 3, v0
	global_store_dwordx2 v0, v[1:2], s[0:1]
	s_endpgm
	.section	.rodata,"a",@progbits
	.p2align	6, 0x0
	.amdhsa_kernel _Z17sort_pairs_kernelI22helper_blocked_stripedN15benchmark_utils11custom_typeIiiEELj192ELj1ELj10EEvPKT0_PS4_
		.amdhsa_group_segment_fixed_size 3088
		.amdhsa_private_segment_fixed_size 0
		.amdhsa_kernarg_size 272
		.amdhsa_user_sgpr_count 6
		.amdhsa_user_sgpr_private_segment_buffer 1
		.amdhsa_user_sgpr_dispatch_ptr 0
		.amdhsa_user_sgpr_queue_ptr 0
		.amdhsa_user_sgpr_kernarg_segment_ptr 1
		.amdhsa_user_sgpr_dispatch_id 0
		.amdhsa_user_sgpr_flat_scratch_init 0
		.amdhsa_user_sgpr_private_segment_size 0
		.amdhsa_uses_dynamic_stack 0
		.amdhsa_system_sgpr_private_segment_wavefront_offset 0
		.amdhsa_system_sgpr_workgroup_id_x 1
		.amdhsa_system_sgpr_workgroup_id_y 0
		.amdhsa_system_sgpr_workgroup_id_z 0
		.amdhsa_system_sgpr_workgroup_info 0
		.amdhsa_system_vgpr_workitem_id 2
		.amdhsa_next_free_vgpr 27
		.amdhsa_next_free_sgpr 41
		.amdhsa_reserve_vcc 1
		.amdhsa_reserve_flat_scratch 0
		.amdhsa_float_round_mode_32 0
		.amdhsa_float_round_mode_16_64 0
		.amdhsa_float_denorm_mode_32 3
		.amdhsa_float_denorm_mode_16_64 3
		.amdhsa_dx10_clamp 1
		.amdhsa_ieee_mode 1
		.amdhsa_fp16_overflow 0
		.amdhsa_exception_fp_ieee_invalid_op 0
		.amdhsa_exception_fp_denorm_src 0
		.amdhsa_exception_fp_ieee_div_zero 0
		.amdhsa_exception_fp_ieee_overflow 0
		.amdhsa_exception_fp_ieee_underflow 0
		.amdhsa_exception_fp_ieee_inexact 0
		.amdhsa_exception_int_div_zero 0
	.end_amdhsa_kernel
	.section	.text._Z17sort_pairs_kernelI22helper_blocked_stripedN15benchmark_utils11custom_typeIiiEELj192ELj1ELj10EEvPKT0_PS4_,"axG",@progbits,_Z17sort_pairs_kernelI22helper_blocked_stripedN15benchmark_utils11custom_typeIiiEELj192ELj1ELj10EEvPKT0_PS4_,comdat
.Lfunc_end353:
	.size	_Z17sort_pairs_kernelI22helper_blocked_stripedN15benchmark_utils11custom_typeIiiEELj192ELj1ELj10EEvPKT0_PS4_, .Lfunc_end353-_Z17sort_pairs_kernelI22helper_blocked_stripedN15benchmark_utils11custom_typeIiiEELj192ELj1ELj10EEvPKT0_PS4_
                                        ; -- End function
	.set _Z17sort_pairs_kernelI22helper_blocked_stripedN15benchmark_utils11custom_typeIiiEELj192ELj1ELj10EEvPKT0_PS4_.num_vgpr, 27
	.set _Z17sort_pairs_kernelI22helper_blocked_stripedN15benchmark_utils11custom_typeIiiEELj192ELj1ELj10EEvPKT0_PS4_.num_agpr, 0
	.set _Z17sort_pairs_kernelI22helper_blocked_stripedN15benchmark_utils11custom_typeIiiEELj192ELj1ELj10EEvPKT0_PS4_.numbered_sgpr, 41
	.set _Z17sort_pairs_kernelI22helper_blocked_stripedN15benchmark_utils11custom_typeIiiEELj192ELj1ELj10EEvPKT0_PS4_.num_named_barrier, 0
	.set _Z17sort_pairs_kernelI22helper_blocked_stripedN15benchmark_utils11custom_typeIiiEELj192ELj1ELj10EEvPKT0_PS4_.private_seg_size, 0
	.set _Z17sort_pairs_kernelI22helper_blocked_stripedN15benchmark_utils11custom_typeIiiEELj192ELj1ELj10EEvPKT0_PS4_.uses_vcc, 1
	.set _Z17sort_pairs_kernelI22helper_blocked_stripedN15benchmark_utils11custom_typeIiiEELj192ELj1ELj10EEvPKT0_PS4_.uses_flat_scratch, 0
	.set _Z17sort_pairs_kernelI22helper_blocked_stripedN15benchmark_utils11custom_typeIiiEELj192ELj1ELj10EEvPKT0_PS4_.has_dyn_sized_stack, 0
	.set _Z17sort_pairs_kernelI22helper_blocked_stripedN15benchmark_utils11custom_typeIiiEELj192ELj1ELj10EEvPKT0_PS4_.has_recursion, 0
	.set _Z17sort_pairs_kernelI22helper_blocked_stripedN15benchmark_utils11custom_typeIiiEELj192ELj1ELj10EEvPKT0_PS4_.has_indirect_call, 0
	.section	.AMDGPU.csdata,"",@progbits
; Kernel info:
; codeLenInByte = 4072
; TotalNumSgprs: 45
; NumVgprs: 27
; ScratchSize: 0
; MemoryBound: 0
; FloatMode: 240
; IeeeMode: 1
; LDSByteSize: 3088 bytes/workgroup (compile time only)
; SGPRBlocks: 5
; VGPRBlocks: 6
; NumSGPRsForWavesPerEU: 45
; NumVGPRsForWavesPerEU: 27
; Occupancy: 9
; WaveLimiterHint : 0
; COMPUTE_PGM_RSRC2:SCRATCH_EN: 0
; COMPUTE_PGM_RSRC2:USER_SGPR: 6
; COMPUTE_PGM_RSRC2:TRAP_HANDLER: 0
; COMPUTE_PGM_RSRC2:TGID_X_EN: 1
; COMPUTE_PGM_RSRC2:TGID_Y_EN: 0
; COMPUTE_PGM_RSRC2:TGID_Z_EN: 0
; COMPUTE_PGM_RSRC2:TIDIG_COMP_CNT: 2
	.section	.text._Z16sort_keys_kernelI22helper_blocked_stripedN15benchmark_utils11custom_typeIiiEELj192ELj3ELj10EEvPKT0_PS4_,"axG",@progbits,_Z16sort_keys_kernelI22helper_blocked_stripedN15benchmark_utils11custom_typeIiiEELj192ELj3ELj10EEvPKT0_PS4_,comdat
	.protected	_Z16sort_keys_kernelI22helper_blocked_stripedN15benchmark_utils11custom_typeIiiEELj192ELj3ELj10EEvPKT0_PS4_ ; -- Begin function _Z16sort_keys_kernelI22helper_blocked_stripedN15benchmark_utils11custom_typeIiiEELj192ELj3ELj10EEvPKT0_PS4_
	.globl	_Z16sort_keys_kernelI22helper_blocked_stripedN15benchmark_utils11custom_typeIiiEELj192ELj3ELj10EEvPKT0_PS4_
	.p2align	8
	.type	_Z16sort_keys_kernelI22helper_blocked_stripedN15benchmark_utils11custom_typeIiiEELj192ELj3ELj10EEvPKT0_PS4_,@function
_Z16sort_keys_kernelI22helper_blocked_stripedN15benchmark_utils11custom_typeIiiEELj192ELj3ELj10EEvPKT0_PS4_: ; @_Z16sort_keys_kernelI22helper_blocked_stripedN15benchmark_utils11custom_typeIiiEELj192ELj3ELj10EEvPKT0_PS4_
; %bb.0:
	s_load_dwordx4 s[36:39], s[4:5], 0x0
	s_load_dword s2, s[4:5], 0x1c
	s_mul_i32 s34, s6, 0x240
	s_mov_b32 s35, 0
	s_lshl_b64 s[40:41], s[34:35], 3
	s_waitcnt lgkmcnt(0)
	s_add_u32 s0, s36, s40
	v_mul_u32_u24_e32 v3, 3, v0
	s_addc_u32 s1, s37, s41
	v_lshlrev_b32_e32 v7, 3, v3
	global_load_dwordx2 v[8:9], v7, s[0:1] offset:16
	global_load_dwordx4 v[3:6], v7, s[0:1]
	global_load_dwordx2 v[3:4], v7, s[0:1]
                                        ; kill: killed $sgpr0 killed $sgpr1
	s_lshr_b32 s0, s2, 16
                                        ; kill: killed $vgpr7
	v_mbcnt_lo_u32_b32 v7, -1, 0
	s_and_b32 s1, s2, 0xffff
	v_mad_u32_u24 v1, v2, s0, v1
	v_mbcnt_hi_u32_b32 v7, -1, v7
	v_mad_u64_u32 v[1:2], s[0:1], v1, s1, v[0:1]
	v_lshrrev_b32_e32 v10, 6, v0
	v_and_b32_e32 v2, 15, v7
	v_mul_u32_u24_e32 v11, 0xc0, v10
	v_cmp_eq_u32_e64 s[0:1], 0, v2
	v_cmp_lt_u32_e64 s[2:3], 1, v2
	v_cmp_lt_u32_e64 s[4:5], 3, v2
	v_cmp_lt_u32_e64 s[6:7], 7, v2
	v_and_b32_e32 v2, 16, v7
	v_lshlrev_b32_e32 v11, 3, v11
	v_lshlrev_b32_e32 v12, 3, v7
	v_cmp_eq_u32_e64 s[8:9], 0, v2
	v_and_b32_e32 v2, 0xc0, v0
	v_mad_u32_u24 v15, v7, 24, v11
	v_add_u32_e32 v16, v12, v11
	v_min_u32_e32 v11, 0x80, v2
	v_or_b32_e32 v11, 63, v11
	v_cmp_eq_u32_e64 s[10:11], v0, v11
	v_subrev_co_u32_e64 v11, s[12:13], 1, v7
	v_and_b32_e32 v13, 64, v7
	v_cmp_lt_i32_e32 vcc, v11, v13
	v_lshlrev_b32_e32 v17, 4, v0
	v_lshrrev_b32_e32 v1, 4, v1
	v_cmp_lt_u32_e64 s[14:15], 31, v7
	v_cndmask_b32_e32 v11, v11, v7, vcc
	v_and_b32_e32 v7, 3, v7
	v_mad_i32_i24 v20, v0, -12, v17
	v_mul_u32_u24_e32 v2, 24, v2
	v_and_b32_e32 v21, 0xffffffc, v1
	v_lshlrev_b32_e32 v1, 2, v0
	v_cmp_gt_u32_e64 s[16:17], 3, v0
	v_cmp_lt_u32_e64 s[18:19], 63, v0
	v_lshlrev_b32_e32 v18, 2, v11
	v_cmp_eq_u32_e64 s[20:21], 0, v0
	v_lshlrev_b32_e32 v19, 2, v10
	v_cmp_eq_u32_e64 s[22:23], 0, v7
	v_cmp_lt_u32_e64 s[24:25], 1, v7
	v_add_u32_e32 v22, v12, v2
	v_add_u32_e32 v23, v20, v1
	v_mov_b32_e32 v7, 0
	s_branch .LBB354_2
.LBB354_1:                              ;   in Loop: Header=BB354_2 Depth=1
	s_barrier
	ds_write_b64 v25, v[11:12]
	ds_write_b64 v24, v[9:10]
	;; [unrolled: 1-line block ×3, first 2 shown]
	s_waitcnt lgkmcnt(0)
	s_barrier
	ds_read2st64_b64 v[3:6], v23 offset1:3
	ds_read_b64 v[1:2], v23 offset:3072
	s_add_i32 s35, s35, 1
	s_cmp_eq_u32 s35, 10
	s_waitcnt lgkmcnt(1)
	v_xor_b32_e32 v3, 0x80000000, v3
	v_xor_b32_e32 v4, 0x80000000, v4
	;; [unrolled: 1-line block ×4, first 2 shown]
	s_waitcnt lgkmcnt(0)
	v_xor_b32_e32 v8, 0x80000000, v1
	v_xor_b32_e32 v9, 0x80000000, v2
	s_cbranch_scc1 .LBB354_18
.LBB354_2:                              ; =>This Loop Header: Depth=1
                                        ;     Child Loop BB354_4 Depth 2
	s_waitcnt vmcnt(0)
	v_xor_b32_e32 v2, 0x80000000, v4
	v_xor_b32_e32 v1, 0x80000000, v3
	;; [unrolled: 1-line block ×6, first 2 shown]
	ds_write2_b64 v15, v[1:2], v[3:4] offset1:1
	ds_write_b64 v15, v[5:6] offset:16
	; wave barrier
	ds_read2st64_b64 v[1:4], v16 offset1:1
	ds_read_b64 v[13:14], v16 offset:1024
	s_mov_b32 s33, 8
	s_mov_b32 s34, 32
	;; [unrolled: 1-line block ×3, first 2 shown]
	s_waitcnt lgkmcnt(0)
	s_barrier
	; wave barrier
	s_barrier
	s_branch .LBB354_4
.LBB354_3:                              ;   in Loop: Header=BB354_4 Depth=2
	s_andn2_b64 vcc, exec, s[26:27]
	s_cbranch_vccz .LBB354_1
.LBB354_4:                              ;   Parent Loop BB354_2 Depth=1
                                        ; =>  This Inner Loop Header: Depth=2
	s_min_i32 s28, s33, 32
	s_cmp_lt_u32 s36, 32
	s_cselect_b64 s[26:27], -1, 0
	s_cmp_gt_u32 s36, 31
	s_cselect_b64 vcc, -1, 0
	s_sub_i32 s28, s28, 32
	s_add_i32 s29, s28, s34
	s_lshl_b32 s29, -1, s29
	s_not_b32 s29, s29
	s_cmp_lg_u32 s28, s36
	s_cselect_b32 s42, s29, -1
	s_max_i32 s37, s34, 0
	s_max_i32 s28, s36, 32
	s_sub_i32 s43, s28, 32
	s_sub_i32 s28, s28, s37
	;; [unrolled: 1-line block ×3, first 2 shown]
	s_min_i32 s28, s28, 32
	s_sub_i32 s28, s28, s43
	s_lshl_b32 s29, -1, s28
	v_mov_b32_e32 v12, v2
	s_not_b32 s29, s29
	v_mov_b32_e32 v11, v1
	s_cmp_lg_u32 s28, 32
	s_cselect_b32 s44, s29, -1
	v_lshrrev_b32_e32 v2, s43, v11
	v_lshrrev_b32_e32 v1, s36, v12
	v_and_b32_e32 v2, s44, v2
	v_and_b32_e32 v1, s42, v1
	v_lshlrev_b32_e32 v2, s37, v2
	v_cndmask_b32_e64 v1, 0, v1, s[26:27]
	v_cndmask_b32_e32 v2, 0, v2, vcc
	v_or_b32_e32 v1, v1, v2
	v_mov_b32_e32 v10, v4
	v_and_b32_e32 v2, 1, v1
	v_mov_b32_e32 v9, v3
	v_add_co_u32_e64 v4, s[28:29], -1, v2
	v_addc_co_u32_e64 v8, s[28:29], 0, -1, s[28:29]
	v_cmp_ne_u32_e64 s[28:29], 0, v2
	v_xor_b32_e32 v2, s29, v8
	v_lshlrev_b32_e32 v8, 30, v1
	v_xor_b32_e32 v4, s28, v4
	v_cmp_gt_i64_e64 s[28:29], 0, v[7:8]
	v_not_b32_e32 v8, v8
	v_mov_b32_e32 v5, v13
	v_ashrrev_i32_e32 v8, 31, v8
	v_mov_b32_e32 v6, v14
	v_and_b32_e32 v4, exec_lo, v4
	v_xor_b32_e32 v13, s29, v8
	v_xor_b32_e32 v8, s28, v8
	v_and_b32_e32 v4, v4, v8
	v_lshlrev_b32_e32 v8, 29, v1
	v_cmp_gt_i64_e64 s[28:29], 0, v[7:8]
	v_not_b32_e32 v8, v8
	v_and_b32_e32 v2, exec_hi, v2
	v_ashrrev_i32_e32 v8, 31, v8
	v_and_b32_e32 v2, v2, v13
	v_xor_b32_e32 v13, s29, v8
	v_xor_b32_e32 v8, s28, v8
	v_and_b32_e32 v4, v4, v8
	v_lshlrev_b32_e32 v8, 28, v1
	v_cmp_gt_i64_e64 s[28:29], 0, v[7:8]
	v_not_b32_e32 v8, v8
	v_ashrrev_i32_e32 v8, 31, v8
	v_and_b32_e32 v2, v2, v13
	v_xor_b32_e32 v13, s29, v8
	v_xor_b32_e32 v8, s28, v8
	v_and_b32_e32 v4, v4, v8
	v_lshlrev_b32_e32 v8, 27, v1
	v_cmp_gt_i64_e64 s[28:29], 0, v[7:8]
	v_not_b32_e32 v8, v8
	v_ashrrev_i32_e32 v8, 31, v8
	v_and_b32_e32 v2, v2, v13
	v_xor_b32_e32 v13, s29, v8
	v_xor_b32_e32 v8, s28, v8
	v_and_b32_e32 v4, v4, v8
	v_lshlrev_b32_e32 v8, 26, v1
	v_cmp_gt_i64_e64 s[28:29], 0, v[7:8]
	v_not_b32_e32 v8, v8
	v_ashrrev_i32_e32 v8, 31, v8
	v_and_b32_e32 v2, v2, v13
	v_xor_b32_e32 v13, s29, v8
	v_xor_b32_e32 v8, s28, v8
	v_and_b32_e32 v4, v4, v8
	v_lshlrev_b32_e32 v8, 25, v1
	v_cmp_gt_i64_e64 s[28:29], 0, v[7:8]
	v_not_b32_e32 v8, v8
	v_ashrrev_i32_e32 v8, 31, v8
	v_and_b32_e32 v2, v2, v13
	v_xor_b32_e32 v13, s29, v8
	v_xor_b32_e32 v8, s28, v8
	v_and_b32_e32 v4, v4, v8
	v_lshlrev_b32_e32 v8, 24, v1
	v_mul_lo_u32 v3, v1, 12
	v_cmp_gt_i64_e64 s[28:29], 0, v[7:8]
	v_not_b32_e32 v1, v8
	v_ashrrev_i32_e32 v1, 31, v1
	v_xor_b32_e32 v8, s29, v1
	v_xor_b32_e32 v1, s28, v1
	v_and_b32_e32 v2, v2, v13
	v_and_b32_e32 v1, v4, v1
	;; [unrolled: 1-line block ×3, first 2 shown]
	v_mbcnt_lo_u32_b32 v4, v1, 0
	v_mbcnt_hi_u32_b32 v13, v2, v4
	v_cmp_ne_u64_e64 s[28:29], 0, v[1:2]
	v_cmp_eq_u32_e64 s[30:31], 0, v13
	s_and_b64 s[30:31], s[30:31], s[28:29]
	v_add_u32_e32 v14, v21, v3
	ds_write2_b32 v17, v7, v7 offset0:3 offset1:4
	ds_write2_b32 v17, v7, v7 offset0:5 offset1:6
	s_waitcnt lgkmcnt(0)
	s_barrier
	; wave barrier
	s_and_saveexec_b64 s[28:29], s[30:31]
; %bb.5:                                ;   in Loop: Header=BB354_4 Depth=2
	v_bcnt_u32_b32 v1, v1, 0
	v_bcnt_u32_b32 v1, v2, v1
	ds_write_b32 v14, v1 offset:12
; %bb.6:                                ;   in Loop: Header=BB354_4 Depth=2
	s_or_b64 exec, exec, s[28:29]
	v_lshrrev_b32_e32 v2, s43, v9
	v_lshrrev_b32_e32 v1, s36, v10
	v_and_b32_e32 v2, s44, v2
	v_and_b32_e32 v1, s42, v1
	v_lshlrev_b32_e32 v2, s37, v2
	v_cndmask_b32_e64 v1, 0, v1, s[26:27]
	v_cndmask_b32_e32 v2, 0, v2, vcc
	v_or_b32_e32 v1, v1, v2
	v_mul_lo_u32 v2, v1, 12
	v_lshlrev_b32_e32 v8, 30, v1
	; wave barrier
	v_add_u32_e32 v25, v21, v2
	v_and_b32_e32 v2, 1, v1
	v_add_co_u32_e64 v3, s[28:29], -1, v2
	v_addc_co_u32_e64 v4, s[28:29], 0, -1, s[28:29]
	v_cmp_ne_u32_e64 s[28:29], 0, v2
	v_xor_b32_e32 v2, s29, v4
	v_xor_b32_e32 v3, s28, v3
	v_cmp_gt_i64_e64 s[28:29], 0, v[7:8]
	v_not_b32_e32 v4, v8
	v_ashrrev_i32_e32 v4, 31, v4
	v_and_b32_e32 v2, exec_hi, v2
	v_xor_b32_e32 v8, s29, v4
	v_and_b32_e32 v3, exec_lo, v3
	v_xor_b32_e32 v4, s28, v4
	v_and_b32_e32 v2, v2, v8
	v_lshlrev_b32_e32 v8, 29, v1
	v_and_b32_e32 v3, v3, v4
	v_cmp_gt_i64_e64 s[28:29], 0, v[7:8]
	v_not_b32_e32 v4, v8
	v_ashrrev_i32_e32 v4, 31, v4
	v_xor_b32_e32 v8, s29, v4
	v_xor_b32_e32 v4, s28, v4
	v_and_b32_e32 v2, v2, v8
	v_lshlrev_b32_e32 v8, 28, v1
	v_and_b32_e32 v3, v3, v4
	v_cmp_gt_i64_e64 s[28:29], 0, v[7:8]
	v_not_b32_e32 v4, v8
	v_ashrrev_i32_e32 v4, 31, v4
	v_xor_b32_e32 v8, s29, v4
	;; [unrolled: 8-line block ×5, first 2 shown]
	v_and_b32_e32 v2, v2, v8
	v_lshlrev_b32_e32 v8, 24, v1
	v_xor_b32_e32 v4, s28, v4
	v_cmp_gt_i64_e64 s[28:29], 0, v[7:8]
	v_not_b32_e32 v1, v8
	v_ashrrev_i32_e32 v1, 31, v1
	v_and_b32_e32 v3, v3, v4
	v_xor_b32_e32 v4, s29, v1
	v_xor_b32_e32 v1, s28, v1
	ds_read_b32 v24, v25 offset:12
	v_and_b32_e32 v1, v3, v1
	v_and_b32_e32 v2, v2, v4
	v_mbcnt_lo_u32_b32 v3, v1, 0
	v_mbcnt_hi_u32_b32 v26, v2, v3
	v_cmp_ne_u64_e64 s[28:29], 0, v[1:2]
	v_cmp_eq_u32_e64 s[30:31], 0, v26
	s_and_b64 s[30:31], s[30:31], s[28:29]
	; wave barrier
	s_and_saveexec_b64 s[28:29], s[30:31]
	s_cbranch_execz .LBB354_8
; %bb.7:                                ;   in Loop: Header=BB354_4 Depth=2
	v_bcnt_u32_b32 v1, v1, 0
	v_bcnt_u32_b32 v1, v2, v1
	s_waitcnt lgkmcnt(0)
	v_add_u32_e32 v1, v24, v1
	ds_write_b32 v25, v1 offset:12
.LBB354_8:                              ;   in Loop: Header=BB354_4 Depth=2
	s_or_b64 exec, exec, s[28:29]
	v_lshrrev_b32_e32 v2, s43, v5
	v_lshrrev_b32_e32 v1, s36, v6
	v_and_b32_e32 v2, s44, v2
	v_and_b32_e32 v1, s42, v1
	v_lshlrev_b32_e32 v2, s37, v2
	v_cndmask_b32_e64 v1, 0, v1, s[26:27]
	v_cndmask_b32_e32 v2, 0, v2, vcc
	v_or_b32_e32 v1, v1, v2
	v_mul_lo_u32 v2, v1, 12
	v_lshlrev_b32_e32 v8, 30, v1
	; wave barrier
	v_add_u32_e32 v28, v21, v2
	v_and_b32_e32 v2, 1, v1
	v_add_co_u32_e32 v3, vcc, -1, v2
	v_addc_co_u32_e64 v4, s[26:27], 0, -1, vcc
	v_cmp_ne_u32_e32 vcc, 0, v2
	v_xor_b32_e32 v2, vcc_hi, v4
	v_xor_b32_e32 v3, vcc_lo, v3
	v_cmp_gt_i64_e32 vcc, 0, v[7:8]
	v_not_b32_e32 v4, v8
	v_ashrrev_i32_e32 v4, 31, v4
	v_and_b32_e32 v2, exec_hi, v2
	v_xor_b32_e32 v8, vcc_hi, v4
	v_and_b32_e32 v3, exec_lo, v3
	v_xor_b32_e32 v4, vcc_lo, v4
	v_and_b32_e32 v2, v2, v8
	v_lshlrev_b32_e32 v8, 29, v1
	v_and_b32_e32 v3, v3, v4
	v_cmp_gt_i64_e32 vcc, 0, v[7:8]
	v_not_b32_e32 v4, v8
	v_ashrrev_i32_e32 v4, 31, v4
	v_xor_b32_e32 v8, vcc_hi, v4
	v_xor_b32_e32 v4, vcc_lo, v4
	v_and_b32_e32 v2, v2, v8
	v_lshlrev_b32_e32 v8, 28, v1
	v_and_b32_e32 v3, v3, v4
	v_cmp_gt_i64_e32 vcc, 0, v[7:8]
	v_not_b32_e32 v4, v8
	v_ashrrev_i32_e32 v4, 31, v4
	v_xor_b32_e32 v8, vcc_hi, v4
	;; [unrolled: 8-line block ×5, first 2 shown]
	v_and_b32_e32 v2, v2, v8
	v_lshlrev_b32_e32 v8, 24, v1
	v_xor_b32_e32 v4, vcc_lo, v4
	v_cmp_gt_i64_e32 vcc, 0, v[7:8]
	v_not_b32_e32 v1, v8
	v_ashrrev_i32_e32 v1, 31, v1
	v_and_b32_e32 v3, v3, v4
	v_xor_b32_e32 v4, vcc_hi, v1
	v_xor_b32_e32 v1, vcc_lo, v1
	ds_read_b32 v27, v28 offset:12
	v_and_b32_e32 v1, v3, v1
	v_and_b32_e32 v2, v2, v4
	v_mbcnt_lo_u32_b32 v3, v1, 0
	v_mbcnt_hi_u32_b32 v8, v2, v3
	v_cmp_ne_u64_e32 vcc, 0, v[1:2]
	v_cmp_eq_u32_e64 s[26:27], 0, v8
	s_and_b64 s[28:29], s[26:27], vcc
	; wave barrier
	s_and_saveexec_b64 s[26:27], s[28:29]
	s_cbranch_execz .LBB354_10
; %bb.9:                                ;   in Loop: Header=BB354_4 Depth=2
	v_bcnt_u32_b32 v1, v1, 0
	v_bcnt_u32_b32 v1, v2, v1
	s_waitcnt lgkmcnt(0)
	v_add_u32_e32 v1, v27, v1
	ds_write_b32 v28, v1 offset:12
.LBB354_10:                             ;   in Loop: Header=BB354_4 Depth=2
	s_or_b64 exec, exec, s[26:27]
	; wave barrier
	s_waitcnt lgkmcnt(0)
	s_barrier
	ds_read2_b32 v[3:4], v17 offset0:3 offset1:4
	ds_read2_b32 v[1:2], v17 offset0:5 offset1:6
	s_waitcnt lgkmcnt(1)
	v_add_u32_e32 v29, v4, v3
	s_waitcnt lgkmcnt(0)
	v_add3_u32 v2, v29, v1, v2
	s_nop 1
	v_mov_b32_dpp v29, v2 row_shr:1 row_mask:0xf bank_mask:0xf
	v_cndmask_b32_e64 v29, v29, 0, s[0:1]
	v_add_u32_e32 v2, v29, v2
	s_nop 1
	v_mov_b32_dpp v29, v2 row_shr:2 row_mask:0xf bank_mask:0xf
	v_cndmask_b32_e64 v29, 0, v29, s[2:3]
	v_add_u32_e32 v2, v2, v29
	;; [unrolled: 4-line block ×4, first 2 shown]
	s_nop 1
	v_mov_b32_dpp v29, v2 row_bcast:15 row_mask:0xf bank_mask:0xf
	v_cndmask_b32_e64 v29, v29, 0, s[8:9]
	v_add_u32_e32 v2, v2, v29
	s_nop 1
	v_mov_b32_dpp v29, v2 row_bcast:31 row_mask:0xf bank_mask:0xf
	v_cndmask_b32_e64 v29, 0, v29, s[14:15]
	v_add_u32_e32 v2, v2, v29
	s_and_saveexec_b64 s[26:27], s[10:11]
; %bb.11:                               ;   in Loop: Header=BB354_4 Depth=2
	ds_write_b32 v19, v2
; %bb.12:                               ;   in Loop: Header=BB354_4 Depth=2
	s_or_b64 exec, exec, s[26:27]
	s_waitcnt lgkmcnt(0)
	s_barrier
	s_and_saveexec_b64 s[26:27], s[16:17]
	s_cbranch_execz .LBB354_14
; %bb.13:                               ;   in Loop: Header=BB354_4 Depth=2
	ds_read_b32 v29, v20
	s_waitcnt lgkmcnt(0)
	s_nop 0
	v_mov_b32_dpp v30, v29 row_shr:1 row_mask:0xf bank_mask:0xf
	v_cndmask_b32_e64 v30, v30, 0, s[22:23]
	v_add_u32_e32 v29, v30, v29
	s_nop 1
	v_mov_b32_dpp v30, v29 row_shr:2 row_mask:0xf bank_mask:0xf
	v_cndmask_b32_e64 v30, 0, v30, s[24:25]
	v_add_u32_e32 v29, v29, v30
	ds_write_b32 v20, v29
.LBB354_14:                             ;   in Loop: Header=BB354_4 Depth=2
	s_or_b64 exec, exec, s[26:27]
	v_mov_b32_e32 v29, 0
	s_waitcnt lgkmcnt(0)
	s_barrier
	s_and_saveexec_b64 s[26:27], s[18:19]
; %bb.15:                               ;   in Loop: Header=BB354_4 Depth=2
	v_add_u32_e32 v29, -4, v19
	ds_read_b32 v29, v29
; %bb.16:                               ;   in Loop: Header=BB354_4 Depth=2
	s_or_b64 exec, exec, s[26:27]
	s_waitcnt lgkmcnt(0)
	v_add_u32_e32 v2, v29, v2
	ds_bpermute_b32 v2, v18, v2
	s_cmp_gt_u32 s36, 55
	s_mov_b64 s[26:27], -1
	s_waitcnt lgkmcnt(0)
	v_cndmask_b32_e64 v2, v2, v29, s[12:13]
	v_cndmask_b32_e64 v2, v2, 0, s[20:21]
	v_add_u32_e32 v3, v2, v3
	v_add_u32_e32 v4, v3, v4
	;; [unrolled: 1-line block ×3, first 2 shown]
	ds_write2_b32 v17, v2, v3 offset0:3 offset1:4
	ds_write2_b32 v17, v4, v1 offset0:5 offset1:6
	s_waitcnt lgkmcnt(0)
	s_barrier
	ds_read_b32 v1, v14 offset:12
	ds_read_b32 v2, v25 offset:12
	;; [unrolled: 1-line block ×3, first 2 shown]
	v_lshlrev_b32_e32 v4, 3, v13
	s_waitcnt lgkmcnt(0)
	v_lshl_add_u32 v25, v1, 3, v4
	v_lshlrev_b32_e32 v1, 3, v26
	v_lshlrev_b32_e32 v4, 3, v24
	;; [unrolled: 1-line block ×3, first 2 shown]
	v_add3_u32 v24, v1, v4, v2
	v_lshlrev_b32_e32 v1, 3, v8
	v_lshlrev_b32_e32 v2, 3, v27
	;; [unrolled: 1-line block ×3, first 2 shown]
	v_add3_u32 v8, v1, v2, v3
                                        ; implicit-def: $vgpr1_vgpr2
                                        ; implicit-def: $vgpr13_vgpr14
	s_cbranch_scc1 .LBB354_3
; %bb.17:                               ;   in Loop: Header=BB354_4 Depth=2
	s_barrier
	ds_write_b64 v25, v[11:12]
	ds_write_b64 v24, v[9:10]
	;; [unrolled: 1-line block ×3, first 2 shown]
	s_waitcnt lgkmcnt(0)
	s_barrier
	ds_read2st64_b64 v[1:4], v22 offset1:1
	ds_read_b64 v[13:14], v22 offset:1024
	s_add_i32 s34, s34, -8
	s_add_i32 s33, s33, 8
	s_add_i32 s36, s36, 8
	s_mov_b64 s[26:27], 0
	s_waitcnt lgkmcnt(0)
	s_barrier
	s_branch .LBB354_3
.LBB354_18:
	s_add_u32 s0, s38, s40
	s_addc_u32 s1, s39, s41
	v_lshlrev_b32_e32 v0, 3, v0
	global_store_dwordx2 v0, v[3:4], s[0:1]
	global_store_dwordx2 v0, v[5:6], s[0:1] offset:1536
	global_store_dwordx2 v0, v[8:9], s[0:1] offset:3072
	s_endpgm
	.section	.rodata,"a",@progbits
	.p2align	6, 0x0
	.amdhsa_kernel _Z16sort_keys_kernelI22helper_blocked_stripedN15benchmark_utils11custom_typeIiiEELj192ELj3ELj10EEvPKT0_PS4_
		.amdhsa_group_segment_fixed_size 4608
		.amdhsa_private_segment_fixed_size 0
		.amdhsa_kernarg_size 272
		.amdhsa_user_sgpr_count 6
		.amdhsa_user_sgpr_private_segment_buffer 1
		.amdhsa_user_sgpr_dispatch_ptr 0
		.amdhsa_user_sgpr_queue_ptr 0
		.amdhsa_user_sgpr_kernarg_segment_ptr 1
		.amdhsa_user_sgpr_dispatch_id 0
		.amdhsa_user_sgpr_flat_scratch_init 0
		.amdhsa_user_sgpr_private_segment_size 0
		.amdhsa_uses_dynamic_stack 0
		.amdhsa_system_sgpr_private_segment_wavefront_offset 0
		.amdhsa_system_sgpr_workgroup_id_x 1
		.amdhsa_system_sgpr_workgroup_id_y 0
		.amdhsa_system_sgpr_workgroup_id_z 0
		.amdhsa_system_sgpr_workgroup_info 0
		.amdhsa_system_vgpr_workitem_id 2
		.amdhsa_next_free_vgpr 31
		.amdhsa_next_free_sgpr 45
		.amdhsa_reserve_vcc 1
		.amdhsa_reserve_flat_scratch 0
		.amdhsa_float_round_mode_32 0
		.amdhsa_float_round_mode_16_64 0
		.amdhsa_float_denorm_mode_32 3
		.amdhsa_float_denorm_mode_16_64 3
		.amdhsa_dx10_clamp 1
		.amdhsa_ieee_mode 1
		.amdhsa_fp16_overflow 0
		.amdhsa_exception_fp_ieee_invalid_op 0
		.amdhsa_exception_fp_denorm_src 0
		.amdhsa_exception_fp_ieee_div_zero 0
		.amdhsa_exception_fp_ieee_overflow 0
		.amdhsa_exception_fp_ieee_underflow 0
		.amdhsa_exception_fp_ieee_inexact 0
		.amdhsa_exception_int_div_zero 0
	.end_amdhsa_kernel
	.section	.text._Z16sort_keys_kernelI22helper_blocked_stripedN15benchmark_utils11custom_typeIiiEELj192ELj3ELj10EEvPKT0_PS4_,"axG",@progbits,_Z16sort_keys_kernelI22helper_blocked_stripedN15benchmark_utils11custom_typeIiiEELj192ELj3ELj10EEvPKT0_PS4_,comdat
.Lfunc_end354:
	.size	_Z16sort_keys_kernelI22helper_blocked_stripedN15benchmark_utils11custom_typeIiiEELj192ELj3ELj10EEvPKT0_PS4_, .Lfunc_end354-_Z16sort_keys_kernelI22helper_blocked_stripedN15benchmark_utils11custom_typeIiiEELj192ELj3ELj10EEvPKT0_PS4_
                                        ; -- End function
	.set _Z16sort_keys_kernelI22helper_blocked_stripedN15benchmark_utils11custom_typeIiiEELj192ELj3ELj10EEvPKT0_PS4_.num_vgpr, 31
	.set _Z16sort_keys_kernelI22helper_blocked_stripedN15benchmark_utils11custom_typeIiiEELj192ELj3ELj10EEvPKT0_PS4_.num_agpr, 0
	.set _Z16sort_keys_kernelI22helper_blocked_stripedN15benchmark_utils11custom_typeIiiEELj192ELj3ELj10EEvPKT0_PS4_.numbered_sgpr, 45
	.set _Z16sort_keys_kernelI22helper_blocked_stripedN15benchmark_utils11custom_typeIiiEELj192ELj3ELj10EEvPKT0_PS4_.num_named_barrier, 0
	.set _Z16sort_keys_kernelI22helper_blocked_stripedN15benchmark_utils11custom_typeIiiEELj192ELj3ELj10EEvPKT0_PS4_.private_seg_size, 0
	.set _Z16sort_keys_kernelI22helper_blocked_stripedN15benchmark_utils11custom_typeIiiEELj192ELj3ELj10EEvPKT0_PS4_.uses_vcc, 1
	.set _Z16sort_keys_kernelI22helper_blocked_stripedN15benchmark_utils11custom_typeIiiEELj192ELj3ELj10EEvPKT0_PS4_.uses_flat_scratch, 0
	.set _Z16sort_keys_kernelI22helper_blocked_stripedN15benchmark_utils11custom_typeIiiEELj192ELj3ELj10EEvPKT0_PS4_.has_dyn_sized_stack, 0
	.set _Z16sort_keys_kernelI22helper_blocked_stripedN15benchmark_utils11custom_typeIiiEELj192ELj3ELj10EEvPKT0_PS4_.has_recursion, 0
	.set _Z16sort_keys_kernelI22helper_blocked_stripedN15benchmark_utils11custom_typeIiiEELj192ELj3ELj10EEvPKT0_PS4_.has_indirect_call, 0
	.section	.AMDGPU.csdata,"",@progbits
; Kernel info:
; codeLenInByte = 2576
; TotalNumSgprs: 49
; NumVgprs: 31
; ScratchSize: 0
; MemoryBound: 0
; FloatMode: 240
; IeeeMode: 1
; LDSByteSize: 4608 bytes/workgroup (compile time only)
; SGPRBlocks: 6
; VGPRBlocks: 7
; NumSGPRsForWavesPerEU: 49
; NumVGPRsForWavesPerEU: 31
; Occupancy: 8
; WaveLimiterHint : 1
; COMPUTE_PGM_RSRC2:SCRATCH_EN: 0
; COMPUTE_PGM_RSRC2:USER_SGPR: 6
; COMPUTE_PGM_RSRC2:TRAP_HANDLER: 0
; COMPUTE_PGM_RSRC2:TGID_X_EN: 1
; COMPUTE_PGM_RSRC2:TGID_Y_EN: 0
; COMPUTE_PGM_RSRC2:TGID_Z_EN: 0
; COMPUTE_PGM_RSRC2:TIDIG_COMP_CNT: 2
	.section	.text._Z17sort_pairs_kernelI22helper_blocked_stripedN15benchmark_utils11custom_typeIiiEELj192ELj3ELj10EEvPKT0_PS4_,"axG",@progbits,_Z17sort_pairs_kernelI22helper_blocked_stripedN15benchmark_utils11custom_typeIiiEELj192ELj3ELj10EEvPKT0_PS4_,comdat
	.protected	_Z17sort_pairs_kernelI22helper_blocked_stripedN15benchmark_utils11custom_typeIiiEELj192ELj3ELj10EEvPKT0_PS4_ ; -- Begin function _Z17sort_pairs_kernelI22helper_blocked_stripedN15benchmark_utils11custom_typeIiiEELj192ELj3ELj10EEvPKT0_PS4_
	.globl	_Z17sort_pairs_kernelI22helper_blocked_stripedN15benchmark_utils11custom_typeIiiEELj192ELj3ELj10EEvPKT0_PS4_
	.p2align	8
	.type	_Z17sort_pairs_kernelI22helper_blocked_stripedN15benchmark_utils11custom_typeIiiEELj192ELj3ELj10EEvPKT0_PS4_,@function
_Z17sort_pairs_kernelI22helper_blocked_stripedN15benchmark_utils11custom_typeIiiEELj192ELj3ELj10EEvPKT0_PS4_: ; @_Z17sort_pairs_kernelI22helper_blocked_stripedN15benchmark_utils11custom_typeIiiEELj192ELj3ELj10EEvPKT0_PS4_
; %bb.0:
	s_load_dwordx4 s[36:39], s[4:5], 0x0
	s_load_dword s24, s[4:5], 0x1c
	s_mul_i32 s40, s6, 0x240
	s_mov_b32 s41, 0
	s_lshl_b64 s[34:35], s[40:41], 3
	s_waitcnt lgkmcnt(0)
	s_add_u32 s0, s36, s34
	v_mul_u32_u24_e32 v3, 3, v0
	s_addc_u32 s1, s37, s35
	v_lshlrev_b32_e32 v7, 3, v3
	global_load_dwordx4 v[3:6], v7, s[0:1]
	global_load_dwordx2 v[12:13], v7, s[0:1] offset:16
	s_lshr_b32 s25, s24, 16
	s_and_b32 s24, s24, 0xffff
	v_mad_u32_u24 v1, v2, s25, v1
	v_mbcnt_lo_u32_b32 v7, -1, 0
	v_mad_u64_u32 v[1:2], s[24:25], v1, s24, v[0:1]
	v_mbcnt_hi_u32_b32 v7, -1, v7
	v_lshrrev_b32_e32 v8, 6, v0
	v_and_b32_e32 v9, 0xc0, v0
	v_subrev_co_u32_e64 v18, s[8:9], 1, v7
	v_and_b32_e32 v19, 64, v7
	v_lshlrev_b32_e32 v27, 4, v0
	v_mul_u32_u24_e32 v11, 0xc0, v8
	v_and_b32_e32 v15, 15, v7
	v_and_b32_e32 v16, 16, v7
	v_min_u32_e32 v17, 0x80, v9
	v_cmp_lt_i32_e32 vcc, v18, v19
	v_lshlrev_b32_e32 v10, 2, v0
	v_lshlrev_b32_e32 v14, 3, v7
	v_lshlrev_b32_e32 v28, 2, v8
	v_mad_i32_i24 v29, v0, -12, v27
	v_and_b32_e32 v8, 3, v7
	v_mul_u32_u24_e32 v9, 24, v9
	v_cmp_eq_u32_e64 s[10:11], 0, v15
	v_cmp_lt_u32_e64 s[12:13], 1, v15
	v_cmp_lt_u32_e64 s[14:15], 3, v15
	;; [unrolled: 1-line block ×3, first 2 shown]
	v_cmp_eq_u32_e64 s[18:19], 0, v16
	v_lshlrev_b32_e32 v11, 3, v11
	v_or_b32_e32 v15, 63, v17
	v_cndmask_b32_e32 v16, v18, v7, vcc
	v_lshrrev_b32_e32 v1, 4, v1
	v_cmp_gt_u32_e64 s[0:1], 3, v0
	v_cmp_lt_u32_e64 s[2:3], 63, v0
	v_cmp_eq_u32_e64 s[4:5], 0, v0
	v_cmp_lt_u32_e64 s[6:7], 31, v7
	v_cmp_eq_u32_e64 s[20:21], 0, v8
	v_cmp_lt_u32_e64 s[22:23], 1, v8
	v_add_u32_e32 v30, v14, v9
	v_add_u32_e32 v31, v29, v10
	v_add_u32_e32 v32, -4, v28
	v_mad_u32_u24 v33, v7, 24, v11
	v_add_u32_e32 v34, v14, v11
	v_cmp_eq_u32_e64 s[24:25], v0, v15
	v_lshlrev_b32_e32 v35, 2, v16
	v_and_b32_e32 v36, 0xffffffc, v1
	v_mov_b32_e32 v11, 0
	s_waitcnt vmcnt(1)
	v_add_u32_e32 v8, 1, v4
	v_add_u32_e32 v7, 1, v3
	;; [unrolled: 1-line block ×4, first 2 shown]
	s_waitcnt vmcnt(0)
	v_add_u32_e32 v15, 1, v13
	v_add_u32_e32 v14, 1, v12
	s_branch .LBB355_2
.LBB355_1:                              ;   in Loop: Header=BB355_2 Depth=1
	s_barrier
	ds_write_b64 v37, v[21:22]
	ds_write_b64 v38, v[19:20]
	;; [unrolled: 1-line block ×3, first 2 shown]
	s_waitcnt lgkmcnt(0)
	s_barrier
	ds_read2st64_b64 v[3:6], v31 offset1:3
	ds_read_b64 v[1:2], v31 offset:3072
	s_waitcnt lgkmcnt(0)
	s_barrier
	ds_write_b64 v37, v[15:16]
	ds_write_b64 v38, v[13:14]
	;; [unrolled: 1-line block ×3, first 2 shown]
	s_waitcnt lgkmcnt(0)
	s_barrier
	ds_read2st64_b64 v[7:10], v31 offset1:3
	ds_read_b64 v[14:15], v31 offset:3072
	s_add_i32 s41, s41, 1
	v_xor_b32_e32 v3, 0x80000000, v3
	v_xor_b32_e32 v4, 0x80000000, v4
	;; [unrolled: 1-line block ×5, first 2 shown]
	s_cmp_lg_u32 s41, 10
	v_xor_b32_e32 v13, 0x80000000, v2
	s_cbranch_scc0 .LBB355_18
.LBB355_2:                              ; =>This Loop Header: Depth=1
                                        ;     Child Loop BB355_4 Depth 2
	v_xor_b32_e32 v2, 0x80000000, v4
	v_xor_b32_e32 v1, 0x80000000, v3
	;; [unrolled: 1-line block ×6, first 2 shown]
	ds_write2_b64 v33, v[1:2], v[3:4] offset1:1
	ds_write_b64 v33, v[5:6] offset:16
	; wave barrier
	ds_read2st64_b64 v[1:4], v34 offset1:1
	ds_read_b64 v[23:24], v34 offset:1024
	; wave barrier
	s_waitcnt lgkmcnt(5)
	ds_write2_b64 v33, v[7:8], v[9:10] offset1:1
	s_waitcnt lgkmcnt(5)
	ds_write_b64 v33, v[14:15] offset:16
	; wave barrier
	ds_read2st64_b64 v[5:8], v34 offset1:1
	ds_read_b64 v[25:26], v34 offset:1024
	s_mov_b32 s33, 8
	s_mov_b32 s36, 32
	;; [unrolled: 1-line block ×3, first 2 shown]
	s_waitcnt lgkmcnt(0)
	s_barrier
	s_branch .LBB355_4
.LBB355_3:                              ;   in Loop: Header=BB355_4 Depth=2
	s_andn2_b64 vcc, exec, s[26:27]
	s_cbranch_vccz .LBB355_1
.LBB355_4:                              ;   Parent Loop BB355_2 Depth=1
                                        ; =>  This Inner Loop Header: Depth=2
	s_min_i32 s28, s33, 32
	s_cmp_lt_u32 s37, 32
	s_cselect_b64 s[26:27], -1, 0
	s_cmp_gt_u32 s37, 31
	s_cselect_b64 vcc, -1, 0
	s_sub_i32 s28, s28, 32
	s_add_i32 s29, s28, s36
	s_lshl_b32 s29, -1, s29
	s_not_b32 s29, s29
	s_cmp_lg_u32 s28, s37
	s_cselect_b32 s42, s29, -1
	s_max_i32 s40, s36, 0
	s_max_i32 s28, s37, 32
	s_sub_i32 s43, s28, 32
	s_sub_i32 s28, s28, s40
	;; [unrolled: 1-line block ×3, first 2 shown]
	s_min_i32 s28, s28, 32
	s_sub_i32 s28, s28, s43
	s_lshl_b32 s29, -1, s28
	v_mov_b32_e32 v22, v2
	s_not_b32 s29, s29
	v_mov_b32_e32 v21, v1
	s_cmp_lg_u32 s28, 32
	s_cselect_b32 s44, s29, -1
	v_lshrrev_b32_e32 v2, s43, v21
	v_lshrrev_b32_e32 v1, s37, v22
	v_and_b32_e32 v2, s44, v2
	v_and_b32_e32 v1, s42, v1
	v_lshlrev_b32_e32 v2, s40, v2
	v_cndmask_b32_e64 v1, 0, v1, s[26:27]
	v_cndmask_b32_e32 v2, 0, v2, vcc
	v_or_b32_e32 v1, v1, v2
	v_mov_b32_e32 v20, v4
	v_and_b32_e32 v2, 1, v1
	v_mov_b32_e32 v16, v6
	v_mov_b32_e32 v19, v3
	v_add_co_u32_e64 v4, s[28:29], -1, v2
	v_mov_b32_e32 v15, v5
	v_addc_co_u32_e64 v5, s[28:29], 0, -1, s[28:29]
	v_cmp_ne_u32_e64 s[28:29], 0, v2
	v_lshlrev_b32_e32 v12, 30, v1
	v_xor_b32_e32 v2, s29, v5
	v_xor_b32_e32 v4, s28, v4
	v_cmp_gt_i64_e64 s[28:29], 0, v[11:12]
	v_not_b32_e32 v5, v12
	v_ashrrev_i32_e32 v5, 31, v5
	v_and_b32_e32 v4, exec_lo, v4
	v_xor_b32_e32 v6, s29, v5
	v_xor_b32_e32 v5, s28, v5
	v_lshlrev_b32_e32 v12, 29, v1
	v_and_b32_e32 v4, v4, v5
	v_cmp_gt_i64_e64 s[28:29], 0, v[11:12]
	v_not_b32_e32 v5, v12
	v_and_b32_e32 v2, exec_hi, v2
	v_ashrrev_i32_e32 v5, 31, v5
	v_and_b32_e32 v2, v2, v6
	v_xor_b32_e32 v6, s29, v5
	v_xor_b32_e32 v5, s28, v5
	v_lshlrev_b32_e32 v12, 28, v1
	v_and_b32_e32 v4, v4, v5
	v_cmp_gt_i64_e64 s[28:29], 0, v[11:12]
	v_not_b32_e32 v5, v12
	v_ashrrev_i32_e32 v5, 31, v5
	v_and_b32_e32 v2, v2, v6
	v_xor_b32_e32 v6, s29, v5
	v_xor_b32_e32 v5, s28, v5
	v_lshlrev_b32_e32 v12, 27, v1
	v_and_b32_e32 v4, v4, v5
	v_cmp_gt_i64_e64 s[28:29], 0, v[11:12]
	v_not_b32_e32 v5, v12
	;; [unrolled: 8-line block ×4, first 2 shown]
	v_ashrrev_i32_e32 v5, 31, v5
	v_lshlrev_b32_e32 v12, 24, v1
	v_mul_lo_u32 v3, v1, 12
	v_and_b32_e32 v2, v2, v6
	v_xor_b32_e32 v6, s29, v5
	v_xor_b32_e32 v5, s28, v5
	v_cmp_gt_i64_e64 s[28:29], 0, v[11:12]
	v_not_b32_e32 v1, v12
	v_ashrrev_i32_e32 v1, 31, v1
	v_and_b32_e32 v4, v4, v5
	v_xor_b32_e32 v5, s29, v1
	v_xor_b32_e32 v1, s28, v1
	v_and_b32_e32 v2, v2, v6
	v_and_b32_e32 v1, v4, v1
	v_and_b32_e32 v2, v2, v5
	v_mbcnt_lo_u32_b32 v4, v1, 0
	v_mbcnt_hi_u32_b32 v5, v2, v4
	v_cmp_ne_u64_e64 s[28:29], 0, v[1:2]
	v_mov_b32_e32 v14, v8
	v_mov_b32_e32 v9, v25
	;; [unrolled: 1-line block ×3, first 2 shown]
	v_cmp_eq_u32_e64 s[30:31], 0, v5
	v_mov_b32_e32 v13, v7
	v_mov_b32_e32 v10, v26
	;; [unrolled: 1-line block ×3, first 2 shown]
	s_and_b64 s[30:31], s[30:31], s[28:29]
	v_add_u32_e32 v6, v36, v3
	ds_write2_b32 v27, v11, v11 offset0:3 offset1:4
	ds_write2_b32 v27, v11, v11 offset0:5 offset1:6
	s_waitcnt lgkmcnt(0)
	s_barrier
	; wave barrier
	s_and_saveexec_b64 s[28:29], s[30:31]
; %bb.5:                                ;   in Loop: Header=BB355_4 Depth=2
	v_bcnt_u32_b32 v1, v1, 0
	v_bcnt_u32_b32 v1, v2, v1
	ds_write_b32 v6, v1 offset:12
; %bb.6:                                ;   in Loop: Header=BB355_4 Depth=2
	s_or_b64 exec, exec, s[28:29]
	v_lshrrev_b32_e32 v2, s43, v19
	v_lshrrev_b32_e32 v1, s37, v20
	v_and_b32_e32 v2, s44, v2
	v_and_b32_e32 v1, s42, v1
	v_lshlrev_b32_e32 v2, s40, v2
	v_cndmask_b32_e64 v1, 0, v1, s[26:27]
	v_cndmask_b32_e32 v2, 0, v2, vcc
	v_or_b32_e32 v1, v1, v2
	v_mul_lo_u32 v2, v1, 12
	v_lshlrev_b32_e32 v12, 30, v1
	; wave barrier
	v_add_u32_e32 v8, v36, v2
	v_and_b32_e32 v2, 1, v1
	v_add_co_u32_e64 v3, s[28:29], -1, v2
	v_addc_co_u32_e64 v4, s[28:29], 0, -1, s[28:29]
	v_cmp_ne_u32_e64 s[28:29], 0, v2
	v_xor_b32_e32 v2, s29, v4
	v_xor_b32_e32 v3, s28, v3
	v_cmp_gt_i64_e64 s[28:29], 0, v[11:12]
	v_not_b32_e32 v4, v12
	v_ashrrev_i32_e32 v4, 31, v4
	v_and_b32_e32 v2, exec_hi, v2
	v_xor_b32_e32 v12, s29, v4
	v_and_b32_e32 v3, exec_lo, v3
	v_xor_b32_e32 v4, s28, v4
	v_and_b32_e32 v2, v2, v12
	v_lshlrev_b32_e32 v12, 29, v1
	v_and_b32_e32 v3, v3, v4
	v_cmp_gt_i64_e64 s[28:29], 0, v[11:12]
	v_not_b32_e32 v4, v12
	v_ashrrev_i32_e32 v4, 31, v4
	v_xor_b32_e32 v12, s29, v4
	v_xor_b32_e32 v4, s28, v4
	v_and_b32_e32 v2, v2, v12
	v_lshlrev_b32_e32 v12, 28, v1
	v_and_b32_e32 v3, v3, v4
	v_cmp_gt_i64_e64 s[28:29], 0, v[11:12]
	v_not_b32_e32 v4, v12
	v_ashrrev_i32_e32 v4, 31, v4
	v_xor_b32_e32 v12, s29, v4
	;; [unrolled: 8-line block ×5, first 2 shown]
	v_and_b32_e32 v2, v2, v12
	v_lshlrev_b32_e32 v12, 24, v1
	v_xor_b32_e32 v4, s28, v4
	v_cmp_gt_i64_e64 s[28:29], 0, v[11:12]
	v_not_b32_e32 v1, v12
	v_ashrrev_i32_e32 v1, 31, v1
	v_and_b32_e32 v3, v3, v4
	v_xor_b32_e32 v4, s29, v1
	v_xor_b32_e32 v1, s28, v1
	ds_read_b32 v7, v8 offset:12
	v_and_b32_e32 v1, v3, v1
	v_and_b32_e32 v2, v2, v4
	v_mbcnt_lo_u32_b32 v3, v1, 0
	v_mbcnt_hi_u32_b32 v23, v2, v3
	v_cmp_ne_u64_e64 s[28:29], 0, v[1:2]
	v_cmp_eq_u32_e64 s[30:31], 0, v23
	s_and_b64 s[30:31], s[30:31], s[28:29]
	; wave barrier
	s_and_saveexec_b64 s[28:29], s[30:31]
	s_cbranch_execz .LBB355_8
; %bb.7:                                ;   in Loop: Header=BB355_4 Depth=2
	v_bcnt_u32_b32 v1, v1, 0
	v_bcnt_u32_b32 v1, v2, v1
	s_waitcnt lgkmcnt(0)
	v_add_u32_e32 v1, v7, v1
	ds_write_b32 v8, v1 offset:12
.LBB355_8:                              ;   in Loop: Header=BB355_4 Depth=2
	s_or_b64 exec, exec, s[28:29]
	v_lshrrev_b32_e32 v2, s43, v17
	v_lshrrev_b32_e32 v1, s37, v18
	v_and_b32_e32 v2, s44, v2
	v_and_b32_e32 v1, s42, v1
	v_lshlrev_b32_e32 v2, s40, v2
	v_cndmask_b32_e64 v1, 0, v1, s[26:27]
	v_cndmask_b32_e32 v2, 0, v2, vcc
	v_or_b32_e32 v1, v1, v2
	v_mul_lo_u32 v2, v1, 12
	v_lshlrev_b32_e32 v12, 30, v1
	; wave barrier
	v_add_u32_e32 v25, v36, v2
	v_and_b32_e32 v2, 1, v1
	v_add_co_u32_e32 v3, vcc, -1, v2
	v_addc_co_u32_e64 v4, s[26:27], 0, -1, vcc
	v_cmp_ne_u32_e32 vcc, 0, v2
	v_xor_b32_e32 v2, vcc_hi, v4
	v_xor_b32_e32 v3, vcc_lo, v3
	v_cmp_gt_i64_e32 vcc, 0, v[11:12]
	v_not_b32_e32 v4, v12
	v_ashrrev_i32_e32 v4, 31, v4
	v_and_b32_e32 v2, exec_hi, v2
	v_xor_b32_e32 v12, vcc_hi, v4
	v_and_b32_e32 v3, exec_lo, v3
	v_xor_b32_e32 v4, vcc_lo, v4
	v_and_b32_e32 v2, v2, v12
	v_lshlrev_b32_e32 v12, 29, v1
	v_and_b32_e32 v3, v3, v4
	v_cmp_gt_i64_e32 vcc, 0, v[11:12]
	v_not_b32_e32 v4, v12
	v_ashrrev_i32_e32 v4, 31, v4
	v_xor_b32_e32 v12, vcc_hi, v4
	v_xor_b32_e32 v4, vcc_lo, v4
	v_and_b32_e32 v2, v2, v12
	v_lshlrev_b32_e32 v12, 28, v1
	v_and_b32_e32 v3, v3, v4
	v_cmp_gt_i64_e32 vcc, 0, v[11:12]
	v_not_b32_e32 v4, v12
	v_ashrrev_i32_e32 v4, 31, v4
	v_xor_b32_e32 v12, vcc_hi, v4
	;; [unrolled: 8-line block ×5, first 2 shown]
	v_and_b32_e32 v2, v2, v12
	v_lshlrev_b32_e32 v12, 24, v1
	v_xor_b32_e32 v4, vcc_lo, v4
	v_cmp_gt_i64_e32 vcc, 0, v[11:12]
	v_not_b32_e32 v1, v12
	v_ashrrev_i32_e32 v1, 31, v1
	v_and_b32_e32 v3, v3, v4
	v_xor_b32_e32 v4, vcc_hi, v1
	v_xor_b32_e32 v1, vcc_lo, v1
	ds_read_b32 v24, v25 offset:12
	v_and_b32_e32 v1, v3, v1
	v_and_b32_e32 v2, v2, v4
	v_mbcnt_lo_u32_b32 v3, v1, 0
	v_mbcnt_hi_u32_b32 v12, v2, v3
	v_cmp_ne_u64_e32 vcc, 0, v[1:2]
	v_cmp_eq_u32_e64 s[26:27], 0, v12
	s_and_b64 s[28:29], s[26:27], vcc
	; wave barrier
	s_and_saveexec_b64 s[26:27], s[28:29]
	s_cbranch_execz .LBB355_10
; %bb.9:                                ;   in Loop: Header=BB355_4 Depth=2
	v_bcnt_u32_b32 v1, v1, 0
	v_bcnt_u32_b32 v1, v2, v1
	s_waitcnt lgkmcnt(0)
	v_add_u32_e32 v1, v24, v1
	ds_write_b32 v25, v1 offset:12
.LBB355_10:                             ;   in Loop: Header=BB355_4 Depth=2
	s_or_b64 exec, exec, s[26:27]
	; wave barrier
	s_waitcnt lgkmcnt(0)
	s_barrier
	ds_read2_b32 v[3:4], v27 offset0:3 offset1:4
	ds_read2_b32 v[1:2], v27 offset0:5 offset1:6
	s_waitcnt lgkmcnt(1)
	v_add_u32_e32 v26, v4, v3
	s_waitcnt lgkmcnt(0)
	v_add3_u32 v2, v26, v1, v2
	s_nop 1
	v_mov_b32_dpp v26, v2 row_shr:1 row_mask:0xf bank_mask:0xf
	v_cndmask_b32_e64 v26, v26, 0, s[10:11]
	v_add_u32_e32 v2, v26, v2
	s_nop 1
	v_mov_b32_dpp v26, v2 row_shr:2 row_mask:0xf bank_mask:0xf
	v_cndmask_b32_e64 v26, 0, v26, s[12:13]
	v_add_u32_e32 v2, v2, v26
	;; [unrolled: 4-line block ×4, first 2 shown]
	s_nop 1
	v_mov_b32_dpp v26, v2 row_bcast:15 row_mask:0xf bank_mask:0xf
	v_cndmask_b32_e64 v26, v26, 0, s[18:19]
	v_add_u32_e32 v2, v2, v26
	s_nop 1
	v_mov_b32_dpp v26, v2 row_bcast:31 row_mask:0xf bank_mask:0xf
	v_cndmask_b32_e64 v26, 0, v26, s[6:7]
	v_add_u32_e32 v2, v2, v26
	s_and_saveexec_b64 s[26:27], s[24:25]
; %bb.11:                               ;   in Loop: Header=BB355_4 Depth=2
	ds_write_b32 v28, v2
; %bb.12:                               ;   in Loop: Header=BB355_4 Depth=2
	s_or_b64 exec, exec, s[26:27]
	s_waitcnt lgkmcnt(0)
	s_barrier
	s_and_saveexec_b64 s[26:27], s[0:1]
	s_cbranch_execz .LBB355_14
; %bb.13:                               ;   in Loop: Header=BB355_4 Depth=2
	ds_read_b32 v26, v29
	s_waitcnt lgkmcnt(0)
	s_nop 0
	v_mov_b32_dpp v37, v26 row_shr:1 row_mask:0xf bank_mask:0xf
	v_cndmask_b32_e64 v37, v37, 0, s[20:21]
	v_add_u32_e32 v26, v37, v26
	s_nop 1
	v_mov_b32_dpp v37, v26 row_shr:2 row_mask:0xf bank_mask:0xf
	v_cndmask_b32_e64 v37, 0, v37, s[22:23]
	v_add_u32_e32 v26, v26, v37
	ds_write_b32 v29, v26
.LBB355_14:                             ;   in Loop: Header=BB355_4 Depth=2
	s_or_b64 exec, exec, s[26:27]
	v_mov_b32_e32 v26, 0
	s_waitcnt lgkmcnt(0)
	s_barrier
	s_and_saveexec_b64 s[26:27], s[2:3]
; %bb.15:                               ;   in Loop: Header=BB355_4 Depth=2
	ds_read_b32 v26, v32
; %bb.16:                               ;   in Loop: Header=BB355_4 Depth=2
	s_or_b64 exec, exec, s[26:27]
	s_waitcnt lgkmcnt(0)
	v_add_u32_e32 v2, v26, v2
	ds_bpermute_b32 v2, v35, v2
	s_cmp_gt_u32 s37, 55
	s_mov_b64 s[26:27], -1
	s_waitcnt lgkmcnt(0)
	v_cndmask_b32_e64 v2, v2, v26, s[8:9]
	v_cndmask_b32_e64 v2, v2, 0, s[4:5]
	v_add_u32_e32 v3, v2, v3
	v_add_u32_e32 v4, v3, v4
	;; [unrolled: 1-line block ×3, first 2 shown]
	ds_write2_b32 v27, v2, v3 offset0:3 offset1:4
	ds_write2_b32 v27, v4, v1 offset0:5 offset1:6
	s_waitcnt lgkmcnt(0)
	s_barrier
	ds_read_b32 v1, v6 offset:12
	ds_read_b32 v2, v8 offset:12
	;; [unrolled: 1-line block ×3, first 2 shown]
	v_lshlrev_b32_e32 v4, 3, v5
	s_waitcnt lgkmcnt(0)
	v_lshl_add_u32 v37, v1, 3, v4
	v_lshlrev_b32_e32 v1, 3, v23
	v_lshlrev_b32_e32 v4, 3, v7
	;; [unrolled: 1-line block ×3, first 2 shown]
	v_add3_u32 v38, v1, v4, v2
	v_lshlrev_b32_e32 v1, 3, v12
	v_lshlrev_b32_e32 v2, 3, v24
	;; [unrolled: 1-line block ×3, first 2 shown]
	v_add3_u32 v12, v1, v2, v3
                                        ; implicit-def: $vgpr5_vgpr6
                                        ; implicit-def: $vgpr25_vgpr26
                                        ; implicit-def: $vgpr1_vgpr2
                                        ; implicit-def: $vgpr23_vgpr24
	s_cbranch_scc1 .LBB355_3
; %bb.17:                               ;   in Loop: Header=BB355_4 Depth=2
	s_barrier
	ds_write_b64 v37, v[21:22]
	ds_write_b64 v38, v[19:20]
	;; [unrolled: 1-line block ×3, first 2 shown]
	s_waitcnt lgkmcnt(0)
	s_barrier
	ds_read2st64_b64 v[1:4], v30 offset1:1
	ds_read_b64 v[23:24], v30 offset:1024
	s_waitcnt lgkmcnt(0)
	s_barrier
	ds_write_b64 v37, v[15:16]
	ds_write_b64 v38, v[13:14]
	ds_write_b64 v12, v[9:10]
	s_waitcnt lgkmcnt(0)
	s_barrier
	ds_read2st64_b64 v[5:8], v30 offset1:1
	ds_read_b64 v[25:26], v30 offset:1024
	s_add_i32 s36, s36, -8
	s_add_i32 s33, s33, 8
	s_add_i32 s37, s37, 8
	s_mov_b64 s[26:27], 0
	s_waitcnt lgkmcnt(0)
	s_barrier
	s_branch .LBB355_3
.LBB355_18:
	s_add_u32 s0, s38, s34
	s_waitcnt lgkmcnt(1)
	v_add_u32_e32 v1, v3, v7
	v_add_u32_e32 v2, v4, v8
	s_addc_u32 s1, s39, s35
	v_lshlrev_b32_e32 v0, 3, v0
	v_add_u32_e32 v3, v5, v9
	v_add_u32_e32 v4, v6, v10
	s_waitcnt lgkmcnt(0)
	v_add_u32_e32 v5, v12, v14
	v_add_u32_e32 v6, v13, v15
	global_store_dwordx2 v0, v[1:2], s[0:1]
	global_store_dwordx2 v0, v[3:4], s[0:1] offset:1536
	global_store_dwordx2 v0, v[5:6], s[0:1] offset:3072
	s_endpgm
	.section	.rodata,"a",@progbits
	.p2align	6, 0x0
	.amdhsa_kernel _Z17sort_pairs_kernelI22helper_blocked_stripedN15benchmark_utils11custom_typeIiiEELj192ELj3ELj10EEvPKT0_PS4_
		.amdhsa_group_segment_fixed_size 4608
		.amdhsa_private_segment_fixed_size 0
		.amdhsa_kernarg_size 272
		.amdhsa_user_sgpr_count 6
		.amdhsa_user_sgpr_private_segment_buffer 1
		.amdhsa_user_sgpr_dispatch_ptr 0
		.amdhsa_user_sgpr_queue_ptr 0
		.amdhsa_user_sgpr_kernarg_segment_ptr 1
		.amdhsa_user_sgpr_dispatch_id 0
		.amdhsa_user_sgpr_flat_scratch_init 0
		.amdhsa_user_sgpr_private_segment_size 0
		.amdhsa_uses_dynamic_stack 0
		.amdhsa_system_sgpr_private_segment_wavefront_offset 0
		.amdhsa_system_sgpr_workgroup_id_x 1
		.amdhsa_system_sgpr_workgroup_id_y 0
		.amdhsa_system_sgpr_workgroup_id_z 0
		.amdhsa_system_sgpr_workgroup_info 0
		.amdhsa_system_vgpr_workitem_id 2
		.amdhsa_next_free_vgpr 39
		.amdhsa_next_free_sgpr 45
		.amdhsa_reserve_vcc 1
		.amdhsa_reserve_flat_scratch 0
		.amdhsa_float_round_mode_32 0
		.amdhsa_float_round_mode_16_64 0
		.amdhsa_float_denorm_mode_32 3
		.amdhsa_float_denorm_mode_16_64 3
		.amdhsa_dx10_clamp 1
		.amdhsa_ieee_mode 1
		.amdhsa_fp16_overflow 0
		.amdhsa_exception_fp_ieee_invalid_op 0
		.amdhsa_exception_fp_denorm_src 0
		.amdhsa_exception_fp_ieee_div_zero 0
		.amdhsa_exception_fp_ieee_overflow 0
		.amdhsa_exception_fp_ieee_underflow 0
		.amdhsa_exception_fp_ieee_inexact 0
		.amdhsa_exception_int_div_zero 0
	.end_amdhsa_kernel
	.section	.text._Z17sort_pairs_kernelI22helper_blocked_stripedN15benchmark_utils11custom_typeIiiEELj192ELj3ELj10EEvPKT0_PS4_,"axG",@progbits,_Z17sort_pairs_kernelI22helper_blocked_stripedN15benchmark_utils11custom_typeIiiEELj192ELj3ELj10EEvPKT0_PS4_,comdat
.Lfunc_end355:
	.size	_Z17sort_pairs_kernelI22helper_blocked_stripedN15benchmark_utils11custom_typeIiiEELj192ELj3ELj10EEvPKT0_PS4_, .Lfunc_end355-_Z17sort_pairs_kernelI22helper_blocked_stripedN15benchmark_utils11custom_typeIiiEELj192ELj3ELj10EEvPKT0_PS4_
                                        ; -- End function
	.set _Z17sort_pairs_kernelI22helper_blocked_stripedN15benchmark_utils11custom_typeIiiEELj192ELj3ELj10EEvPKT0_PS4_.num_vgpr, 39
	.set _Z17sort_pairs_kernelI22helper_blocked_stripedN15benchmark_utils11custom_typeIiiEELj192ELj3ELj10EEvPKT0_PS4_.num_agpr, 0
	.set _Z17sort_pairs_kernelI22helper_blocked_stripedN15benchmark_utils11custom_typeIiiEELj192ELj3ELj10EEvPKT0_PS4_.numbered_sgpr, 45
	.set _Z17sort_pairs_kernelI22helper_blocked_stripedN15benchmark_utils11custom_typeIiiEELj192ELj3ELj10EEvPKT0_PS4_.num_named_barrier, 0
	.set _Z17sort_pairs_kernelI22helper_blocked_stripedN15benchmark_utils11custom_typeIiiEELj192ELj3ELj10EEvPKT0_PS4_.private_seg_size, 0
	.set _Z17sort_pairs_kernelI22helper_blocked_stripedN15benchmark_utils11custom_typeIiiEELj192ELj3ELj10EEvPKT0_PS4_.uses_vcc, 1
	.set _Z17sort_pairs_kernelI22helper_blocked_stripedN15benchmark_utils11custom_typeIiiEELj192ELj3ELj10EEvPKT0_PS4_.uses_flat_scratch, 0
	.set _Z17sort_pairs_kernelI22helper_blocked_stripedN15benchmark_utils11custom_typeIiiEELj192ELj3ELj10EEvPKT0_PS4_.has_dyn_sized_stack, 0
	.set _Z17sort_pairs_kernelI22helper_blocked_stripedN15benchmark_utils11custom_typeIiiEELj192ELj3ELj10EEvPKT0_PS4_.has_recursion, 0
	.set _Z17sort_pairs_kernelI22helper_blocked_stripedN15benchmark_utils11custom_typeIiiEELj192ELj3ELj10EEvPKT0_PS4_.has_indirect_call, 0
	.section	.AMDGPU.csdata,"",@progbits
; Kernel info:
; codeLenInByte = 2792
; TotalNumSgprs: 49
; NumVgprs: 39
; ScratchSize: 0
; MemoryBound: 0
; FloatMode: 240
; IeeeMode: 1
; LDSByteSize: 4608 bytes/workgroup (compile time only)
; SGPRBlocks: 6
; VGPRBlocks: 9
; NumSGPRsForWavesPerEU: 49
; NumVGPRsForWavesPerEU: 39
; Occupancy: 6
; WaveLimiterHint : 1
; COMPUTE_PGM_RSRC2:SCRATCH_EN: 0
; COMPUTE_PGM_RSRC2:USER_SGPR: 6
; COMPUTE_PGM_RSRC2:TRAP_HANDLER: 0
; COMPUTE_PGM_RSRC2:TGID_X_EN: 1
; COMPUTE_PGM_RSRC2:TGID_Y_EN: 0
; COMPUTE_PGM_RSRC2:TGID_Z_EN: 0
; COMPUTE_PGM_RSRC2:TIDIG_COMP_CNT: 2
	.section	.text._Z16sort_keys_kernelI22helper_blocked_stripedN15benchmark_utils11custom_typeIiiEELj192ELj4ELj10EEvPKT0_PS4_,"axG",@progbits,_Z16sort_keys_kernelI22helper_blocked_stripedN15benchmark_utils11custom_typeIiiEELj192ELj4ELj10EEvPKT0_PS4_,comdat
	.protected	_Z16sort_keys_kernelI22helper_blocked_stripedN15benchmark_utils11custom_typeIiiEELj192ELj4ELj10EEvPKT0_PS4_ ; -- Begin function _Z16sort_keys_kernelI22helper_blocked_stripedN15benchmark_utils11custom_typeIiiEELj192ELj4ELj10EEvPKT0_PS4_
	.globl	_Z16sort_keys_kernelI22helper_blocked_stripedN15benchmark_utils11custom_typeIiiEELj192ELj4ELj10EEvPKT0_PS4_
	.p2align	8
	.type	_Z16sort_keys_kernelI22helper_blocked_stripedN15benchmark_utils11custom_typeIiiEELj192ELj4ELj10EEvPKT0_PS4_,@function
_Z16sort_keys_kernelI22helper_blocked_stripedN15benchmark_utils11custom_typeIiiEELj192ELj4ELj10EEvPKT0_PS4_: ; @_Z16sort_keys_kernelI22helper_blocked_stripedN15benchmark_utils11custom_typeIiiEELj192ELj4ELj10EEvPKT0_PS4_
; %bb.0:
	s_load_dwordx4 s[40:43], s[4:5], 0x0
	s_load_dword s8, s[4:5], 0x1c
	s_mul_i32 s44, s6, 0x300
	s_mov_b32 s45, 0
	s_lshl_b64 s[46:47], s[44:45], 3
	s_waitcnt lgkmcnt(0)
	s_add_u32 s0, s40, s46
	s_addc_u32 s1, s41, s47
	v_lshlrev_b32_e32 v11, 5, v0
	global_load_dwordx4 v[3:6], v11, s[0:1] offset:16
	global_load_dwordx4 v[7:10], v11, s[0:1]
	global_load_dwordx2 v[7:8], v11, s[0:1]
	s_lshr_b32 s9, s8, 16
                                        ; kill: killed $vgpr11
	v_mbcnt_lo_u32_b32 v11, -1, 0
	s_and_b32 s8, s8, 0xffff
	v_mad_u32_u24 v1, v2, s9, v1
	v_mbcnt_hi_u32_b32 v11, -1, v11
	v_mad_u64_u32 v[1:2], s[8:9], v1, s8, v[0:1]
	v_and_b32_e32 v2, 15, v11
	v_cmp_eq_u32_e64 s[8:9], 0, v2
	v_cmp_lt_u32_e64 s[10:11], 1, v2
	v_cmp_lt_u32_e64 s[12:13], 3, v2
	v_cmp_lt_u32_e64 s[14:15], 7, v2
	v_and_b32_e32 v2, 16, v11
	v_cmp_eq_u32_e64 s[16:17], 0, v2
	v_and_b32_e32 v2, 0xc0, v0
	v_min_u32_e32 v2, 0x80, v2
	v_or_b32_e32 v2, 63, v2
	v_and_b32_e32 v14, 64, v11
	v_cmp_eq_u32_e64 s[20:21], v0, v2
	v_subrev_co_u32_e64 v2, s[26:27], 1, v11
	v_cmp_lt_i32_e32 vcc, v2, v14
	v_cndmask_b32_e32 v2, v2, v11, vcc
	s_movk_i32 s33, 0x300
	v_lshlrev_b32_e32 v19, 2, v0
	v_lshrrev_b32_e32 v12, 2, v11
	v_lshlrev_b32_e32 v25, 2, v2
	v_lshrrev_b32_e32 v2, 4, v0
	v_or_b32_e32 v15, v12, v14
	v_add_u32_e32 v12, 48, v12
	v_and_b32_e32 v26, 12, v2
	v_and_or_b32 v2, v19, s33, v11
	v_and_b32_e32 v13, 3, v11
	v_and_or_b32 v12, v12, 63, v14
	v_cmp_lt_u32_e64 s[18:19], 31, v11
	v_lshrrev_b32_e32 v11, 2, v2
	v_lshlrev_b32_e32 v23, 2, v12
	v_and_b32_e32 v11, 0xd8, v11
	v_lshlrev_b32_e32 v12, 3, v2
	v_add_u32_e32 v28, v11, v12
	v_add_u32_e32 v11, 64, v2
	v_lshrrev_b32_e32 v11, 2, v11
	v_and_b32_e32 v11, 0xf8, v11
	v_add_u32_e32 v29, v11, v12
	v_or_b32_e32 v11, 0x80, v2
	v_add_u32_e32 v2, 0xc0, v2
	v_lshrrev_b32_e32 v11, 2, v11
	v_lshrrev_b32_e32 v2, 2, v2
	v_lshlrev_b32_e32 v20, 2, v15
	v_lshlrev_b32_e32 v24, 4, v0
	v_and_b32_e32 v11, 0xf8, v11
	v_and_b32_e32 v2, 0x1f8, v2
	v_lshrrev_b32_e32 v1, 4, v1
                                        ; kill: killed $sgpr0 killed $sgpr1
	v_cmp_eq_u32_e64 s[0:1], 0, v13
	v_cmp_eq_u32_e64 s[2:3], 1, v13
	;; [unrolled: 1-line block ×4, first 2 shown]
	v_add_u32_e32 v21, 64, v20
	v_or_b32_e32 v22, 0x80, v20
	v_cmp_gt_u32_e64 s[22:23], 3, v0
	v_cmp_lt_u32_e64 s[24:25], 63, v0
	v_cmp_eq_u32_e64 s[28:29], 0, v0
	v_mad_i32_i24 v27, v0, -12, v24
	v_cmp_lt_u32_e64 s[30:31], 1, v13
	v_add_u32_e32 v30, v11, v12
	v_add_u32_e32 v31, v2, v12
	v_add_u32_e32 v32, -4, v26
	v_and_b32_e32 v33, 0xffffffc, v1
	v_mov_b32_e32 v1, 0
	s_branch .LBB356_2
.LBB356_1:                              ;   in Loop: Header=BB356_2 Depth=1
	v_lshlrev_b32_e32 v11, 3, v39
	s_barrier
	ds_write_b64 v11, v[9:10]
	v_lshlrev_b32_e32 v9, 3, v36
	ds_write_b64 v9, v[7:8]
	v_lshlrev_b32_e32 v7, 3, v34
	;; [unrolled: 2-line block ×3, first 2 shown]
	v_add_u32_e32 v6, v27, v19
	ds_write_b64 v2, v[3:4]
	s_waitcnt lgkmcnt(0)
	s_barrier
	ds_read2st64_b64 v[2:5], v6 offset1:3
	ds_read2st64_b64 v[11:14], v6 offset0:6 offset1:9
	s_add_i32 s45, s45, 1
	s_cmp_eq_u32 s45, 10
	s_waitcnt lgkmcnt(1)
	v_xor_b32_e32 v7, 0x80000000, v2
	v_xor_b32_e32 v8, 0x80000000, v3
	;; [unrolled: 1-line block ×4, first 2 shown]
	s_waitcnt lgkmcnt(0)
	v_xor_b32_e32 v3, 0x80000000, v11
	v_xor_b32_e32 v4, 0x80000000, v12
	;; [unrolled: 1-line block ×4, first 2 shown]
	s_cbranch_scc1 .LBB356_20
.LBB356_2:                              ; =>This Loop Header: Depth=1
                                        ;     Child Loop BB356_4 Depth 2
	s_waitcnt vmcnt(0)
	v_xor_b32_e32 v2, 0x80000000, v7
	v_xor_b32_e32 v7, 0x80000000, v8
	v_xor_b32_e32 v8, 0x80000000, v9
	v_xor_b32_e32 v9, 0x80000000, v10
	ds_bpermute_b32 v10, v20, v7
	ds_bpermute_b32 v12, v20, v9
	;; [unrolled: 1-line block ×4, first 2 shown]
	v_xor_b32_e32 v4, 0x80000000, v4
	v_xor_b32_e32 v6, 0x80000000, v6
	s_waitcnt lgkmcnt(3)
	v_cndmask_b32_e64 v10, 0, v10, s[0:1]
	ds_bpermute_b32 v14, v20, v4
	v_xor_b32_e32 v3, 0x80000000, v3
	s_waitcnt lgkmcnt(3)
	v_cndmask_b32_e64 v10, v10, v12, s[2:3]
	ds_bpermute_b32 v12, v20, v6
	;; [unrolled: 4-line block ×3, first 2 shown]
	s_waitcnt lgkmcnt(3)
	v_cndmask_b32_e64 v11, v11, v13, s[2:3]
	ds_bpermute_b32 v13, v20, v5
	s_waitcnt lgkmcnt(3)
	v_cndmask_b32_e64 v10, v10, v14, s[4:5]
	s_waitcnt lgkmcnt(2)
	v_cndmask_b32_e64 v12, v10, v12, s[6:7]
	ds_bpermute_b32 v10, v21, v7
	s_waitcnt lgkmcnt(2)
	v_cndmask_b32_e64 v11, v11, v15, s[4:5]
	ds_bpermute_b32 v14, v21, v2
	ds_bpermute_b32 v15, v21, v9
	s_waitcnt lgkmcnt(3)
	v_cndmask_b32_e64 v11, v11, v13, s[6:7]
	ds_bpermute_b32 v13, v21, v8
	s_waitcnt lgkmcnt(3)
	v_cndmask_b32_e64 v10, 0, v10, s[0:1]
	s_waitcnt lgkmcnt(2)
	v_cndmask_b32_e64 v14, 0, v14, s[0:1]
	;; [unrolled: 2-line block ×3, first 2 shown]
	ds_bpermute_b32 v15, v21, v4
	s_waitcnt lgkmcnt(1)
	v_cndmask_b32_e64 v13, v14, v13, s[2:3]
	ds_bpermute_b32 v14, v21, v3
	ds_bpermute_b32 v16, v21, v6
	;; [unrolled: 1-line block ×3, first 2 shown]
	s_waitcnt lgkmcnt(3)
	v_cndmask_b32_e64 v10, v10, v15, s[4:5]
	ds_bpermute_b32 v15, v22, v7
	s_waitcnt lgkmcnt(3)
	v_cndmask_b32_e64 v13, v13, v14, s[4:5]
	s_waitcnt lgkmcnt(2)
	v_cndmask_b32_e64 v14, v10, v16, s[6:7]
	ds_bpermute_b32 v10, v22, v2
	s_waitcnt lgkmcnt(2)
	v_cndmask_b32_e64 v13, v13, v17, s[6:7]
	ds_bpermute_b32 v16, v22, v9
	ds_bpermute_b32 v17, v22, v8
	ds_bpermute_b32 v7, v23, v7
	ds_bpermute_b32 v2, v23, v2
	ds_bpermute_b32 v9, v23, v9
	ds_bpermute_b32 v8, v23, v8
	s_waitcnt lgkmcnt(7)
	v_cndmask_b32_e64 v15, 0, v15, s[0:1]
	ds_bpermute_b32 v18, v22, v4
	s_waitcnt lgkmcnt(7)
	v_cndmask_b32_e64 v10, 0, v10, s[0:1]
	ds_bpermute_b32 v34, v22, v3
	ds_bpermute_b32 v4, v23, v4
	;; [unrolled: 1-line block ×3, first 2 shown]
	s_waitcnt lgkmcnt(9)
	v_cndmask_b32_e64 v15, v15, v16, s[2:3]
	s_waitcnt lgkmcnt(8)
	v_cndmask_b32_e64 v10, v10, v17, s[2:3]
	ds_bpermute_b32 v16, v22, v6
	ds_bpermute_b32 v17, v22, v5
	;; [unrolled: 1-line block ×4, first 2 shown]
	s_waitcnt lgkmcnt(11)
	v_cndmask_b32_e64 v7, 0, v7, s[0:1]
	s_waitcnt lgkmcnt(10)
	v_cndmask_b32_e64 v2, 0, v2, s[0:1]
	;; [unrolled: 2-line block ×12, first 2 shown]
	s_mov_b32 s33, 8
	s_mov_b32 s40, 32
	;; [unrolled: 1-line block ×3, first 2 shown]
	s_barrier
	s_branch .LBB356_4
.LBB356_3:                              ;   in Loop: Header=BB356_4 Depth=2
	s_andn2_b64 vcc, exec, s[34:35]
	s_cbranch_vccz .LBB356_1
.LBB356_4:                              ;   Parent Loop BB356_2 Depth=1
                                        ; =>  This Inner Loop Header: Depth=2
	s_min_i32 s36, s33, 32
	s_cmp_lt_u32 s41, 32
	s_cselect_b64 s[34:35], -1, 0
	s_cmp_gt_u32 s41, 31
	s_cselect_b64 vcc, -1, 0
	s_sub_i32 s36, s36, 32
	s_add_i32 s37, s36, s40
	s_lshl_b32 s37, -1, s37
	s_not_b32 s37, s37
	s_cmp_lg_u32 s36, s41
	s_cselect_b32 s48, s37, -1
	s_max_i32 s44, s40, 0
	s_max_i32 s36, s41, 32
	s_sub_i32 s49, s36, 32
	s_sub_i32 s36, s36, s44
	;; [unrolled: 1-line block ×3, first 2 shown]
	s_min_i32 s36, s36, 32
	s_sub_i32 s36, s36, s49
	s_lshl_b32 s37, -1, s36
	s_not_b32 s37, s37
	v_mov_b32_e32 v9, v11
	s_cmp_lg_u32 s36, 32
	v_mov_b32_e32 v10, v12
	s_cselect_b32 s50, s37, -1
	v_lshrrev_b32_e32 v11, s49, v9
	v_lshrrev_b32_e32 v2, s41, v10
	v_and_b32_e32 v11, s50, v11
	v_and_b32_e32 v2, s48, v2
	v_lshlrev_b32_e32 v11, s44, v11
	v_cndmask_b32_e64 v2, 0, v2, s[34:35]
	v_cndmask_b32_e32 v11, 0, v11, vcc
	v_or_b32_e32 v11, v2, v11
	v_and_b32_e32 v2, 1, v11
	v_mov_b32_e32 v7, v13
	v_add_co_u32_e64 v12, s[36:37], -1, v2
	v_mov_b32_e32 v8, v14
	v_addc_co_u32_e64 v14, s[36:37], 0, -1, s[36:37]
	v_cmp_ne_u32_e64 s[36:37], 0, v2
	v_xor_b32_e32 v2, s37, v14
	v_and_b32_e32 v14, exec_hi, v2
	v_lshlrev_b32_e32 v2, 30, v11
	v_xor_b32_e32 v12, s36, v12
	v_cmp_gt_i64_e64 s[36:37], 0, v[1:2]
	v_not_b32_e32 v2, v2
	v_mov_b32_e32 v5, v15
	v_ashrrev_i32_e32 v2, 31, v2
	v_mov_b32_e32 v6, v16
	v_and_b32_e32 v12, exec_lo, v12
	v_xor_b32_e32 v15, s37, v2
	v_xor_b32_e32 v2, s36, v2
	v_and_b32_e32 v12, v12, v2
	v_lshlrev_b32_e32 v2, 29, v11
	v_cmp_gt_i64_e64 s[36:37], 0, v[1:2]
	v_not_b32_e32 v2, v2
	v_ashrrev_i32_e32 v2, 31, v2
	v_and_b32_e32 v14, v14, v15
	v_xor_b32_e32 v15, s37, v2
	v_xor_b32_e32 v2, s36, v2
	v_and_b32_e32 v12, v12, v2
	v_lshlrev_b32_e32 v2, 28, v11
	v_cmp_gt_i64_e64 s[36:37], 0, v[1:2]
	v_not_b32_e32 v2, v2
	v_ashrrev_i32_e32 v2, 31, v2
	v_and_b32_e32 v14, v14, v15
	v_xor_b32_e32 v15, s37, v2
	v_xor_b32_e32 v2, s36, v2
	v_and_b32_e32 v12, v12, v2
	v_lshlrev_b32_e32 v2, 27, v11
	v_cmp_gt_i64_e64 s[36:37], 0, v[1:2]
	v_not_b32_e32 v2, v2
	v_ashrrev_i32_e32 v2, 31, v2
	v_and_b32_e32 v14, v14, v15
	v_xor_b32_e32 v15, s37, v2
	v_xor_b32_e32 v2, s36, v2
	v_and_b32_e32 v12, v12, v2
	v_lshlrev_b32_e32 v2, 26, v11
	v_cmp_gt_i64_e64 s[36:37], 0, v[1:2]
	v_not_b32_e32 v2, v2
	v_ashrrev_i32_e32 v2, 31, v2
	v_and_b32_e32 v14, v14, v15
	v_xor_b32_e32 v15, s37, v2
	v_xor_b32_e32 v2, s36, v2
	v_and_b32_e32 v12, v12, v2
	v_lshlrev_b32_e32 v2, 25, v11
	v_cmp_gt_i64_e64 s[36:37], 0, v[1:2]
	v_not_b32_e32 v2, v2
	v_ashrrev_i32_e32 v2, 31, v2
	v_and_b32_e32 v14, v14, v15
	v_xor_b32_e32 v15, s37, v2
	v_xor_b32_e32 v2, s36, v2
	v_and_b32_e32 v14, v14, v15
	v_and_b32_e32 v15, v12, v2
	v_lshlrev_b32_e32 v2, 24, v11
	v_cmp_gt_i64_e64 s[36:37], 0, v[1:2]
	v_not_b32_e32 v2, v2
	v_ashrrev_i32_e32 v2, 31, v2
	v_mul_lo_u32 v13, v11, 12
	v_xor_b32_e32 v11, s37, v2
	v_xor_b32_e32 v2, s36, v2
	v_and_b32_e32 v12, v14, v11
	v_and_b32_e32 v11, v15, v2
	v_mbcnt_lo_u32_b32 v2, v11, 0
	v_mbcnt_hi_u32_b32 v15, v12, v2
	v_cmp_ne_u64_e64 s[36:37], 0, v[11:12]
	v_mov_b32_e32 v3, v17
	v_cmp_eq_u32_e64 s[38:39], 0, v15
	v_mov_b32_e32 v4, v18
	s_and_b64 s[38:39], s[38:39], s[36:37]
	v_add_u32_e32 v16, v33, v13
	ds_write2_b32 v24, v1, v1 offset0:3 offset1:4
	ds_write2_b32 v24, v1, v1 offset0:5 offset1:6
	s_waitcnt lgkmcnt(0)
	s_barrier
	; wave barrier
	s_and_saveexec_b64 s[36:37], s[38:39]
; %bb.5:                                ;   in Loop: Header=BB356_4 Depth=2
	v_bcnt_u32_b32 v2, v11, 0
	v_bcnt_u32_b32 v2, v12, v2
	ds_write_b32 v16, v2 offset:12
; %bb.6:                                ;   in Loop: Header=BB356_4 Depth=2
	s_or_b64 exec, exec, s[36:37]
	v_lshrrev_b32_e32 v11, s49, v7
	v_lshrrev_b32_e32 v2, s41, v8
	v_and_b32_e32 v11, s50, v11
	v_and_b32_e32 v2, s48, v2
	v_lshlrev_b32_e32 v11, s44, v11
	v_cndmask_b32_e64 v2, 0, v2, s[34:35]
	v_cndmask_b32_e32 v11, 0, v11, vcc
	v_or_b32_e32 v11, v2, v11
	v_mul_lo_u32 v2, v11, 12
	; wave barrier
	v_add_u32_e32 v18, v33, v2
	v_and_b32_e32 v2, 1, v11
	v_add_co_u32_e64 v12, s[36:37], -1, v2
	v_addc_co_u32_e64 v13, s[36:37], 0, -1, s[36:37]
	v_cmp_ne_u32_e64 s[36:37], 0, v2
	v_xor_b32_e32 v2, s37, v13
	v_and_b32_e32 v13, exec_hi, v2
	v_lshlrev_b32_e32 v2, 30, v11
	v_xor_b32_e32 v12, s36, v12
	v_cmp_gt_i64_e64 s[36:37], 0, v[1:2]
	v_not_b32_e32 v2, v2
	v_ashrrev_i32_e32 v2, 31, v2
	v_and_b32_e32 v12, exec_lo, v12
	v_xor_b32_e32 v14, s37, v2
	v_xor_b32_e32 v2, s36, v2
	v_and_b32_e32 v12, v12, v2
	v_lshlrev_b32_e32 v2, 29, v11
	v_cmp_gt_i64_e64 s[36:37], 0, v[1:2]
	v_not_b32_e32 v2, v2
	v_ashrrev_i32_e32 v2, 31, v2
	v_and_b32_e32 v13, v13, v14
	v_xor_b32_e32 v14, s37, v2
	v_xor_b32_e32 v2, s36, v2
	v_and_b32_e32 v12, v12, v2
	v_lshlrev_b32_e32 v2, 28, v11
	v_cmp_gt_i64_e64 s[36:37], 0, v[1:2]
	v_not_b32_e32 v2, v2
	v_ashrrev_i32_e32 v2, 31, v2
	v_and_b32_e32 v13, v13, v14
	;; [unrolled: 8-line block ×5, first 2 shown]
	v_xor_b32_e32 v14, s37, v2
	v_xor_b32_e32 v2, s36, v2
	v_and_b32_e32 v13, v13, v14
	v_and_b32_e32 v14, v12, v2
	v_lshlrev_b32_e32 v2, 24, v11
	v_cmp_gt_i64_e64 s[36:37], 0, v[1:2]
	v_not_b32_e32 v2, v2
	v_ashrrev_i32_e32 v2, 31, v2
	v_xor_b32_e32 v11, s37, v2
	v_xor_b32_e32 v2, s36, v2
	ds_read_b32 v17, v18 offset:12
	v_and_b32_e32 v12, v13, v11
	v_and_b32_e32 v11, v14, v2
	v_mbcnt_lo_u32_b32 v2, v11, 0
	v_mbcnt_hi_u32_b32 v34, v12, v2
	v_cmp_ne_u64_e64 s[36:37], 0, v[11:12]
	v_cmp_eq_u32_e64 s[38:39], 0, v34
	s_and_b64 s[38:39], s[38:39], s[36:37]
	; wave barrier
	s_and_saveexec_b64 s[36:37], s[38:39]
	s_cbranch_execz .LBB356_8
; %bb.7:                                ;   in Loop: Header=BB356_4 Depth=2
	v_bcnt_u32_b32 v2, v11, 0
	v_bcnt_u32_b32 v2, v12, v2
	s_waitcnt lgkmcnt(0)
	v_add_u32_e32 v2, v17, v2
	ds_write_b32 v18, v2 offset:12
.LBB356_8:                              ;   in Loop: Header=BB356_4 Depth=2
	s_or_b64 exec, exec, s[36:37]
	v_lshrrev_b32_e32 v11, s49, v5
	v_lshrrev_b32_e32 v2, s41, v6
	v_and_b32_e32 v11, s50, v11
	v_and_b32_e32 v2, s48, v2
	v_lshlrev_b32_e32 v11, s44, v11
	v_cndmask_b32_e64 v2, 0, v2, s[34:35]
	v_cndmask_b32_e32 v11, 0, v11, vcc
	v_or_b32_e32 v11, v2, v11
	v_mul_lo_u32 v2, v11, 12
	; wave barrier
	v_add_u32_e32 v36, v33, v2
	v_and_b32_e32 v2, 1, v11
	v_add_co_u32_e64 v12, s[36:37], -1, v2
	v_addc_co_u32_e64 v13, s[36:37], 0, -1, s[36:37]
	v_cmp_ne_u32_e64 s[36:37], 0, v2
	v_xor_b32_e32 v2, s37, v13
	v_and_b32_e32 v13, exec_hi, v2
	v_lshlrev_b32_e32 v2, 30, v11
	v_xor_b32_e32 v12, s36, v12
	v_cmp_gt_i64_e64 s[36:37], 0, v[1:2]
	v_not_b32_e32 v2, v2
	v_ashrrev_i32_e32 v2, 31, v2
	v_and_b32_e32 v12, exec_lo, v12
	v_xor_b32_e32 v14, s37, v2
	v_xor_b32_e32 v2, s36, v2
	v_and_b32_e32 v12, v12, v2
	v_lshlrev_b32_e32 v2, 29, v11
	v_cmp_gt_i64_e64 s[36:37], 0, v[1:2]
	v_not_b32_e32 v2, v2
	v_ashrrev_i32_e32 v2, 31, v2
	v_and_b32_e32 v13, v13, v14
	v_xor_b32_e32 v14, s37, v2
	v_xor_b32_e32 v2, s36, v2
	v_and_b32_e32 v12, v12, v2
	v_lshlrev_b32_e32 v2, 28, v11
	v_cmp_gt_i64_e64 s[36:37], 0, v[1:2]
	v_not_b32_e32 v2, v2
	v_ashrrev_i32_e32 v2, 31, v2
	v_and_b32_e32 v13, v13, v14
	;; [unrolled: 8-line block ×5, first 2 shown]
	v_xor_b32_e32 v14, s37, v2
	v_xor_b32_e32 v2, s36, v2
	v_and_b32_e32 v13, v13, v14
	v_and_b32_e32 v14, v12, v2
	v_lshlrev_b32_e32 v2, 24, v11
	v_cmp_gt_i64_e64 s[36:37], 0, v[1:2]
	v_not_b32_e32 v2, v2
	v_ashrrev_i32_e32 v2, 31, v2
	v_xor_b32_e32 v11, s37, v2
	v_xor_b32_e32 v2, s36, v2
	ds_read_b32 v35, v36 offset:12
	v_and_b32_e32 v12, v13, v11
	v_and_b32_e32 v11, v14, v2
	v_mbcnt_lo_u32_b32 v2, v11, 0
	v_mbcnt_hi_u32_b32 v37, v12, v2
	v_cmp_ne_u64_e64 s[36:37], 0, v[11:12]
	v_cmp_eq_u32_e64 s[38:39], 0, v37
	s_and_b64 s[38:39], s[38:39], s[36:37]
	; wave barrier
	s_and_saveexec_b64 s[36:37], s[38:39]
	s_cbranch_execz .LBB356_10
; %bb.9:                                ;   in Loop: Header=BB356_4 Depth=2
	v_bcnt_u32_b32 v2, v11, 0
	v_bcnt_u32_b32 v2, v12, v2
	s_waitcnt lgkmcnt(0)
	v_add_u32_e32 v2, v35, v2
	ds_write_b32 v36, v2 offset:12
.LBB356_10:                             ;   in Loop: Header=BB356_4 Depth=2
	s_or_b64 exec, exec, s[36:37]
	v_lshrrev_b32_e32 v11, s49, v3
	v_lshrrev_b32_e32 v2, s41, v4
	v_and_b32_e32 v11, s50, v11
	v_and_b32_e32 v2, s48, v2
	v_lshlrev_b32_e32 v11, s44, v11
	v_cndmask_b32_e64 v2, 0, v2, s[34:35]
	v_cndmask_b32_e32 v11, 0, v11, vcc
	v_or_b32_e32 v11, v2, v11
	v_mul_lo_u32 v2, v11, 12
	; wave barrier
	v_add_u32_e32 v39, v33, v2
	v_and_b32_e32 v2, 1, v11
	v_add_co_u32_e32 v12, vcc, -1, v2
	v_addc_co_u32_e64 v13, s[34:35], 0, -1, vcc
	v_cmp_ne_u32_e32 vcc, 0, v2
	v_xor_b32_e32 v2, vcc_hi, v13
	v_and_b32_e32 v13, exec_hi, v2
	v_lshlrev_b32_e32 v2, 30, v11
	v_xor_b32_e32 v12, vcc_lo, v12
	v_cmp_gt_i64_e32 vcc, 0, v[1:2]
	v_not_b32_e32 v2, v2
	v_ashrrev_i32_e32 v2, 31, v2
	v_and_b32_e32 v12, exec_lo, v12
	v_xor_b32_e32 v14, vcc_hi, v2
	v_xor_b32_e32 v2, vcc_lo, v2
	v_and_b32_e32 v12, v12, v2
	v_lshlrev_b32_e32 v2, 29, v11
	v_cmp_gt_i64_e32 vcc, 0, v[1:2]
	v_not_b32_e32 v2, v2
	v_ashrrev_i32_e32 v2, 31, v2
	v_and_b32_e32 v13, v13, v14
	v_xor_b32_e32 v14, vcc_hi, v2
	v_xor_b32_e32 v2, vcc_lo, v2
	v_and_b32_e32 v12, v12, v2
	v_lshlrev_b32_e32 v2, 28, v11
	v_cmp_gt_i64_e32 vcc, 0, v[1:2]
	v_not_b32_e32 v2, v2
	v_ashrrev_i32_e32 v2, 31, v2
	v_and_b32_e32 v13, v13, v14
	;; [unrolled: 8-line block ×5, first 2 shown]
	v_xor_b32_e32 v14, vcc_hi, v2
	v_xor_b32_e32 v2, vcc_lo, v2
	v_and_b32_e32 v13, v13, v14
	v_and_b32_e32 v14, v12, v2
	v_lshlrev_b32_e32 v2, 24, v11
	v_cmp_gt_i64_e32 vcc, 0, v[1:2]
	v_not_b32_e32 v2, v2
	v_ashrrev_i32_e32 v2, 31, v2
	v_xor_b32_e32 v11, vcc_hi, v2
	v_xor_b32_e32 v2, vcc_lo, v2
	ds_read_b32 v38, v39 offset:12
	v_and_b32_e32 v12, v13, v11
	v_and_b32_e32 v11, v14, v2
	v_mbcnt_lo_u32_b32 v2, v11, 0
	v_mbcnt_hi_u32_b32 v2, v12, v2
	v_cmp_ne_u64_e32 vcc, 0, v[11:12]
	v_cmp_eq_u32_e64 s[34:35], 0, v2
	s_and_b64 s[36:37], s[34:35], vcc
	; wave barrier
	s_and_saveexec_b64 s[34:35], s[36:37]
	s_cbranch_execz .LBB356_12
; %bb.11:                               ;   in Loop: Header=BB356_4 Depth=2
	v_bcnt_u32_b32 v11, v11, 0
	v_bcnt_u32_b32 v11, v12, v11
	s_waitcnt lgkmcnt(0)
	v_add_u32_e32 v11, v38, v11
	ds_write_b32 v39, v11 offset:12
.LBB356_12:                             ;   in Loop: Header=BB356_4 Depth=2
	s_or_b64 exec, exec, s[34:35]
	; wave barrier
	s_waitcnt lgkmcnt(0)
	s_barrier
	ds_read2_b32 v[13:14], v24 offset0:3 offset1:4
	ds_read2_b32 v[11:12], v24 offset0:5 offset1:6
	s_waitcnt lgkmcnt(1)
	v_add_u32_e32 v40, v14, v13
	s_waitcnt lgkmcnt(0)
	v_add3_u32 v12, v40, v11, v12
	s_nop 1
	v_mov_b32_dpp v40, v12 row_shr:1 row_mask:0xf bank_mask:0xf
	v_cndmask_b32_e64 v40, v40, 0, s[8:9]
	v_add_u32_e32 v12, v40, v12
	s_nop 1
	v_mov_b32_dpp v40, v12 row_shr:2 row_mask:0xf bank_mask:0xf
	v_cndmask_b32_e64 v40, 0, v40, s[10:11]
	v_add_u32_e32 v12, v12, v40
	;; [unrolled: 4-line block ×4, first 2 shown]
	s_nop 1
	v_mov_b32_dpp v40, v12 row_bcast:15 row_mask:0xf bank_mask:0xf
	v_cndmask_b32_e64 v40, v40, 0, s[16:17]
	v_add_u32_e32 v12, v12, v40
	s_nop 1
	v_mov_b32_dpp v40, v12 row_bcast:31 row_mask:0xf bank_mask:0xf
	v_cndmask_b32_e64 v40, 0, v40, s[18:19]
	v_add_u32_e32 v12, v12, v40
	s_and_saveexec_b64 s[34:35], s[20:21]
; %bb.13:                               ;   in Loop: Header=BB356_4 Depth=2
	ds_write_b32 v26, v12
; %bb.14:                               ;   in Loop: Header=BB356_4 Depth=2
	s_or_b64 exec, exec, s[34:35]
	s_waitcnt lgkmcnt(0)
	s_barrier
	s_and_saveexec_b64 s[34:35], s[22:23]
	s_cbranch_execz .LBB356_16
; %bb.15:                               ;   in Loop: Header=BB356_4 Depth=2
	ds_read_b32 v40, v27
	s_waitcnt lgkmcnt(0)
	s_nop 0
	v_mov_b32_dpp v41, v40 row_shr:1 row_mask:0xf bank_mask:0xf
	v_cndmask_b32_e64 v41, v41, 0, s[0:1]
	v_add_u32_e32 v40, v41, v40
	s_nop 1
	v_mov_b32_dpp v41, v40 row_shr:2 row_mask:0xf bank_mask:0xf
	v_cndmask_b32_e64 v41, 0, v41, s[30:31]
	v_add_u32_e32 v40, v40, v41
	ds_write_b32 v27, v40
.LBB356_16:                             ;   in Loop: Header=BB356_4 Depth=2
	s_or_b64 exec, exec, s[34:35]
	v_mov_b32_e32 v40, 0
	s_waitcnt lgkmcnt(0)
	s_barrier
	s_and_saveexec_b64 s[34:35], s[24:25]
; %bb.17:                               ;   in Loop: Header=BB356_4 Depth=2
	ds_read_b32 v40, v32
; %bb.18:                               ;   in Loop: Header=BB356_4 Depth=2
	s_or_b64 exec, exec, s[34:35]
	s_waitcnt lgkmcnt(0)
	v_add_u32_e32 v12, v40, v12
	ds_bpermute_b32 v12, v25, v12
	s_cmp_gt_u32 s41, 55
	s_mov_b64 s[34:35], -1
	s_waitcnt lgkmcnt(0)
	v_cndmask_b32_e64 v12, v12, v40, s[26:27]
	v_cndmask_b32_e64 v12, v12, 0, s[28:29]
	v_add_u32_e32 v13, v12, v13
	v_add_u32_e32 v14, v13, v14
	;; [unrolled: 1-line block ×3, first 2 shown]
	ds_write2_b32 v24, v12, v13 offset0:3 offset1:4
	ds_write2_b32 v24, v14, v11 offset0:5 offset1:6
	s_waitcnt lgkmcnt(0)
	s_barrier
	ds_read_b32 v11, v16 offset:12
	ds_read_b32 v12, v18 offset:12
	;; [unrolled: 1-line block ×4, first 2 shown]
	s_waitcnt lgkmcnt(0)
	v_add_u32_e32 v39, v11, v15
	v_add3_u32 v36, v34, v17, v12
	v_add3_u32 v34, v37, v35, v13
	v_add3_u32 v2, v2, v38, v14
                                        ; implicit-def: $vgpr11_vgpr12
                                        ; implicit-def: $vgpr13_vgpr14
                                        ; implicit-def: $vgpr15_vgpr16
                                        ; implicit-def: $vgpr17_vgpr18
	s_cbranch_scc1 .LBB356_3
; %bb.19:                               ;   in Loop: Header=BB356_4 Depth=2
	v_lshrrev_b32_e32 v11, 2, v39
	v_and_b32_e32 v11, 0x3ffffff8, v11
	v_lshl_add_u32 v11, v39, 3, v11
	s_barrier
	ds_write_b64 v11, v[9:10]
	v_lshrrev_b32_e32 v11, 2, v36
	v_and_b32_e32 v11, 0x3ffffff8, v11
	v_lshl_add_u32 v11, v36, 3, v11
	ds_write_b64 v11, v[7:8]
	v_lshrrev_b32_e32 v11, 2, v34
	v_and_b32_e32 v11, 0x3ffffff8, v11
	v_lshl_add_u32 v11, v34, 3, v11
	;; [unrolled: 4-line block ×3, first 2 shown]
	ds_write_b64 v11, v[3:4]
	s_waitcnt lgkmcnt(0)
	s_barrier
	ds_read_b64 v[11:12], v28
	ds_read_b64 v[13:14], v29 offset:512
	ds_read_b64 v[15:16], v30 offset:1024
	;; [unrolled: 1-line block ×3, first 2 shown]
	s_add_i32 s40, s40, -8
	s_add_i32 s33, s33, 8
	s_add_i32 s41, s41, 8
	s_mov_b64 s[34:35], 0
	s_waitcnt lgkmcnt(0)
	s_barrier
	s_branch .LBB356_3
.LBB356_20:
	s_add_u32 s0, s42, s46
	s_addc_u32 s1, s43, s47
	v_lshlrev_b32_e32 v0, 3, v0
	v_mov_b32_e32 v1, s1
	v_add_co_u32_e32 v2, vcc, s0, v0
	v_addc_co_u32_e32 v1, vcc, 0, v1, vcc
	global_store_dwordx2 v0, v[7:8], s[0:1]
	global_store_dwordx2 v0, v[9:10], s[0:1] offset:1536
	global_store_dwordx2 v0, v[3:4], s[0:1] offset:3072
	v_add_co_u32_e32 v0, vcc, 0x1000, v2
	v_addc_co_u32_e32 v1, vcc, 0, v1, vcc
	global_store_dwordx2 v[0:1], v[5:6], off offset:512
	s_endpgm
	.section	.rodata,"a",@progbits
	.p2align	6, 0x0
	.amdhsa_kernel _Z16sort_keys_kernelI22helper_blocked_stripedN15benchmark_utils11custom_typeIiiEELj192ELj4ELj10EEvPKT0_PS4_
		.amdhsa_group_segment_fixed_size 6336
		.amdhsa_private_segment_fixed_size 0
		.amdhsa_kernarg_size 272
		.amdhsa_user_sgpr_count 6
		.amdhsa_user_sgpr_private_segment_buffer 1
		.amdhsa_user_sgpr_dispatch_ptr 0
		.amdhsa_user_sgpr_queue_ptr 0
		.amdhsa_user_sgpr_kernarg_segment_ptr 1
		.amdhsa_user_sgpr_dispatch_id 0
		.amdhsa_user_sgpr_flat_scratch_init 0
		.amdhsa_user_sgpr_private_segment_size 0
		.amdhsa_uses_dynamic_stack 0
		.amdhsa_system_sgpr_private_segment_wavefront_offset 0
		.amdhsa_system_sgpr_workgroup_id_x 1
		.amdhsa_system_sgpr_workgroup_id_y 0
		.amdhsa_system_sgpr_workgroup_id_z 0
		.amdhsa_system_sgpr_workgroup_info 0
		.amdhsa_system_vgpr_workitem_id 2
		.amdhsa_next_free_vgpr 42
		.amdhsa_next_free_sgpr 61
		.amdhsa_reserve_vcc 1
		.amdhsa_reserve_flat_scratch 0
		.amdhsa_float_round_mode_32 0
		.amdhsa_float_round_mode_16_64 0
		.amdhsa_float_denorm_mode_32 3
		.amdhsa_float_denorm_mode_16_64 3
		.amdhsa_dx10_clamp 1
		.amdhsa_ieee_mode 1
		.amdhsa_fp16_overflow 0
		.amdhsa_exception_fp_ieee_invalid_op 0
		.amdhsa_exception_fp_denorm_src 0
		.amdhsa_exception_fp_ieee_div_zero 0
		.amdhsa_exception_fp_ieee_overflow 0
		.amdhsa_exception_fp_ieee_underflow 0
		.amdhsa_exception_fp_ieee_inexact 0
		.amdhsa_exception_int_div_zero 0
	.end_amdhsa_kernel
	.section	.text._Z16sort_keys_kernelI22helper_blocked_stripedN15benchmark_utils11custom_typeIiiEELj192ELj4ELj10EEvPKT0_PS4_,"axG",@progbits,_Z16sort_keys_kernelI22helper_blocked_stripedN15benchmark_utils11custom_typeIiiEELj192ELj4ELj10EEvPKT0_PS4_,comdat
.Lfunc_end356:
	.size	_Z16sort_keys_kernelI22helper_blocked_stripedN15benchmark_utils11custom_typeIiiEELj192ELj4ELj10EEvPKT0_PS4_, .Lfunc_end356-_Z16sort_keys_kernelI22helper_blocked_stripedN15benchmark_utils11custom_typeIiiEELj192ELj4ELj10EEvPKT0_PS4_
                                        ; -- End function
	.set _Z16sort_keys_kernelI22helper_blocked_stripedN15benchmark_utils11custom_typeIiiEELj192ELj4ELj10EEvPKT0_PS4_.num_vgpr, 42
	.set _Z16sort_keys_kernelI22helper_blocked_stripedN15benchmark_utils11custom_typeIiiEELj192ELj4ELj10EEvPKT0_PS4_.num_agpr, 0
	.set _Z16sort_keys_kernelI22helper_blocked_stripedN15benchmark_utils11custom_typeIiiEELj192ELj4ELj10EEvPKT0_PS4_.numbered_sgpr, 51
	.set _Z16sort_keys_kernelI22helper_blocked_stripedN15benchmark_utils11custom_typeIiiEELj192ELj4ELj10EEvPKT0_PS4_.num_named_barrier, 0
	.set _Z16sort_keys_kernelI22helper_blocked_stripedN15benchmark_utils11custom_typeIiiEELj192ELj4ELj10EEvPKT0_PS4_.private_seg_size, 0
	.set _Z16sort_keys_kernelI22helper_blocked_stripedN15benchmark_utils11custom_typeIiiEELj192ELj4ELj10EEvPKT0_PS4_.uses_vcc, 1
	.set _Z16sort_keys_kernelI22helper_blocked_stripedN15benchmark_utils11custom_typeIiiEELj192ELj4ELj10EEvPKT0_PS4_.uses_flat_scratch, 0
	.set _Z16sort_keys_kernelI22helper_blocked_stripedN15benchmark_utils11custom_typeIiiEELj192ELj4ELj10EEvPKT0_PS4_.has_dyn_sized_stack, 0
	.set _Z16sort_keys_kernelI22helper_blocked_stripedN15benchmark_utils11custom_typeIiiEELj192ELj4ELj10EEvPKT0_PS4_.has_recursion, 0
	.set _Z16sort_keys_kernelI22helper_blocked_stripedN15benchmark_utils11custom_typeIiiEELj192ELj4ELj10EEvPKT0_PS4_.has_indirect_call, 0
	.section	.AMDGPU.csdata,"",@progbits
; Kernel info:
; codeLenInByte = 3916
; TotalNumSgprs: 55
; NumVgprs: 42
; ScratchSize: 0
; MemoryBound: 0
; FloatMode: 240
; IeeeMode: 1
; LDSByteSize: 6336 bytes/workgroup (compile time only)
; SGPRBlocks: 8
; VGPRBlocks: 10
; NumSGPRsForWavesPerEU: 65
; NumVGPRsForWavesPerEU: 42
; Occupancy: 5
; WaveLimiterHint : 1
; COMPUTE_PGM_RSRC2:SCRATCH_EN: 0
; COMPUTE_PGM_RSRC2:USER_SGPR: 6
; COMPUTE_PGM_RSRC2:TRAP_HANDLER: 0
; COMPUTE_PGM_RSRC2:TGID_X_EN: 1
; COMPUTE_PGM_RSRC2:TGID_Y_EN: 0
; COMPUTE_PGM_RSRC2:TGID_Z_EN: 0
; COMPUTE_PGM_RSRC2:TIDIG_COMP_CNT: 2
	.section	.text._Z17sort_pairs_kernelI22helper_blocked_stripedN15benchmark_utils11custom_typeIiiEELj192ELj4ELj10EEvPKT0_PS4_,"axG",@progbits,_Z17sort_pairs_kernelI22helper_blocked_stripedN15benchmark_utils11custom_typeIiiEELj192ELj4ELj10EEvPKT0_PS4_,comdat
	.protected	_Z17sort_pairs_kernelI22helper_blocked_stripedN15benchmark_utils11custom_typeIiiEELj192ELj4ELj10EEvPKT0_PS4_ ; -- Begin function _Z17sort_pairs_kernelI22helper_blocked_stripedN15benchmark_utils11custom_typeIiiEELj192ELj4ELj10EEvPKT0_PS4_
	.globl	_Z17sort_pairs_kernelI22helper_blocked_stripedN15benchmark_utils11custom_typeIiiEELj192ELj4ELj10EEvPKT0_PS4_
	.p2align	8
	.type	_Z17sort_pairs_kernelI22helper_blocked_stripedN15benchmark_utils11custom_typeIiiEELj192ELj4ELj10EEvPKT0_PS4_,@function
_Z17sort_pairs_kernelI22helper_blocked_stripedN15benchmark_utils11custom_typeIiiEELj192ELj4ELj10EEvPKT0_PS4_: ; @_Z17sort_pairs_kernelI22helper_blocked_stripedN15benchmark_utils11custom_typeIiiEELj192ELj4ELj10EEvPKT0_PS4_
; %bb.0:
	s_load_dwordx4 s[40:43], s[4:5], 0x0
	s_load_dword s33, s[4:5], 0x1c
	s_mul_i32 s46, s6, 0x300
	s_mov_b32 s47, 0
	s_lshl_b64 s[44:45], s[46:47], 3
	s_waitcnt lgkmcnt(0)
	s_add_u32 s0, s40, s44
	s_addc_u32 s1, s41, s45
	v_lshlrev_b32_e32 v3, 5, v0
	global_load_dwordx4 v[13:16], v3, s[0:1]
	global_load_dwordx4 v[9:12], v3, s[0:1] offset:16
	v_mbcnt_lo_u32_b32 v3, -1, 0
	s_lshr_b32 s34, s33, 16
	v_mbcnt_hi_u32_b32 v3, -1, v3
	s_and_b32 s33, s33, 0xffff
	v_mad_u32_u24 v1, v2, s34, v1
	s_movk_i32 s10, 0x300
	v_lshlrev_b32_e32 v34, 2, v0
	v_and_b32_e32 v4, 0xc0, v0
	v_lshrrev_b32_e32 v5, 4, v0
	v_and_b32_e32 v8, 64, v3
	v_subrev_co_u32_e64 v19, s[8:9], 1, v3
	v_mad_u64_u32 v[1:2], s[34:35], v1, s33, v[0:1]
	v_and_b32_e32 v7, 3, v3
	v_and_b32_e32 v17, 15, v3
	;; [unrolled: 1-line block ×3, first 2 shown]
	v_min_u32_e32 v4, 0x80, v4
	v_and_b32_e32 v36, 12, v5
	v_and_or_b32 v5, v34, s10, v3
	v_cmp_lt_i32_e32 vcc, v19, v8
	v_lshrrev_b32_e32 v6, 2, v3
	v_cmp_lt_u32_e64 s[6:7], 31, v3
	v_cmp_eq_u32_e64 s[10:11], 0, v7
	v_cmp_eq_u32_e64 s[12:13], 1, v7
	;; [unrolled: 1-line block ×5, first 2 shown]
	v_cmp_lt_u32_e64 s[20:21], 1, v17
	v_cmp_lt_u32_e64 s[22:23], 3, v17
	;; [unrolled: 1-line block ×3, first 2 shown]
	v_cmp_eq_u32_e64 s[26:27], 0, v18
	v_or_b32_e32 v4, 63, v4
	v_cndmask_b32_e32 v3, v19, v3, vcc
	v_cmp_lt_u32_e64 s[28:29], 1, v7
	v_lshrrev_b32_e32 v7, 2, v5
	v_lshlrev_b32_e32 v17, 3, v5
	v_add_u32_e32 v18, 64, v5
	v_or_b32_e32 v19, 0x80, v5
	v_add_u32_e32 v5, 0xc0, v5
	v_or_b32_e32 v20, v6, v8
	v_add_u32_e32 v6, 48, v6
	v_cmp_eq_u32_e64 s[30:31], v0, v4
	v_lshlrev_b32_e32 v38, 2, v3
	v_and_b32_e32 v3, 0xd8, v7
	v_lshrrev_b32_e32 v4, 2, v18
	v_lshrrev_b32_e32 v7, 2, v19
	;; [unrolled: 1-line block ×3, first 2 shown]
	v_lshlrev_b32_e32 v35, 4, v0
	v_lshlrev_b32_e32 v37, 2, v20
	v_and_or_b32 v6, v6, 63, v8
	v_add_u32_e32 v40, v3, v17
	v_and_b32_e32 v3, 0xf8, v4
	v_and_b32_e32 v4, 0xf8, v7
	;; [unrolled: 1-line block ×3, first 2 shown]
	v_lshrrev_b32_e32 v1, 4, v1
	v_cmp_gt_u32_e64 s[0:1], 3, v0
	v_cmp_lt_u32_e64 s[2:3], 63, v0
	v_cmp_eq_u32_e64 s[4:5], 0, v0
	v_lshlrev_b32_e32 v39, 2, v6
	v_add_u32_e32 v41, 64, v37
	v_or_b32_e32 v42, 0x80, v37
	v_add_u32_e32 v43, v3, v17
	v_add_u32_e32 v44, v4, v17
	;; [unrolled: 1-line block ×3, first 2 shown]
	v_and_b32_e32 v46, 0xffffffc, v1
	v_mad_i32_i24 v47, v0, -12, v35
	v_add_u32_e32 v48, -4, v36
	v_mov_b32_e32 v17, 0
	s_waitcnt vmcnt(1)
	v_add_u32_e32 v6, 1, v14
	v_add_u32_e32 v5, 1, v13
	;; [unrolled: 1-line block ×4, first 2 shown]
	s_waitcnt vmcnt(0)
	v_add_u32_e32 v2, 1, v10
	v_add_u32_e32 v1, 1, v9
	;; [unrolled: 1-line block ×4, first 2 shown]
	s_branch .LBB357_2
.LBB357_1:                              ;   in Loop: Header=BB357_2 Depth=1
	v_lshlrev_b32_e32 v22, 3, v52
	s_barrier
	ds_write_b64 v22, v[15:16]
	v_lshlrev_b32_e32 v15, 3, v51
	ds_write_b64 v15, v[13:14]
	v_lshlrev_b32_e32 v13, 3, v50
	v_lshlrev_b32_e32 v14, 3, v49
	v_add_u32_e32 v16, v47, v34
	ds_write_b64 v13, v[11:12]
	ds_write_b64 v14, v[9:10]
	s_waitcnt lgkmcnt(0)
	s_barrier
	ds_read2st64_b64 v[9:12], v16 offset1:3
	ds_read2st64_b64 v[18:21], v16 offset0:6 offset1:9
	s_waitcnt lgkmcnt(0)
	s_barrier
	ds_write_b64 v22, v[7:8]
	ds_write_b64 v15, v[5:6]
	;; [unrolled: 1-line block ×4, first 2 shown]
	s_waitcnt lgkmcnt(0)
	s_barrier
	ds_read2st64_b64 v[5:8], v16 offset1:3
	ds_read2st64_b64 v[1:4], v16 offset0:6 offset1:9
	s_add_i32 s47, s47, 1
	v_xor_b32_e32 v13, 0x80000000, v9
	v_xor_b32_e32 v14, 0x80000000, v10
	;; [unrolled: 1-line block ×7, first 2 shown]
	s_cmp_lg_u32 s47, 10
	v_xor_b32_e32 v12, 0x80000000, v21
	s_cbranch_scc0 .LBB357_20
.LBB357_2:                              ; =>This Loop Header: Depth=1
                                        ;     Child Loop BB357_4 Depth 2
	v_xor_b32_e32 v13, 0x80000000, v13
	v_xor_b32_e32 v14, 0x80000000, v14
	;; [unrolled: 1-line block ×4, first 2 shown]
	ds_bpermute_b32 v18, v37, v14
	ds_bpermute_b32 v19, v37, v13
	;; [unrolled: 1-line block ×4, first 2 shown]
	v_xor_b32_e32 v9, 0x80000000, v9
	v_xor_b32_e32 v10, 0x80000000, v10
	s_waitcnt lgkmcnt(3)
	v_cndmask_b32_e64 v18, 0, v18, s[10:11]
	s_waitcnt lgkmcnt(2)
	v_cndmask_b32_e64 v19, 0, v19, s[10:11]
	v_xor_b32_e32 v11, 0x80000000, v11
	v_xor_b32_e32 v12, 0x80000000, v12
	s_waitcnt lgkmcnt(1)
	v_cndmask_b32_e64 v18, v18, v20, s[12:13]
	ds_bpermute_b32 v20, v37, v10
	s_waitcnt lgkmcnt(1)
	v_cndmask_b32_e64 v19, v19, v21, s[12:13]
	ds_bpermute_b32 v21, v37, v9
	ds_bpermute_b32 v22, v37, v12
	;; [unrolled: 1-line block ×3, first 2 shown]
	s_waitcnt lgkmcnt(3)
	v_cndmask_b32_e64 v18, v18, v20, s[14:15]
	ds_bpermute_b32 v20, v41, v14
	s_waitcnt lgkmcnt(3)
	v_cndmask_b32_e64 v21, v19, v21, s[14:15]
	s_waitcnt lgkmcnt(2)
	v_cndmask_b32_e64 v19, v18, v22, s[16:17]
	;; [unrolled: 2-line block ×3, first 2 shown]
	ds_bpermute_b32 v21, v41, v13
	ds_bpermute_b32 v22, v41, v16
	;; [unrolled: 1-line block ×5, first 2 shown]
	s_waitcnt lgkmcnt(5)
	v_cndmask_b32_e64 v20, 0, v20, s[10:11]
	s_waitcnt lgkmcnt(4)
	v_cndmask_b32_e64 v21, 0, v21, s[10:11]
	;; [unrolled: 2-line block ×4, first 2 shown]
	ds_bpermute_b32 v22, v41, v12
	s_waitcnt lgkmcnt(2)
	v_cndmask_b32_e64 v20, v20, v24, s[14:15]
	s_waitcnt lgkmcnt(1)
	v_cndmask_b32_e64 v23, v21, v25, s[14:15]
	ds_bpermute_b32 v24, v41, v11
	ds_bpermute_b32 v25, v42, v14
	;; [unrolled: 1-line block ×3, first 2 shown]
	s_waitcnt lgkmcnt(3)
	v_cndmask_b32_e64 v21, v20, v22, s[16:17]
	ds_bpermute_b32 v22, v42, v16
	s_waitcnt lgkmcnt(3)
	v_cndmask_b32_e64 v20, v23, v24, s[16:17]
	s_waitcnt lgkmcnt(2)
	v_cndmask_b32_e64 v23, 0, v25, s[10:11]
	ds_bpermute_b32 v25, v42, v15
	ds_bpermute_b32 v14, v39, v14
	;; [unrolled: 1-line block ×5, first 2 shown]
	s_waitcnt lgkmcnt(6)
	v_cndmask_b32_e64 v24, 0, v26, s[10:11]
	s_waitcnt lgkmcnt(5)
	v_cndmask_b32_e64 v22, v23, v22, s[12:13]
	ds_bpermute_b32 v23, v42, v10
	ds_bpermute_b32 v26, v42, v9
	;; [unrolled: 1-line block ×5, first 2 shown]
	s_waitcnt lgkmcnt(9)
	v_cndmask_b32_e64 v24, v24, v25, s[12:13]
	ds_bpermute_b32 v25, v42, v11
	ds_bpermute_b32 v12, v39, v12
	s_waitcnt lgkmcnt(10)
	v_cndmask_b32_e64 v14, 0, v14, s[10:11]
	s_waitcnt lgkmcnt(9)
	v_cndmask_b32_e64 v13, 0, v13, s[10:11]
	;; [unrolled: 2-line block ×7, first 2 shown]
	ds_bpermute_b32 v11, v39, v11
	ds_bpermute_b32 v14, v37, v6
	s_waitcnt lgkmcnt(5)
	v_cndmask_b32_e64 v9, v13, v9, s[14:15]
	ds_bpermute_b32 v13, v37, v5
	s_waitcnt lgkmcnt(5)
	v_cndmask_b32_e64 v23, v22, v27, s[16:17]
	s_waitcnt lgkmcnt(4)
	v_cndmask_b32_e64 v22, v24, v25, s[16:17]
	;; [unrolled: 2-line block ×3, first 2 shown]
	ds_bpermute_b32 v10, v37, v8
	ds_bpermute_b32 v12, v37, v7
	s_waitcnt lgkmcnt(4)
	v_cndmask_b32_e64 v24, v9, v11, s[16:17]
	s_waitcnt lgkmcnt(3)
	v_cndmask_b32_e64 v9, 0, v14, s[10:11]
	s_waitcnt lgkmcnt(2)
	v_cndmask_b32_e64 v11, 0, v13, s[10:11]
	ds_bpermute_b32 v13, v37, v2
	ds_bpermute_b32 v14, v37, v1
	s_waitcnt lgkmcnt(3)
	v_cndmask_b32_e64 v9, v9, v10, s[12:13]
	ds_bpermute_b32 v10, v37, v4
	s_waitcnt lgkmcnt(3)
	v_cndmask_b32_e64 v11, v11, v12, s[12:13]
	;; [unrolled: 3-line block ×3, first 2 shown]
	s_waitcnt lgkmcnt(2)
	v_cndmask_b32_e64 v11, v11, v14, s[14:15]
	s_waitcnt lgkmcnt(1)
	v_cndmask_b32_e64 v27, v9, v10, s[16:17]
	ds_bpermute_b32 v9, v41, v6
	ds_bpermute_b32 v10, v41, v5
	ds_bpermute_b32 v13, v41, v8
	s_waitcnt lgkmcnt(3)
	v_cndmask_b32_e64 v26, v11, v12, s[16:17]
	ds_bpermute_b32 v11, v41, v7
	ds_bpermute_b32 v12, v41, v2
	s_waitcnt lgkmcnt(4)
	v_cndmask_b32_e64 v9, 0, v9, s[10:11]
	s_waitcnt lgkmcnt(3)
	v_cndmask_b32_e64 v10, 0, v10, s[10:11]
	s_waitcnt lgkmcnt(2)
	v_cndmask_b32_e64 v9, v9, v13, s[12:13]
	s_waitcnt lgkmcnt(1)
	v_cndmask_b32_e64 v10, v10, v11, s[12:13]
	ds_bpermute_b32 v11, v41, v1
	ds_bpermute_b32 v13, v41, v4
	;; [unrolled: 1-line block ×3, first 2 shown]
	s_waitcnt lgkmcnt(3)
	v_cndmask_b32_e64 v9, v9, v12, s[14:15]
	ds_bpermute_b32 v12, v42, v6
	s_waitcnt lgkmcnt(3)
	v_cndmask_b32_e64 v10, v10, v11, s[14:15]
	s_waitcnt lgkmcnt(2)
	v_cndmask_b32_e64 v29, v9, v13, s[16:17]
	ds_bpermute_b32 v9, v42, v5
	s_waitcnt lgkmcnt(2)
	v_cndmask_b32_e64 v28, v10, v14, s[16:17]
	s_waitcnt lgkmcnt(1)
	v_cndmask_b32_e64 v10, 0, v12, s[10:11]
	ds_bpermute_b32 v11, v42, v8
	ds_bpermute_b32 v12, v42, v7
	;; [unrolled: 1-line block ×7, first 2 shown]
	s_waitcnt lgkmcnt(7)
	v_cndmask_b32_e64 v9, 0, v9, s[10:11]
	ds_bpermute_b32 v14, v42, v1
	ds_bpermute_b32 v2, v39, v2
	;; [unrolled: 1-line block ×3, first 2 shown]
	s_waitcnt lgkmcnt(9)
	v_cndmask_b32_e64 v10, v10, v11, s[12:13]
	s_waitcnt lgkmcnt(8)
	v_cndmask_b32_e64 v9, v9, v12, s[12:13]
	ds_bpermute_b32 v11, v42, v4
	ds_bpermute_b32 v12, v42, v3
	ds_bpermute_b32 v4, v39, v4
	ds_bpermute_b32 v3, v39, v3
	s_waitcnt lgkmcnt(11)
	v_cndmask_b32_e64 v6, 0, v6, s[10:11]
	s_waitcnt lgkmcnt(10)
	v_cndmask_b32_e64 v5, 0, v5, s[10:11]
	;; [unrolled: 2-line block ×12, first 2 shown]
	s_mov_b32 s33, 8
	s_mov_b32 s40, 32
	;; [unrolled: 1-line block ×3, first 2 shown]
	s_barrier
	s_branch .LBB357_4
.LBB357_3:                              ;   in Loop: Header=BB357_4 Depth=2
	s_andn2_b64 vcc, exec, s[34:35]
	s_cbranch_vccz .LBB357_1
.LBB357_4:                              ;   Parent Loop BB357_2 Depth=1
                                        ; =>  This Inner Loop Header: Depth=2
	s_min_i32 s36, s33, 32
	s_cmp_lt_u32 s41, 32
	s_cselect_b64 s[34:35], -1, 0
	s_cmp_gt_u32 s41, 31
	s_cselect_b64 vcc, -1, 0
	s_sub_i32 s36, s36, 32
	s_add_i32 s37, s36, s40
	s_lshl_b32 s37, -1, s37
	s_not_b32 s37, s37
	s_cmp_lg_u32 s36, s41
	s_cselect_b32 s48, s37, -1
	s_max_i32 s46, s40, 0
	s_max_i32 s36, s41, 32
	s_sub_i32 s49, s36, 32
	s_sub_i32 s36, s36, s46
	;; [unrolled: 1-line block ×3, first 2 shown]
	s_min_i32 s36, s36, 32
	s_sub_i32 s36, s36, s49
	s_lshl_b32 s37, -1, s36
	s_not_b32 s37, s37
	v_mov_b32_e32 v15, v18
	s_cmp_lg_u32 s36, 32
	v_mov_b32_e32 v16, v19
	s_cselect_b32 s50, s37, -1
	v_lshrrev_b32_e32 v19, s49, v15
	v_lshrrev_b32_e32 v18, s41, v16
	v_and_b32_e32 v19, s50, v19
	v_and_b32_e32 v18, s48, v18
	v_lshlrev_b32_e32 v19, s46, v19
	v_cndmask_b32_e64 v18, 0, v18, s[34:35]
	v_cndmask_b32_e32 v19, 0, v19, vcc
	v_or_b32_e32 v19, v18, v19
	v_mov_b32_e32 v13, v20
	v_and_b32_e32 v18, 1, v19
	v_mov_b32_e32 v14, v21
	v_mov_b32_e32 v11, v22
	v_add_co_u32_e64 v21, s[36:37], -1, v18
	v_mov_b32_e32 v12, v23
	v_addc_co_u32_e64 v22, s[36:37], 0, -1, s[36:37]
	v_cmp_ne_u32_e64 s[36:37], 0, v18
	v_xor_b32_e32 v18, s37, v22
	v_and_b32_e32 v22, exec_hi, v18
	v_lshlrev_b32_e32 v18, 30, v19
	v_xor_b32_e32 v21, s36, v21
	v_cmp_gt_i64_e64 s[36:37], 0, v[17:18]
	v_not_b32_e32 v18, v18
	v_ashrrev_i32_e32 v18, 31, v18
	v_and_b32_e32 v21, exec_lo, v21
	v_xor_b32_e32 v23, s37, v18
	v_xor_b32_e32 v18, s36, v18
	v_and_b32_e32 v21, v21, v18
	v_lshlrev_b32_e32 v18, 29, v19
	v_cmp_gt_i64_e64 s[36:37], 0, v[17:18]
	v_not_b32_e32 v18, v18
	v_ashrrev_i32_e32 v18, 31, v18
	v_and_b32_e32 v22, v22, v23
	v_xor_b32_e32 v23, s37, v18
	v_xor_b32_e32 v18, s36, v18
	v_and_b32_e32 v21, v21, v18
	v_lshlrev_b32_e32 v18, 28, v19
	v_cmp_gt_i64_e64 s[36:37], 0, v[17:18]
	v_not_b32_e32 v18, v18
	v_ashrrev_i32_e32 v18, 31, v18
	v_and_b32_e32 v22, v22, v23
	;; [unrolled: 8-line block ×5, first 2 shown]
	v_xor_b32_e32 v23, s37, v18
	v_xor_b32_e32 v18, s36, v18
	v_and_b32_e32 v21, v21, v18
	v_lshlrev_b32_e32 v18, 24, v19
	v_cmp_gt_i64_e64 s[36:37], 0, v[17:18]
	v_not_b32_e32 v18, v18
	v_ashrrev_i32_e32 v18, 31, v18
	v_mul_lo_u32 v20, v19, 12
	v_xor_b32_e32 v19, s37, v18
	v_xor_b32_e32 v18, s36, v18
	v_and_b32_e32 v22, v22, v23
	v_and_b32_e32 v18, v21, v18
	;; [unrolled: 1-line block ×3, first 2 shown]
	v_mbcnt_lo_u32_b32 v21, v18, 0
	v_mbcnt_hi_u32_b32 v22, v19, v21
	v_cmp_ne_u64_e64 s[36:37], 0, v[18:19]
	v_mov_b32_e32 v7, v26
	v_mov_b32_e32 v5, v28
	;; [unrolled: 1-line block ×5, first 2 shown]
	v_cmp_eq_u32_e64 s[38:39], 0, v22
	v_mov_b32_e32 v8, v27
	v_mov_b32_e32 v6, v29
	;; [unrolled: 1-line block ×5, first 2 shown]
	s_and_b64 s[38:39], s[38:39], s[36:37]
	v_add_u32_e32 v23, v46, v20
	ds_write2_b32 v35, v17, v17 offset0:3 offset1:4
	ds_write2_b32 v35, v17, v17 offset0:5 offset1:6
	s_waitcnt lgkmcnt(0)
	s_barrier
	; wave barrier
	s_and_saveexec_b64 s[36:37], s[38:39]
; %bb.5:                                ;   in Loop: Header=BB357_4 Depth=2
	v_bcnt_u32_b32 v18, v18, 0
	v_bcnt_u32_b32 v18, v19, v18
	ds_write_b32 v23, v18 offset:12
; %bb.6:                                ;   in Loop: Header=BB357_4 Depth=2
	s_or_b64 exec, exec, s[36:37]
	v_lshrrev_b32_e32 v19, s49, v13
	v_lshrrev_b32_e32 v18, s41, v14
	v_and_b32_e32 v19, s50, v19
	v_and_b32_e32 v18, s48, v18
	v_lshlrev_b32_e32 v19, s46, v19
	v_cndmask_b32_e64 v18, 0, v18, s[34:35]
	v_cndmask_b32_e32 v19, 0, v19, vcc
	v_or_b32_e32 v19, v18, v19
	v_mul_lo_u32 v18, v19, 12
	; wave barrier
	v_add_u32_e32 v25, v46, v18
	v_and_b32_e32 v18, 1, v19
	v_add_co_u32_e64 v20, s[36:37], -1, v18
	v_addc_co_u32_e64 v21, s[36:37], 0, -1, s[36:37]
	v_cmp_ne_u32_e64 s[36:37], 0, v18
	v_xor_b32_e32 v18, s37, v21
	v_and_b32_e32 v21, exec_hi, v18
	v_lshlrev_b32_e32 v18, 30, v19
	v_xor_b32_e32 v20, s36, v20
	v_cmp_gt_i64_e64 s[36:37], 0, v[17:18]
	v_not_b32_e32 v18, v18
	v_ashrrev_i32_e32 v18, 31, v18
	v_and_b32_e32 v20, exec_lo, v20
	v_xor_b32_e32 v26, s37, v18
	v_xor_b32_e32 v18, s36, v18
	v_and_b32_e32 v20, v20, v18
	v_lshlrev_b32_e32 v18, 29, v19
	v_cmp_gt_i64_e64 s[36:37], 0, v[17:18]
	v_not_b32_e32 v18, v18
	v_ashrrev_i32_e32 v18, 31, v18
	v_and_b32_e32 v21, v21, v26
	v_xor_b32_e32 v26, s37, v18
	v_xor_b32_e32 v18, s36, v18
	v_and_b32_e32 v20, v20, v18
	v_lshlrev_b32_e32 v18, 28, v19
	v_cmp_gt_i64_e64 s[36:37], 0, v[17:18]
	v_not_b32_e32 v18, v18
	v_ashrrev_i32_e32 v18, 31, v18
	v_and_b32_e32 v21, v21, v26
	;; [unrolled: 8-line block ×5, first 2 shown]
	v_xor_b32_e32 v26, s37, v18
	v_xor_b32_e32 v18, s36, v18
	v_and_b32_e32 v20, v20, v18
	v_lshlrev_b32_e32 v18, 24, v19
	v_cmp_gt_i64_e64 s[36:37], 0, v[17:18]
	v_not_b32_e32 v18, v18
	v_ashrrev_i32_e32 v18, 31, v18
	v_xor_b32_e32 v19, s37, v18
	v_xor_b32_e32 v18, s36, v18
	ds_read_b32 v24, v25 offset:12
	v_and_b32_e32 v21, v21, v26
	v_and_b32_e32 v18, v20, v18
	v_and_b32_e32 v19, v21, v19
	v_mbcnt_lo_u32_b32 v20, v18, 0
	v_mbcnt_hi_u32_b32 v26, v19, v20
	v_cmp_ne_u64_e64 s[36:37], 0, v[18:19]
	v_cmp_eq_u32_e64 s[38:39], 0, v26
	s_and_b64 s[38:39], s[38:39], s[36:37]
	; wave barrier
	s_and_saveexec_b64 s[36:37], s[38:39]
	s_cbranch_execz .LBB357_8
; %bb.7:                                ;   in Loop: Header=BB357_4 Depth=2
	v_bcnt_u32_b32 v18, v18, 0
	v_bcnt_u32_b32 v18, v19, v18
	s_waitcnt lgkmcnt(0)
	v_add_u32_e32 v18, v24, v18
	ds_write_b32 v25, v18 offset:12
.LBB357_8:                              ;   in Loop: Header=BB357_4 Depth=2
	s_or_b64 exec, exec, s[36:37]
	v_lshrrev_b32_e32 v19, s49, v11
	v_lshrrev_b32_e32 v18, s41, v12
	v_and_b32_e32 v19, s50, v19
	v_and_b32_e32 v18, s48, v18
	v_lshlrev_b32_e32 v19, s46, v19
	v_cndmask_b32_e64 v18, 0, v18, s[34:35]
	v_cndmask_b32_e32 v19, 0, v19, vcc
	v_or_b32_e32 v19, v18, v19
	v_mul_lo_u32 v18, v19, 12
	; wave barrier
	v_add_u32_e32 v28, v46, v18
	v_and_b32_e32 v18, 1, v19
	v_add_co_u32_e64 v20, s[36:37], -1, v18
	v_addc_co_u32_e64 v21, s[36:37], 0, -1, s[36:37]
	v_cmp_ne_u32_e64 s[36:37], 0, v18
	v_xor_b32_e32 v18, s37, v21
	v_and_b32_e32 v21, exec_hi, v18
	v_lshlrev_b32_e32 v18, 30, v19
	v_xor_b32_e32 v20, s36, v20
	v_cmp_gt_i64_e64 s[36:37], 0, v[17:18]
	v_not_b32_e32 v18, v18
	v_ashrrev_i32_e32 v18, 31, v18
	v_and_b32_e32 v20, exec_lo, v20
	v_xor_b32_e32 v29, s37, v18
	v_xor_b32_e32 v18, s36, v18
	v_and_b32_e32 v20, v20, v18
	v_lshlrev_b32_e32 v18, 29, v19
	v_cmp_gt_i64_e64 s[36:37], 0, v[17:18]
	v_not_b32_e32 v18, v18
	v_ashrrev_i32_e32 v18, 31, v18
	v_and_b32_e32 v21, v21, v29
	v_xor_b32_e32 v29, s37, v18
	v_xor_b32_e32 v18, s36, v18
	v_and_b32_e32 v20, v20, v18
	v_lshlrev_b32_e32 v18, 28, v19
	v_cmp_gt_i64_e64 s[36:37], 0, v[17:18]
	v_not_b32_e32 v18, v18
	v_ashrrev_i32_e32 v18, 31, v18
	v_and_b32_e32 v21, v21, v29
	;; [unrolled: 8-line block ×5, first 2 shown]
	v_xor_b32_e32 v29, s37, v18
	v_xor_b32_e32 v18, s36, v18
	v_and_b32_e32 v20, v20, v18
	v_lshlrev_b32_e32 v18, 24, v19
	v_cmp_gt_i64_e64 s[36:37], 0, v[17:18]
	v_not_b32_e32 v18, v18
	v_ashrrev_i32_e32 v18, 31, v18
	v_xor_b32_e32 v19, s37, v18
	v_xor_b32_e32 v18, s36, v18
	ds_read_b32 v27, v28 offset:12
	v_and_b32_e32 v21, v21, v29
	v_and_b32_e32 v18, v20, v18
	;; [unrolled: 1-line block ×3, first 2 shown]
	v_mbcnt_lo_u32_b32 v20, v18, 0
	v_mbcnt_hi_u32_b32 v29, v19, v20
	v_cmp_ne_u64_e64 s[36:37], 0, v[18:19]
	v_cmp_eq_u32_e64 s[38:39], 0, v29
	s_and_b64 s[38:39], s[38:39], s[36:37]
	; wave barrier
	s_and_saveexec_b64 s[36:37], s[38:39]
	s_cbranch_execz .LBB357_10
; %bb.9:                                ;   in Loop: Header=BB357_4 Depth=2
	v_bcnt_u32_b32 v18, v18, 0
	v_bcnt_u32_b32 v18, v19, v18
	s_waitcnt lgkmcnt(0)
	v_add_u32_e32 v18, v27, v18
	ds_write_b32 v28, v18 offset:12
.LBB357_10:                             ;   in Loop: Header=BB357_4 Depth=2
	s_or_b64 exec, exec, s[36:37]
	v_lshrrev_b32_e32 v19, s49, v9
	v_lshrrev_b32_e32 v18, s41, v10
	v_and_b32_e32 v19, s50, v19
	v_and_b32_e32 v18, s48, v18
	v_lshlrev_b32_e32 v19, s46, v19
	v_cndmask_b32_e64 v18, 0, v18, s[34:35]
	v_cndmask_b32_e32 v19, 0, v19, vcc
	v_or_b32_e32 v19, v18, v19
	v_mul_lo_u32 v18, v19, 12
	; wave barrier
	v_add_u32_e32 v31, v46, v18
	v_and_b32_e32 v18, 1, v19
	v_add_co_u32_e32 v20, vcc, -1, v18
	v_addc_co_u32_e64 v21, s[34:35], 0, -1, vcc
	v_cmp_ne_u32_e32 vcc, 0, v18
	v_xor_b32_e32 v18, vcc_hi, v21
	v_and_b32_e32 v21, exec_hi, v18
	v_lshlrev_b32_e32 v18, 30, v19
	v_xor_b32_e32 v20, vcc_lo, v20
	v_cmp_gt_i64_e32 vcc, 0, v[17:18]
	v_not_b32_e32 v18, v18
	v_ashrrev_i32_e32 v18, 31, v18
	v_and_b32_e32 v20, exec_lo, v20
	v_xor_b32_e32 v32, vcc_hi, v18
	v_xor_b32_e32 v18, vcc_lo, v18
	v_and_b32_e32 v20, v20, v18
	v_lshlrev_b32_e32 v18, 29, v19
	v_cmp_gt_i64_e32 vcc, 0, v[17:18]
	v_not_b32_e32 v18, v18
	v_ashrrev_i32_e32 v18, 31, v18
	v_and_b32_e32 v21, v21, v32
	v_xor_b32_e32 v32, vcc_hi, v18
	v_xor_b32_e32 v18, vcc_lo, v18
	v_and_b32_e32 v20, v20, v18
	v_lshlrev_b32_e32 v18, 28, v19
	v_cmp_gt_i64_e32 vcc, 0, v[17:18]
	v_not_b32_e32 v18, v18
	v_ashrrev_i32_e32 v18, 31, v18
	v_and_b32_e32 v21, v21, v32
	v_xor_b32_e32 v32, vcc_hi, v18
	v_xor_b32_e32 v18, vcc_lo, v18
	v_and_b32_e32 v20, v20, v18
	v_lshlrev_b32_e32 v18, 27, v19
	v_cmp_gt_i64_e32 vcc, 0, v[17:18]
	v_not_b32_e32 v18, v18
	v_ashrrev_i32_e32 v18, 31, v18
	v_and_b32_e32 v21, v21, v32
	v_xor_b32_e32 v32, vcc_hi, v18
	v_xor_b32_e32 v18, vcc_lo, v18
	v_and_b32_e32 v20, v20, v18
	v_lshlrev_b32_e32 v18, 26, v19
	v_cmp_gt_i64_e32 vcc, 0, v[17:18]
	v_not_b32_e32 v18, v18
	v_ashrrev_i32_e32 v18, 31, v18
	v_and_b32_e32 v21, v21, v32
	v_xor_b32_e32 v32, vcc_hi, v18
	v_xor_b32_e32 v18, vcc_lo, v18
	v_and_b32_e32 v20, v20, v18
	v_lshlrev_b32_e32 v18, 25, v19
	v_cmp_gt_i64_e32 vcc, 0, v[17:18]
	v_not_b32_e32 v18, v18
	v_ashrrev_i32_e32 v18, 31, v18
	v_and_b32_e32 v21, v21, v32
	v_xor_b32_e32 v32, vcc_hi, v18
	v_xor_b32_e32 v18, vcc_lo, v18
	v_and_b32_e32 v20, v20, v18
	v_lshlrev_b32_e32 v18, 24, v19
	v_cmp_gt_i64_e32 vcc, 0, v[17:18]
	v_not_b32_e32 v18, v18
	v_ashrrev_i32_e32 v18, 31, v18
	v_xor_b32_e32 v19, vcc_hi, v18
	v_xor_b32_e32 v18, vcc_lo, v18
	ds_read_b32 v30, v31 offset:12
	v_and_b32_e32 v21, v21, v32
	v_and_b32_e32 v18, v20, v18
	;; [unrolled: 1-line block ×3, first 2 shown]
	v_mbcnt_lo_u32_b32 v20, v18, 0
	v_mbcnt_hi_u32_b32 v32, v19, v20
	v_cmp_ne_u64_e32 vcc, 0, v[18:19]
	v_cmp_eq_u32_e64 s[34:35], 0, v32
	s_and_b64 s[36:37], s[34:35], vcc
	; wave barrier
	s_and_saveexec_b64 s[34:35], s[36:37]
	s_cbranch_execz .LBB357_12
; %bb.11:                               ;   in Loop: Header=BB357_4 Depth=2
	v_bcnt_u32_b32 v18, v18, 0
	v_bcnt_u32_b32 v18, v19, v18
	s_waitcnt lgkmcnt(0)
	v_add_u32_e32 v18, v30, v18
	ds_write_b32 v31, v18 offset:12
.LBB357_12:                             ;   in Loop: Header=BB357_4 Depth=2
	s_or_b64 exec, exec, s[34:35]
	; wave barrier
	s_waitcnt lgkmcnt(0)
	s_barrier
	ds_read2_b32 v[20:21], v35 offset0:3 offset1:4
	ds_read2_b32 v[18:19], v35 offset0:5 offset1:6
	s_waitcnt lgkmcnt(1)
	v_add_u32_e32 v33, v21, v20
	s_waitcnt lgkmcnt(0)
	v_add3_u32 v19, v33, v18, v19
	s_nop 1
	v_mov_b32_dpp v33, v19 row_shr:1 row_mask:0xf bank_mask:0xf
	v_cndmask_b32_e64 v33, v33, 0, s[18:19]
	v_add_u32_e32 v19, v33, v19
	s_nop 1
	v_mov_b32_dpp v33, v19 row_shr:2 row_mask:0xf bank_mask:0xf
	v_cndmask_b32_e64 v33, 0, v33, s[20:21]
	v_add_u32_e32 v19, v19, v33
	;; [unrolled: 4-line block ×4, first 2 shown]
	s_nop 1
	v_mov_b32_dpp v33, v19 row_bcast:15 row_mask:0xf bank_mask:0xf
	v_cndmask_b32_e64 v33, v33, 0, s[26:27]
	v_add_u32_e32 v19, v19, v33
	s_nop 1
	v_mov_b32_dpp v33, v19 row_bcast:31 row_mask:0xf bank_mask:0xf
	v_cndmask_b32_e64 v33, 0, v33, s[6:7]
	v_add_u32_e32 v19, v19, v33
	s_and_saveexec_b64 s[34:35], s[30:31]
; %bb.13:                               ;   in Loop: Header=BB357_4 Depth=2
	ds_write_b32 v36, v19
; %bb.14:                               ;   in Loop: Header=BB357_4 Depth=2
	s_or_b64 exec, exec, s[34:35]
	s_waitcnt lgkmcnt(0)
	s_barrier
	s_and_saveexec_b64 s[34:35], s[0:1]
	s_cbranch_execz .LBB357_16
; %bb.15:                               ;   in Loop: Header=BB357_4 Depth=2
	ds_read_b32 v33, v47
	s_waitcnt lgkmcnt(0)
	s_nop 0
	v_mov_b32_dpp v49, v33 row_shr:1 row_mask:0xf bank_mask:0xf
	v_cndmask_b32_e64 v49, v49, 0, s[10:11]
	v_add_u32_e32 v33, v49, v33
	s_nop 1
	v_mov_b32_dpp v49, v33 row_shr:2 row_mask:0xf bank_mask:0xf
	v_cndmask_b32_e64 v49, 0, v49, s[28:29]
	v_add_u32_e32 v33, v33, v49
	ds_write_b32 v47, v33
.LBB357_16:                             ;   in Loop: Header=BB357_4 Depth=2
	s_or_b64 exec, exec, s[34:35]
	v_mov_b32_e32 v33, 0
	s_waitcnt lgkmcnt(0)
	s_barrier
	s_and_saveexec_b64 s[34:35], s[2:3]
; %bb.17:                               ;   in Loop: Header=BB357_4 Depth=2
	ds_read_b32 v33, v48
; %bb.18:                               ;   in Loop: Header=BB357_4 Depth=2
	s_or_b64 exec, exec, s[34:35]
	s_waitcnt lgkmcnt(0)
	v_add_u32_e32 v19, v33, v19
	ds_bpermute_b32 v19, v38, v19
	s_cmp_gt_u32 s41, 55
	s_mov_b64 s[34:35], -1
	s_waitcnt lgkmcnt(0)
	v_cndmask_b32_e64 v19, v19, v33, s[8:9]
	v_cndmask_b32_e64 v19, v19, 0, s[4:5]
	v_add_u32_e32 v20, v19, v20
	v_add_u32_e32 v21, v20, v21
	v_add_u32_e32 v18, v21, v18
	ds_write2_b32 v35, v19, v20 offset0:3 offset1:4
	ds_write2_b32 v35, v21, v18 offset0:5 offset1:6
	s_waitcnt lgkmcnt(0)
	s_barrier
	ds_read_b32 v18, v23 offset:12
	ds_read_b32 v19, v25 offset:12
	;; [unrolled: 1-line block ×4, first 2 shown]
	s_waitcnt lgkmcnt(0)
	v_add_u32_e32 v52, v18, v22
	v_add3_u32 v51, v26, v24, v19
	v_add3_u32 v50, v29, v27, v20
	;; [unrolled: 1-line block ×3, first 2 shown]
                                        ; implicit-def: $vgpr26_vgpr27
                                        ; implicit-def: $vgpr28_vgpr29
                                        ; implicit-def: $vgpr30_vgpr31
                                        ; implicit-def: $vgpr32_vgpr33
                                        ; implicit-def: $vgpr18_vgpr19
                                        ; implicit-def: $vgpr20_vgpr21
                                        ; implicit-def: $vgpr22_vgpr23
                                        ; implicit-def: $vgpr24_vgpr25
	s_cbranch_scc1 .LBB357_3
; %bb.19:                               ;   in Loop: Header=BB357_4 Depth=2
	v_lshrrev_b32_e32 v18, 2, v52
	v_and_b32_e32 v18, 0x3ffffff8, v18
	v_lshl_add_u32 v26, v52, 3, v18
	v_lshrrev_b32_e32 v18, 2, v51
	v_and_b32_e32 v18, 0x3ffffff8, v18
	v_lshl_add_u32 v27, v51, 3, v18
	;; [unrolled: 3-line block ×4, first 2 shown]
	s_barrier
	ds_write_b64 v26, v[15:16]
	ds_write_b64 v27, v[13:14]
	;; [unrolled: 1-line block ×4, first 2 shown]
	s_waitcnt lgkmcnt(0)
	s_barrier
	ds_read_b64 v[18:19], v40
	ds_read_b64 v[20:21], v43 offset:512
	ds_read_b64 v[22:23], v44 offset:1024
	;; [unrolled: 1-line block ×3, first 2 shown]
	s_waitcnt lgkmcnt(0)
	s_barrier
	ds_write_b64 v26, v[7:8]
	ds_write_b64 v27, v[5:6]
	;; [unrolled: 1-line block ×4, first 2 shown]
	s_waitcnt lgkmcnt(0)
	s_barrier
	ds_read_b64 v[26:27], v40
	ds_read_b64 v[28:29], v43 offset:512
	ds_read_b64 v[30:31], v44 offset:1024
	;; [unrolled: 1-line block ×3, first 2 shown]
	s_add_i32 s40, s40, -8
	s_add_i32 s33, s33, 8
	s_add_i32 s41, s41, 8
	s_mov_b64 s[34:35], 0
	s_waitcnt lgkmcnt(0)
	s_barrier
	s_branch .LBB357_3
.LBB357_20:
	s_add_u32 s0, s42, s44
	s_addc_u32 s1, s43, s45
	v_lshlrev_b32_e32 v0, 3, v0
	s_waitcnt lgkmcnt(0)
	v_add_u32_e32 v1, v9, v1
	v_add_u32_e32 v2, v10, v2
	v_mov_b32_e32 v9, s1
	v_add_co_u32_e32 v10, vcc, s0, v0
	v_add_u32_e32 v5, v13, v5
	v_add_u32_e32 v6, v14, v6
	v_addc_co_u32_e32 v9, vcc, 0, v9, vcc
	v_add_u32_e32 v7, v15, v7
	v_add_u32_e32 v8, v16, v8
	global_store_dwordx2 v0, v[5:6], s[0:1]
	global_store_dwordx2 v0, v[7:8], s[0:1] offset:1536
	global_store_dwordx2 v0, v[1:2], s[0:1] offset:3072
	v_add_co_u32_e32 v0, vcc, 0x1000, v10
	v_add_u32_e32 v3, v11, v3
	v_add_u32_e32 v4, v12, v4
	v_addc_co_u32_e32 v1, vcc, 0, v9, vcc
	global_store_dwordx2 v[0:1], v[3:4], off offset:512
	s_endpgm
	.section	.rodata,"a",@progbits
	.p2align	6, 0x0
	.amdhsa_kernel _Z17sort_pairs_kernelI22helper_blocked_stripedN15benchmark_utils11custom_typeIiiEELj192ELj4ELj10EEvPKT0_PS4_
		.amdhsa_group_segment_fixed_size 6336
		.amdhsa_private_segment_fixed_size 0
		.amdhsa_kernarg_size 272
		.amdhsa_user_sgpr_count 6
		.amdhsa_user_sgpr_private_segment_buffer 1
		.amdhsa_user_sgpr_dispatch_ptr 0
		.amdhsa_user_sgpr_queue_ptr 0
		.amdhsa_user_sgpr_kernarg_segment_ptr 1
		.amdhsa_user_sgpr_dispatch_id 0
		.amdhsa_user_sgpr_flat_scratch_init 0
		.amdhsa_user_sgpr_private_segment_size 0
		.amdhsa_uses_dynamic_stack 0
		.amdhsa_system_sgpr_private_segment_wavefront_offset 0
		.amdhsa_system_sgpr_workgroup_id_x 1
		.amdhsa_system_sgpr_workgroup_id_y 0
		.amdhsa_system_sgpr_workgroup_id_z 0
		.amdhsa_system_sgpr_workgroup_info 0
		.amdhsa_system_vgpr_workitem_id 2
		.amdhsa_next_free_vgpr 53
		.amdhsa_next_free_sgpr 61
		.amdhsa_reserve_vcc 1
		.amdhsa_reserve_flat_scratch 0
		.amdhsa_float_round_mode_32 0
		.amdhsa_float_round_mode_16_64 0
		.amdhsa_float_denorm_mode_32 3
		.amdhsa_float_denorm_mode_16_64 3
		.amdhsa_dx10_clamp 1
		.amdhsa_ieee_mode 1
		.amdhsa_fp16_overflow 0
		.amdhsa_exception_fp_ieee_invalid_op 0
		.amdhsa_exception_fp_denorm_src 0
		.amdhsa_exception_fp_ieee_div_zero 0
		.amdhsa_exception_fp_ieee_overflow 0
		.amdhsa_exception_fp_ieee_underflow 0
		.amdhsa_exception_fp_ieee_inexact 0
		.amdhsa_exception_int_div_zero 0
	.end_amdhsa_kernel
	.section	.text._Z17sort_pairs_kernelI22helper_blocked_stripedN15benchmark_utils11custom_typeIiiEELj192ELj4ELj10EEvPKT0_PS4_,"axG",@progbits,_Z17sort_pairs_kernelI22helper_blocked_stripedN15benchmark_utils11custom_typeIiiEELj192ELj4ELj10EEvPKT0_PS4_,comdat
.Lfunc_end357:
	.size	_Z17sort_pairs_kernelI22helper_blocked_stripedN15benchmark_utils11custom_typeIiiEELj192ELj4ELj10EEvPKT0_PS4_, .Lfunc_end357-_Z17sort_pairs_kernelI22helper_blocked_stripedN15benchmark_utils11custom_typeIiiEELj192ELj4ELj10EEvPKT0_PS4_
                                        ; -- End function
	.set _Z17sort_pairs_kernelI22helper_blocked_stripedN15benchmark_utils11custom_typeIiiEELj192ELj4ELj10EEvPKT0_PS4_.num_vgpr, 53
	.set _Z17sort_pairs_kernelI22helper_blocked_stripedN15benchmark_utils11custom_typeIiiEELj192ELj4ELj10EEvPKT0_PS4_.num_agpr, 0
	.set _Z17sort_pairs_kernelI22helper_blocked_stripedN15benchmark_utils11custom_typeIiiEELj192ELj4ELj10EEvPKT0_PS4_.numbered_sgpr, 51
	.set _Z17sort_pairs_kernelI22helper_blocked_stripedN15benchmark_utils11custom_typeIiiEELj192ELj4ELj10EEvPKT0_PS4_.num_named_barrier, 0
	.set _Z17sort_pairs_kernelI22helper_blocked_stripedN15benchmark_utils11custom_typeIiiEELj192ELj4ELj10EEvPKT0_PS4_.private_seg_size, 0
	.set _Z17sort_pairs_kernelI22helper_blocked_stripedN15benchmark_utils11custom_typeIiiEELj192ELj4ELj10EEvPKT0_PS4_.uses_vcc, 1
	.set _Z17sort_pairs_kernelI22helper_blocked_stripedN15benchmark_utils11custom_typeIiiEELj192ELj4ELj10EEvPKT0_PS4_.uses_flat_scratch, 0
	.set _Z17sort_pairs_kernelI22helper_blocked_stripedN15benchmark_utils11custom_typeIiiEELj192ELj4ELj10EEvPKT0_PS4_.has_dyn_sized_stack, 0
	.set _Z17sort_pairs_kernelI22helper_blocked_stripedN15benchmark_utils11custom_typeIiiEELj192ELj4ELj10EEvPKT0_PS4_.has_recursion, 0
	.set _Z17sort_pairs_kernelI22helper_blocked_stripedN15benchmark_utils11custom_typeIiiEELj192ELj4ELj10EEvPKT0_PS4_.has_indirect_call, 0
	.section	.AMDGPU.csdata,"",@progbits
; Kernel info:
; codeLenInByte = 4788
; TotalNumSgprs: 55
; NumVgprs: 53
; ScratchSize: 0
; MemoryBound: 0
; FloatMode: 240
; IeeeMode: 1
; LDSByteSize: 6336 bytes/workgroup (compile time only)
; SGPRBlocks: 8
; VGPRBlocks: 13
; NumSGPRsForWavesPerEU: 65
; NumVGPRsForWavesPerEU: 53
; Occupancy: 4
; WaveLimiterHint : 1
; COMPUTE_PGM_RSRC2:SCRATCH_EN: 0
; COMPUTE_PGM_RSRC2:USER_SGPR: 6
; COMPUTE_PGM_RSRC2:TRAP_HANDLER: 0
; COMPUTE_PGM_RSRC2:TGID_X_EN: 1
; COMPUTE_PGM_RSRC2:TGID_Y_EN: 0
; COMPUTE_PGM_RSRC2:TGID_Z_EN: 0
; COMPUTE_PGM_RSRC2:TIDIG_COMP_CNT: 2
	.section	.text._Z16sort_keys_kernelI22helper_blocked_stripedN15benchmark_utils11custom_typeIiiEELj192ELj8ELj10EEvPKT0_PS4_,"axG",@progbits,_Z16sort_keys_kernelI22helper_blocked_stripedN15benchmark_utils11custom_typeIiiEELj192ELj8ELj10EEvPKT0_PS4_,comdat
	.protected	_Z16sort_keys_kernelI22helper_blocked_stripedN15benchmark_utils11custom_typeIiiEELj192ELj8ELj10EEvPKT0_PS4_ ; -- Begin function _Z16sort_keys_kernelI22helper_blocked_stripedN15benchmark_utils11custom_typeIiiEELj192ELj8ELj10EEvPKT0_PS4_
	.globl	_Z16sort_keys_kernelI22helper_blocked_stripedN15benchmark_utils11custom_typeIiiEELj192ELj8ELj10EEvPKT0_PS4_
	.p2align	8
	.type	_Z16sort_keys_kernelI22helper_blocked_stripedN15benchmark_utils11custom_typeIiiEELj192ELj8ELj10EEvPKT0_PS4_,@function
_Z16sort_keys_kernelI22helper_blocked_stripedN15benchmark_utils11custom_typeIiiEELj192ELj8ELj10EEvPKT0_PS4_: ; @_Z16sort_keys_kernelI22helper_blocked_stripedN15benchmark_utils11custom_typeIiiEELj192ELj8ELj10EEvPKT0_PS4_
; %bb.0:
	s_load_dwordx4 s[36:39], s[4:5], 0x0
	s_load_dword s2, s[4:5], 0x1c
	s_mul_i32 s34, s6, 0x600
	s_mov_b32 s35, 0
	s_lshl_b64 s[40:41], s[34:35], 3
	s_waitcnt lgkmcnt(0)
	s_add_u32 s0, s36, s40
	s_addc_u32 s1, s37, s41
	v_lshlrev_b32_e32 v19, 6, v0
	global_load_dwordx4 v[7:10], v19, s[0:1] offset:48
	global_load_dwordx4 v[11:14], v19, s[0:1] offset:32
	;; [unrolled: 1-line block ×3, first 2 shown]
	global_load_dwordx4 v[15:18], v19, s[0:1]
	global_load_dwordx2 v[15:16], v19, s[0:1]
                                        ; kill: killed $vgpr19
	v_mbcnt_lo_u32_b32 v19, -1, 0
	v_mbcnt_hi_u32_b32 v19, -1, v19
	v_and_b32_e32 v20, 0xc0, v0
	v_add_u32_e32 v21, v19, v20
	v_lshlrev_b32_e32 v22, 1, v21
	s_movk_i32 s3, 0x600
	v_lshlrev_b32_e32 v34, 3, v0
	v_and_b32_e32 v22, 0x3f8, v22
	v_lshl_add_u32 v35, v21, 6, v22
	v_and_or_b32 v21, v34, s3, v19
	v_lshrrev_b32_e32 v22, 2, v21
	v_and_b32_e32 v22, 0x198, v22
	v_lshlrev_b32_e32 v23, 3, v21
	v_add_u32_e32 v36, v22, v23
	v_add_u32_e32 v22, 64, v21
	v_lshrrev_b32_e32 v22, 2, v22
	v_and_b32_e32 v22, 0x1b8, v22
	v_add_u32_e32 v37, v22, v23
	v_or_b32_e32 v22, 0x80, v21
	v_lshrrev_b32_e32 v22, 2, v22
	v_and_b32_e32 v22, 0x1b8, v22
                                        ; kill: killed $sgpr0 killed $sgpr1
	v_add_u32_e32 v38, v22, v23
	v_add_u32_e32 v22, 0xc0, v21
	s_lshr_b32 s0, s2, 16
	v_lshrrev_b32_e32 v22, 2, v22
	s_and_b32 s1, s2, 0xffff
	v_mad_u32_u24 v1, v2, s0, v1
	v_and_b32_e32 v22, 0x1f8, v22
	v_mad_u64_u32 v[1:2], s[0:1], v1, s1, v[0:1]
	v_add_u32_e32 v39, v22, v23
	v_or_b32_e32 v22, 0x100, v21
	v_and_b32_e32 v2, 15, v19
	v_lshrrev_b32_e32 v22, 2, v22
	v_cmp_eq_u32_e64 s[0:1], 0, v2
	v_cmp_lt_u32_e64 s[2:3], 1, v2
	v_cmp_lt_u32_e64 s[4:5], 3, v2
	;; [unrolled: 1-line block ×3, first 2 shown]
	v_and_b32_e32 v2, 16, v19
	v_and_b32_e32 v22, 0x1d8, v22
	v_cmp_eq_u32_e64 s[8:9], 0, v2
	v_min_u32_e32 v2, 0x80, v20
	v_add_u32_e32 v40, v22, v23
	v_add_u32_e32 v22, 0x140, v21
	v_or_b32_e32 v2, 63, v2
	v_lshrrev_b32_e32 v22, 2, v22
	v_cmp_eq_u32_e64 s[12:13], v0, v2
	v_subrev_co_u32_e64 v2, s[18:19], 1, v19
	v_and_b32_e32 v20, 64, v19
	v_and_b32_e32 v22, 0x1f8, v22
	v_cmp_lt_i32_e32 vcc, v2, v20
	v_add_u32_e32 v41, v22, v23
	v_or_b32_e32 v22, 0x180, v21
	v_add_u32_e32 v21, 0x1c0, v21
	v_cndmask_b32_e32 v2, v2, v19, vcc
	v_lshrrev_b32_e32 v22, 2, v22
	v_lshrrev_b32_e32 v21, 2, v21
	v_lshlrev_b32_e32 v44, 4, v0
	v_lshlrev_b32_e32 v45, 2, v2
	v_lshrrev_b32_e32 v2, 4, v0
	v_lshrrev_b32_e32 v1, 4, v1
	v_and_b32_e32 v22, 0x1f8, v22
	v_and_b32_e32 v21, 0x3f8, v21
	;; [unrolled: 1-line block ×3, first 2 shown]
	v_mad_i32_i24 v47, v0, -12, v44
	v_and_b32_e32 v2, 3, v19
	v_and_b32_e32 v49, 0xffffffc, v1
	v_lshlrev_b32_e32 v1, 2, v0
	v_add_u32_e32 v42, v22, v23
	v_add_u32_e32 v43, v21, v23
	v_cmp_lt_u32_e64 s[10:11], 31, v19
	v_cmp_gt_u32_e64 s[14:15], 3, v0
	v_cmp_lt_u32_e64 s[16:17], 63, v0
	v_cmp_eq_u32_e64 s[20:21], 0, v0
	v_cmp_eq_u32_e64 s[22:23], 0, v2
	v_cmp_lt_u32_e64 s[24:25], 1, v2
	v_add_u32_e32 v48, -4, v46
	v_mov_b32_e32 v0, 0
	v_add_u32_e32 v50, v47, v1
	s_branch .LBB358_2
.LBB358_1:                              ;   in Loop: Header=BB358_2 Depth=1
	v_lshlrev_b32_e32 v18, 3, v62
	s_barrier
	ds_write_b64 v18, v[16:17]
	v_lshlrev_b32_e32 v16, 3, v61
	ds_write_b64 v16, v[14:15]
	v_lshlrev_b32_e32 v14, 3, v60
	;; [unrolled: 2-line block ×6, first 2 shown]
	v_lshlrev_b32_e32 v1, 3, v1
	ds_write_b64 v6, v[4:5]
	ds_write_b64 v1, v[2:3]
	s_waitcnt lgkmcnt(0)
	s_barrier
	ds_read2st64_b64 v[1:4], v50 offset1:3
	ds_read2st64_b64 v[5:8], v50 offset0:6 offset1:9
	ds_read2st64_b64 v[11:14], v50 offset0:12 offset1:15
	;; [unrolled: 1-line block ×3, first 2 shown]
	s_add_i32 s35, s35, 1
	s_waitcnt lgkmcnt(3)
	v_xor_b32_e32 v15, 0x80000000, v1
	v_xor_b32_e32 v16, 0x80000000, v2
	v_xor_b32_e32 v17, 0x80000000, v3
	v_xor_b32_e32 v18, 0x80000000, v4
	s_waitcnt lgkmcnt(2)
	v_xor_b32_e32 v3, 0x80000000, v5
	v_xor_b32_e32 v4, 0x80000000, v6
	v_xor_b32_e32 v5, 0x80000000, v7
	v_xor_b32_e32 v6, 0x80000000, v8
	;; [unrolled: 5-line block ×3, first 2 shown]
	s_waitcnt lgkmcnt(0)
	v_xor_b32_e32 v7, 0x80000000, v19
	v_xor_b32_e32 v8, 0x80000000, v20
	;; [unrolled: 1-line block ×3, first 2 shown]
	s_cmp_eq_u32 s35, 10
	v_xor_b32_e32 v10, 0x80000000, v22
	s_cbranch_scc1 .LBB358_28
.LBB358_2:                              ; =>This Loop Header: Depth=1
                                        ;     Child Loop BB358_4 Depth 2
	s_waitcnt vmcnt(0)
	v_xor_b32_e32 v2, 0x80000000, v16
	v_xor_b32_e32 v1, 0x80000000, v15
	;; [unrolled: 1-line block ×16, first 2 shown]
	ds_write2_b64 v35, v[1:2], v[15:16] offset1:1
	ds_write2_b64 v35, v[3:4], v[5:6] offset0:2 offset1:3
	ds_write2_b64 v35, v[11:12], v[13:14] offset0:4 offset1:5
	;; [unrolled: 1-line block ×3, first 2 shown]
	; wave barrier
	ds_read_b64 v[18:19], v36
	ds_read_b64 v[20:21], v37 offset:512
	ds_read_b64 v[22:23], v38 offset:1024
	;; [unrolled: 1-line block ×7, first 2 shown]
	s_mov_b32 s33, 8
	s_mov_b32 s34, 32
	;; [unrolled: 1-line block ×3, first 2 shown]
	s_waitcnt lgkmcnt(0)
	s_barrier
	; wave barrier
	s_barrier
	s_branch .LBB358_4
.LBB358_3:                              ;   in Loop: Header=BB358_4 Depth=2
	s_andn2_b64 vcc, exec, s[26:27]
	s_cbranch_vccz .LBB358_1
.LBB358_4:                              ;   Parent Loop BB358_2 Depth=1
                                        ; =>  This Inner Loop Header: Depth=2
	s_min_i32 s28, s33, 32
	s_cmp_lt_u32 s36, 32
	s_cselect_b64 s[26:27], -1, 0
	s_cmp_gt_u32 s36, 31
	s_cselect_b64 vcc, -1, 0
	s_sub_i32 s28, s28, 32
	s_add_i32 s29, s28, s34
	s_lshl_b32 s29, -1, s29
	s_not_b32 s29, s29
	s_cmp_lg_u32 s28, s36
	s_cselect_b32 s42, s29, -1
	s_max_i32 s37, s34, 0
	s_max_i32 s28, s36, 32
	s_sub_i32 s43, s28, 32
	s_sub_i32 s28, s28, s37
	;; [unrolled: 1-line block ×3, first 2 shown]
	s_min_i32 s28, s28, 32
	s_sub_i32 s28, s28, s43
	s_lshl_b32 s29, -1, s28
	s_not_b32 s29, s29
	v_mov_b32_e32 v16, v18
	s_cmp_lg_u32 s28, 32
	v_mov_b32_e32 v17, v19
	s_cselect_b32 s44, s29, -1
	v_lshrrev_b32_e32 v18, s43, v16
	v_lshrrev_b32_e32 v1, s36, v17
	v_and_b32_e32 v18, s44, v18
	v_and_b32_e32 v1, s42, v1
	v_lshlrev_b32_e32 v18, s37, v18
	v_cndmask_b32_e64 v1, 0, v1, s[26:27]
	v_cndmask_b32_e32 v18, 0, v18, vcc
	v_or_b32_e32 v18, v1, v18
	v_and_b32_e32 v1, 1, v18
	v_mov_b32_e32 v14, v20
	v_add_co_u32_e64 v19, s[28:29], -1, v1
	v_mov_b32_e32 v15, v21
	v_addc_co_u32_e64 v21, s[28:29], 0, -1, s[28:29]
	v_cmp_ne_u32_e64 s[28:29], 0, v1
	v_xor_b32_e32 v1, s29, v21
	v_and_b32_e32 v21, exec_hi, v1
	v_lshlrev_b32_e32 v1, 30, v18
	v_xor_b32_e32 v19, s28, v19
	v_cmp_gt_i64_e64 s[28:29], 0, v[0:1]
	v_not_b32_e32 v1, v1
	v_mov_b32_e32 v12, v22
	v_ashrrev_i32_e32 v1, 31, v1
	v_mov_b32_e32 v13, v23
	v_and_b32_e32 v19, exec_lo, v19
	v_xor_b32_e32 v22, s29, v1
	v_xor_b32_e32 v1, s28, v1
	v_and_b32_e32 v19, v19, v1
	v_lshlrev_b32_e32 v1, 29, v18
	v_cmp_gt_i64_e64 s[28:29], 0, v[0:1]
	v_not_b32_e32 v1, v1
	v_ashrrev_i32_e32 v1, 31, v1
	v_and_b32_e32 v21, v21, v22
	v_xor_b32_e32 v22, s29, v1
	v_xor_b32_e32 v1, s28, v1
	v_and_b32_e32 v19, v19, v1
	v_lshlrev_b32_e32 v1, 28, v18
	v_cmp_gt_i64_e64 s[28:29], 0, v[0:1]
	v_not_b32_e32 v1, v1
	v_ashrrev_i32_e32 v1, 31, v1
	v_and_b32_e32 v21, v21, v22
	;; [unrolled: 8-line block ×5, first 2 shown]
	v_xor_b32_e32 v22, s29, v1
	v_xor_b32_e32 v1, s28, v1
	v_and_b32_e32 v21, v21, v22
	v_and_b32_e32 v22, v19, v1
	v_lshlrev_b32_e32 v1, 24, v18
	v_cmp_gt_i64_e64 s[28:29], 0, v[0:1]
	v_not_b32_e32 v1, v1
	v_ashrrev_i32_e32 v1, 31, v1
	v_mul_lo_u32 v20, v18, 12
	v_xor_b32_e32 v18, s29, v1
	v_xor_b32_e32 v1, s28, v1
	v_and_b32_e32 v19, v21, v18
	v_and_b32_e32 v18, v22, v1
	v_mbcnt_lo_u32_b32 v1, v18, 0
	v_mbcnt_hi_u32_b32 v22, v19, v1
	v_cmp_ne_u64_e64 s[28:29], 0, v[18:19]
	v_mov_b32_e32 v10, v24
	v_mov_b32_e32 v8, v26
	;; [unrolled: 1-line block ×5, first 2 shown]
	v_cmp_eq_u32_e64 s[30:31], 0, v22
	v_mov_b32_e32 v11, v25
	v_mov_b32_e32 v9, v27
	;; [unrolled: 1-line block ×5, first 2 shown]
	s_and_b64 s[30:31], s[30:31], s[28:29]
	v_add_u32_e32 v23, v49, v20
	ds_write2_b32 v44, v0, v0 offset0:3 offset1:4
	ds_write2_b32 v44, v0, v0 offset0:5 offset1:6
	s_waitcnt lgkmcnt(0)
	s_barrier
	; wave barrier
	s_and_saveexec_b64 s[28:29], s[30:31]
; %bb.5:                                ;   in Loop: Header=BB358_4 Depth=2
	v_bcnt_u32_b32 v1, v18, 0
	v_bcnt_u32_b32 v1, v19, v1
	ds_write_b32 v23, v1 offset:12
; %bb.6:                                ;   in Loop: Header=BB358_4 Depth=2
	s_or_b64 exec, exec, s[28:29]
	v_lshrrev_b32_e32 v18, s43, v14
	v_lshrrev_b32_e32 v1, s36, v15
	v_and_b32_e32 v18, s44, v18
	v_and_b32_e32 v1, s42, v1
	v_lshlrev_b32_e32 v18, s37, v18
	v_cndmask_b32_e64 v1, 0, v1, s[26:27]
	v_cndmask_b32_e32 v18, 0, v18, vcc
	v_or_b32_e32 v18, v1, v18
	v_mul_lo_u32 v1, v18, 12
	; wave barrier
	v_add_u32_e32 v25, v49, v1
	v_and_b32_e32 v1, 1, v18
	v_add_co_u32_e64 v19, s[28:29], -1, v1
	v_addc_co_u32_e64 v20, s[28:29], 0, -1, s[28:29]
	v_cmp_ne_u32_e64 s[28:29], 0, v1
	v_xor_b32_e32 v1, s29, v20
	v_and_b32_e32 v20, exec_hi, v1
	v_lshlrev_b32_e32 v1, 30, v18
	v_xor_b32_e32 v19, s28, v19
	v_cmp_gt_i64_e64 s[28:29], 0, v[0:1]
	v_not_b32_e32 v1, v1
	v_ashrrev_i32_e32 v1, 31, v1
	v_and_b32_e32 v19, exec_lo, v19
	v_xor_b32_e32 v21, s29, v1
	v_xor_b32_e32 v1, s28, v1
	v_and_b32_e32 v19, v19, v1
	v_lshlrev_b32_e32 v1, 29, v18
	v_cmp_gt_i64_e64 s[28:29], 0, v[0:1]
	v_not_b32_e32 v1, v1
	v_ashrrev_i32_e32 v1, 31, v1
	v_and_b32_e32 v20, v20, v21
	v_xor_b32_e32 v21, s29, v1
	v_xor_b32_e32 v1, s28, v1
	v_and_b32_e32 v19, v19, v1
	v_lshlrev_b32_e32 v1, 28, v18
	v_cmp_gt_i64_e64 s[28:29], 0, v[0:1]
	v_not_b32_e32 v1, v1
	v_ashrrev_i32_e32 v1, 31, v1
	v_and_b32_e32 v20, v20, v21
	v_xor_b32_e32 v21, s29, v1
	v_xor_b32_e32 v1, s28, v1
	v_and_b32_e32 v19, v19, v1
	v_lshlrev_b32_e32 v1, 27, v18
	v_cmp_gt_i64_e64 s[28:29], 0, v[0:1]
	v_not_b32_e32 v1, v1
	v_ashrrev_i32_e32 v1, 31, v1
	v_and_b32_e32 v20, v20, v21
	v_xor_b32_e32 v21, s29, v1
	v_xor_b32_e32 v1, s28, v1
	v_and_b32_e32 v19, v19, v1
	v_lshlrev_b32_e32 v1, 26, v18
	v_cmp_gt_i64_e64 s[28:29], 0, v[0:1]
	v_not_b32_e32 v1, v1
	v_ashrrev_i32_e32 v1, 31, v1
	v_and_b32_e32 v20, v20, v21
	v_xor_b32_e32 v21, s29, v1
	v_xor_b32_e32 v1, s28, v1
	v_and_b32_e32 v19, v19, v1
	v_lshlrev_b32_e32 v1, 25, v18
	v_cmp_gt_i64_e64 s[28:29], 0, v[0:1]
	v_not_b32_e32 v1, v1
	v_ashrrev_i32_e32 v1, 31, v1
	v_and_b32_e32 v20, v20, v21
	v_xor_b32_e32 v21, s29, v1
	v_xor_b32_e32 v1, s28, v1
	v_and_b32_e32 v20, v20, v21
	v_and_b32_e32 v21, v19, v1
	v_lshlrev_b32_e32 v1, 24, v18
	v_cmp_gt_i64_e64 s[28:29], 0, v[0:1]
	v_not_b32_e32 v1, v1
	v_ashrrev_i32_e32 v1, 31, v1
	v_xor_b32_e32 v18, s29, v1
	v_xor_b32_e32 v1, s28, v1
	ds_read_b32 v24, v25 offset:12
	v_and_b32_e32 v19, v20, v18
	v_and_b32_e32 v18, v21, v1
	v_mbcnt_lo_u32_b32 v1, v18, 0
	v_mbcnt_hi_u32_b32 v26, v19, v1
	v_cmp_ne_u64_e64 s[28:29], 0, v[18:19]
	v_cmp_eq_u32_e64 s[30:31], 0, v26
	s_and_b64 s[30:31], s[30:31], s[28:29]
	; wave barrier
	s_and_saveexec_b64 s[28:29], s[30:31]
	s_cbranch_execz .LBB358_8
; %bb.7:                                ;   in Loop: Header=BB358_4 Depth=2
	v_bcnt_u32_b32 v1, v18, 0
	v_bcnt_u32_b32 v1, v19, v1
	s_waitcnt lgkmcnt(0)
	v_add_u32_e32 v1, v24, v1
	ds_write_b32 v25, v1 offset:12
.LBB358_8:                              ;   in Loop: Header=BB358_4 Depth=2
	s_or_b64 exec, exec, s[28:29]
	v_lshrrev_b32_e32 v18, s43, v12
	v_lshrrev_b32_e32 v1, s36, v13
	v_and_b32_e32 v18, s44, v18
	v_and_b32_e32 v1, s42, v1
	v_lshlrev_b32_e32 v18, s37, v18
	v_cndmask_b32_e64 v1, 0, v1, s[26:27]
	v_cndmask_b32_e32 v18, 0, v18, vcc
	v_or_b32_e32 v18, v1, v18
	v_mul_lo_u32 v1, v18, 12
	; wave barrier
	v_add_u32_e32 v28, v49, v1
	v_and_b32_e32 v1, 1, v18
	v_add_co_u32_e64 v19, s[28:29], -1, v1
	v_addc_co_u32_e64 v20, s[28:29], 0, -1, s[28:29]
	v_cmp_ne_u32_e64 s[28:29], 0, v1
	v_xor_b32_e32 v1, s29, v20
	v_and_b32_e32 v20, exec_hi, v1
	v_lshlrev_b32_e32 v1, 30, v18
	v_xor_b32_e32 v19, s28, v19
	v_cmp_gt_i64_e64 s[28:29], 0, v[0:1]
	v_not_b32_e32 v1, v1
	v_ashrrev_i32_e32 v1, 31, v1
	v_and_b32_e32 v19, exec_lo, v19
	v_xor_b32_e32 v21, s29, v1
	v_xor_b32_e32 v1, s28, v1
	v_and_b32_e32 v19, v19, v1
	v_lshlrev_b32_e32 v1, 29, v18
	v_cmp_gt_i64_e64 s[28:29], 0, v[0:1]
	v_not_b32_e32 v1, v1
	v_ashrrev_i32_e32 v1, 31, v1
	v_and_b32_e32 v20, v20, v21
	v_xor_b32_e32 v21, s29, v1
	v_xor_b32_e32 v1, s28, v1
	v_and_b32_e32 v19, v19, v1
	v_lshlrev_b32_e32 v1, 28, v18
	v_cmp_gt_i64_e64 s[28:29], 0, v[0:1]
	v_not_b32_e32 v1, v1
	v_ashrrev_i32_e32 v1, 31, v1
	v_and_b32_e32 v20, v20, v21
	v_xor_b32_e32 v21, s29, v1
	v_xor_b32_e32 v1, s28, v1
	v_and_b32_e32 v19, v19, v1
	v_lshlrev_b32_e32 v1, 27, v18
	v_cmp_gt_i64_e64 s[28:29], 0, v[0:1]
	v_not_b32_e32 v1, v1
	v_ashrrev_i32_e32 v1, 31, v1
	v_and_b32_e32 v20, v20, v21
	v_xor_b32_e32 v21, s29, v1
	v_xor_b32_e32 v1, s28, v1
	v_and_b32_e32 v19, v19, v1
	v_lshlrev_b32_e32 v1, 26, v18
	v_cmp_gt_i64_e64 s[28:29], 0, v[0:1]
	v_not_b32_e32 v1, v1
	v_ashrrev_i32_e32 v1, 31, v1
	v_and_b32_e32 v20, v20, v21
	v_xor_b32_e32 v21, s29, v1
	v_xor_b32_e32 v1, s28, v1
	v_and_b32_e32 v19, v19, v1
	v_lshlrev_b32_e32 v1, 25, v18
	v_cmp_gt_i64_e64 s[28:29], 0, v[0:1]
	v_not_b32_e32 v1, v1
	v_ashrrev_i32_e32 v1, 31, v1
	v_and_b32_e32 v20, v20, v21
	v_xor_b32_e32 v21, s29, v1
	v_xor_b32_e32 v1, s28, v1
	v_and_b32_e32 v20, v20, v21
	v_and_b32_e32 v21, v19, v1
	v_lshlrev_b32_e32 v1, 24, v18
	v_cmp_gt_i64_e64 s[28:29], 0, v[0:1]
	v_not_b32_e32 v1, v1
	v_ashrrev_i32_e32 v1, 31, v1
	v_xor_b32_e32 v18, s29, v1
	v_xor_b32_e32 v1, s28, v1
	ds_read_b32 v27, v28 offset:12
	v_and_b32_e32 v19, v20, v18
	v_and_b32_e32 v18, v21, v1
	v_mbcnt_lo_u32_b32 v1, v18, 0
	v_mbcnt_hi_u32_b32 v29, v19, v1
	v_cmp_ne_u64_e64 s[28:29], 0, v[18:19]
	v_cmp_eq_u32_e64 s[30:31], 0, v29
	s_and_b64 s[30:31], s[30:31], s[28:29]
	; wave barrier
	s_and_saveexec_b64 s[28:29], s[30:31]
	s_cbranch_execz .LBB358_10
; %bb.9:                                ;   in Loop: Header=BB358_4 Depth=2
	v_bcnt_u32_b32 v1, v18, 0
	v_bcnt_u32_b32 v1, v19, v1
	s_waitcnt lgkmcnt(0)
	v_add_u32_e32 v1, v27, v1
	ds_write_b32 v28, v1 offset:12
.LBB358_10:                             ;   in Loop: Header=BB358_4 Depth=2
	s_or_b64 exec, exec, s[28:29]
	v_lshrrev_b32_e32 v18, s43, v10
	v_lshrrev_b32_e32 v1, s36, v11
	v_and_b32_e32 v18, s44, v18
	v_and_b32_e32 v1, s42, v1
	v_lshlrev_b32_e32 v18, s37, v18
	v_cndmask_b32_e64 v1, 0, v1, s[26:27]
	v_cndmask_b32_e32 v18, 0, v18, vcc
	v_or_b32_e32 v18, v1, v18
	v_mul_lo_u32 v1, v18, 12
	; wave barrier
	v_add_u32_e32 v31, v49, v1
	v_and_b32_e32 v1, 1, v18
	v_add_co_u32_e64 v19, s[28:29], -1, v1
	v_addc_co_u32_e64 v20, s[28:29], 0, -1, s[28:29]
	v_cmp_ne_u32_e64 s[28:29], 0, v1
	v_xor_b32_e32 v1, s29, v20
	v_and_b32_e32 v20, exec_hi, v1
	v_lshlrev_b32_e32 v1, 30, v18
	v_xor_b32_e32 v19, s28, v19
	v_cmp_gt_i64_e64 s[28:29], 0, v[0:1]
	v_not_b32_e32 v1, v1
	v_ashrrev_i32_e32 v1, 31, v1
	v_and_b32_e32 v19, exec_lo, v19
	v_xor_b32_e32 v21, s29, v1
	v_xor_b32_e32 v1, s28, v1
	v_and_b32_e32 v19, v19, v1
	v_lshlrev_b32_e32 v1, 29, v18
	v_cmp_gt_i64_e64 s[28:29], 0, v[0:1]
	v_not_b32_e32 v1, v1
	v_ashrrev_i32_e32 v1, 31, v1
	v_and_b32_e32 v20, v20, v21
	v_xor_b32_e32 v21, s29, v1
	v_xor_b32_e32 v1, s28, v1
	v_and_b32_e32 v19, v19, v1
	v_lshlrev_b32_e32 v1, 28, v18
	v_cmp_gt_i64_e64 s[28:29], 0, v[0:1]
	v_not_b32_e32 v1, v1
	v_ashrrev_i32_e32 v1, 31, v1
	v_and_b32_e32 v20, v20, v21
	;; [unrolled: 8-line block ×5, first 2 shown]
	v_xor_b32_e32 v21, s29, v1
	v_xor_b32_e32 v1, s28, v1
	v_and_b32_e32 v20, v20, v21
	v_and_b32_e32 v21, v19, v1
	v_lshlrev_b32_e32 v1, 24, v18
	v_cmp_gt_i64_e64 s[28:29], 0, v[0:1]
	v_not_b32_e32 v1, v1
	v_ashrrev_i32_e32 v1, 31, v1
	v_xor_b32_e32 v18, s29, v1
	v_xor_b32_e32 v1, s28, v1
	ds_read_b32 v30, v31 offset:12
	v_and_b32_e32 v19, v20, v18
	v_and_b32_e32 v18, v21, v1
	v_mbcnt_lo_u32_b32 v1, v18, 0
	v_mbcnt_hi_u32_b32 v32, v19, v1
	v_cmp_ne_u64_e64 s[28:29], 0, v[18:19]
	v_cmp_eq_u32_e64 s[30:31], 0, v32
	s_and_b64 s[30:31], s[30:31], s[28:29]
	; wave barrier
	s_and_saveexec_b64 s[28:29], s[30:31]
	s_cbranch_execz .LBB358_12
; %bb.11:                               ;   in Loop: Header=BB358_4 Depth=2
	v_bcnt_u32_b32 v1, v18, 0
	v_bcnt_u32_b32 v1, v19, v1
	s_waitcnt lgkmcnt(0)
	v_add_u32_e32 v1, v30, v1
	ds_write_b32 v31, v1 offset:12
.LBB358_12:                             ;   in Loop: Header=BB358_4 Depth=2
	s_or_b64 exec, exec, s[28:29]
	v_lshrrev_b32_e32 v18, s43, v8
	v_lshrrev_b32_e32 v1, s36, v9
	v_and_b32_e32 v18, s44, v18
	v_and_b32_e32 v1, s42, v1
	v_lshlrev_b32_e32 v18, s37, v18
	v_cndmask_b32_e64 v1, 0, v1, s[26:27]
	v_cndmask_b32_e32 v18, 0, v18, vcc
	v_or_b32_e32 v18, v1, v18
	v_mul_lo_u32 v1, v18, 12
	; wave barrier
	v_add_u32_e32 v51, v49, v1
	v_and_b32_e32 v1, 1, v18
	v_add_co_u32_e64 v19, s[28:29], -1, v1
	v_addc_co_u32_e64 v20, s[28:29], 0, -1, s[28:29]
	v_cmp_ne_u32_e64 s[28:29], 0, v1
	v_xor_b32_e32 v1, s29, v20
	v_and_b32_e32 v20, exec_hi, v1
	v_lshlrev_b32_e32 v1, 30, v18
	v_xor_b32_e32 v19, s28, v19
	v_cmp_gt_i64_e64 s[28:29], 0, v[0:1]
	v_not_b32_e32 v1, v1
	v_ashrrev_i32_e32 v1, 31, v1
	v_and_b32_e32 v19, exec_lo, v19
	v_xor_b32_e32 v21, s29, v1
	v_xor_b32_e32 v1, s28, v1
	v_and_b32_e32 v19, v19, v1
	v_lshlrev_b32_e32 v1, 29, v18
	v_cmp_gt_i64_e64 s[28:29], 0, v[0:1]
	v_not_b32_e32 v1, v1
	v_ashrrev_i32_e32 v1, 31, v1
	v_and_b32_e32 v20, v20, v21
	v_xor_b32_e32 v21, s29, v1
	v_xor_b32_e32 v1, s28, v1
	v_and_b32_e32 v19, v19, v1
	v_lshlrev_b32_e32 v1, 28, v18
	v_cmp_gt_i64_e64 s[28:29], 0, v[0:1]
	v_not_b32_e32 v1, v1
	v_ashrrev_i32_e32 v1, 31, v1
	v_and_b32_e32 v20, v20, v21
	v_xor_b32_e32 v21, s29, v1
	v_xor_b32_e32 v1, s28, v1
	v_and_b32_e32 v19, v19, v1
	v_lshlrev_b32_e32 v1, 27, v18
	v_cmp_gt_i64_e64 s[28:29], 0, v[0:1]
	v_not_b32_e32 v1, v1
	v_ashrrev_i32_e32 v1, 31, v1
	v_and_b32_e32 v20, v20, v21
	v_xor_b32_e32 v21, s29, v1
	v_xor_b32_e32 v1, s28, v1
	v_and_b32_e32 v19, v19, v1
	v_lshlrev_b32_e32 v1, 26, v18
	v_cmp_gt_i64_e64 s[28:29], 0, v[0:1]
	v_not_b32_e32 v1, v1
	v_ashrrev_i32_e32 v1, 31, v1
	v_and_b32_e32 v20, v20, v21
	v_xor_b32_e32 v21, s29, v1
	v_xor_b32_e32 v1, s28, v1
	v_and_b32_e32 v19, v19, v1
	v_lshlrev_b32_e32 v1, 25, v18
	v_cmp_gt_i64_e64 s[28:29], 0, v[0:1]
	v_not_b32_e32 v1, v1
	v_ashrrev_i32_e32 v1, 31, v1
	v_and_b32_e32 v20, v20, v21
	v_xor_b32_e32 v21, s29, v1
	v_xor_b32_e32 v1, s28, v1
	v_and_b32_e32 v20, v20, v21
	v_and_b32_e32 v21, v19, v1
	v_lshlrev_b32_e32 v1, 24, v18
	v_cmp_gt_i64_e64 s[28:29], 0, v[0:1]
	v_not_b32_e32 v1, v1
	v_ashrrev_i32_e32 v1, 31, v1
	v_xor_b32_e32 v18, s29, v1
	v_xor_b32_e32 v1, s28, v1
	ds_read_b32 v33, v51 offset:12
	v_and_b32_e32 v19, v20, v18
	v_and_b32_e32 v18, v21, v1
	v_mbcnt_lo_u32_b32 v1, v18, 0
	v_mbcnt_hi_u32_b32 v52, v19, v1
	v_cmp_ne_u64_e64 s[28:29], 0, v[18:19]
	v_cmp_eq_u32_e64 s[30:31], 0, v52
	s_and_b64 s[30:31], s[30:31], s[28:29]
	; wave barrier
	s_and_saveexec_b64 s[28:29], s[30:31]
	s_cbranch_execz .LBB358_14
; %bb.13:                               ;   in Loop: Header=BB358_4 Depth=2
	v_bcnt_u32_b32 v1, v18, 0
	v_bcnt_u32_b32 v1, v19, v1
	s_waitcnt lgkmcnt(0)
	v_add_u32_e32 v1, v33, v1
	ds_write_b32 v51, v1 offset:12
.LBB358_14:                             ;   in Loop: Header=BB358_4 Depth=2
	s_or_b64 exec, exec, s[28:29]
	v_lshrrev_b32_e32 v18, s43, v6
	v_lshrrev_b32_e32 v1, s36, v7
	v_and_b32_e32 v18, s44, v18
	v_and_b32_e32 v1, s42, v1
	v_lshlrev_b32_e32 v18, s37, v18
	v_cndmask_b32_e64 v1, 0, v1, s[26:27]
	v_cndmask_b32_e32 v18, 0, v18, vcc
	v_or_b32_e32 v18, v1, v18
	v_mul_lo_u32 v1, v18, 12
	; wave barrier
	v_add_u32_e32 v54, v49, v1
	v_and_b32_e32 v1, 1, v18
	v_add_co_u32_e64 v19, s[28:29], -1, v1
	v_addc_co_u32_e64 v20, s[28:29], 0, -1, s[28:29]
	v_cmp_ne_u32_e64 s[28:29], 0, v1
	v_xor_b32_e32 v1, s29, v20
	v_and_b32_e32 v20, exec_hi, v1
	v_lshlrev_b32_e32 v1, 30, v18
	v_xor_b32_e32 v19, s28, v19
	v_cmp_gt_i64_e64 s[28:29], 0, v[0:1]
	v_not_b32_e32 v1, v1
	v_ashrrev_i32_e32 v1, 31, v1
	v_and_b32_e32 v19, exec_lo, v19
	v_xor_b32_e32 v21, s29, v1
	v_xor_b32_e32 v1, s28, v1
	v_and_b32_e32 v19, v19, v1
	v_lshlrev_b32_e32 v1, 29, v18
	v_cmp_gt_i64_e64 s[28:29], 0, v[0:1]
	v_not_b32_e32 v1, v1
	v_ashrrev_i32_e32 v1, 31, v1
	v_and_b32_e32 v20, v20, v21
	v_xor_b32_e32 v21, s29, v1
	v_xor_b32_e32 v1, s28, v1
	v_and_b32_e32 v19, v19, v1
	v_lshlrev_b32_e32 v1, 28, v18
	v_cmp_gt_i64_e64 s[28:29], 0, v[0:1]
	v_not_b32_e32 v1, v1
	v_ashrrev_i32_e32 v1, 31, v1
	v_and_b32_e32 v20, v20, v21
	;; [unrolled: 8-line block ×5, first 2 shown]
	v_xor_b32_e32 v21, s29, v1
	v_xor_b32_e32 v1, s28, v1
	v_and_b32_e32 v20, v20, v21
	v_and_b32_e32 v21, v19, v1
	v_lshlrev_b32_e32 v1, 24, v18
	v_cmp_gt_i64_e64 s[28:29], 0, v[0:1]
	v_not_b32_e32 v1, v1
	v_ashrrev_i32_e32 v1, 31, v1
	v_xor_b32_e32 v18, s29, v1
	v_xor_b32_e32 v1, s28, v1
	ds_read_b32 v53, v54 offset:12
	v_and_b32_e32 v19, v20, v18
	v_and_b32_e32 v18, v21, v1
	v_mbcnt_lo_u32_b32 v1, v18, 0
	v_mbcnt_hi_u32_b32 v55, v19, v1
	v_cmp_ne_u64_e64 s[28:29], 0, v[18:19]
	v_cmp_eq_u32_e64 s[30:31], 0, v55
	s_and_b64 s[30:31], s[30:31], s[28:29]
	; wave barrier
	s_and_saveexec_b64 s[28:29], s[30:31]
	s_cbranch_execz .LBB358_16
; %bb.15:                               ;   in Loop: Header=BB358_4 Depth=2
	v_bcnt_u32_b32 v1, v18, 0
	v_bcnt_u32_b32 v1, v19, v1
	s_waitcnt lgkmcnt(0)
	v_add_u32_e32 v1, v53, v1
	ds_write_b32 v54, v1 offset:12
.LBB358_16:                             ;   in Loop: Header=BB358_4 Depth=2
	s_or_b64 exec, exec, s[28:29]
	v_lshrrev_b32_e32 v18, s43, v4
	v_lshrrev_b32_e32 v1, s36, v5
	v_and_b32_e32 v18, s44, v18
	v_and_b32_e32 v1, s42, v1
	v_lshlrev_b32_e32 v18, s37, v18
	v_cndmask_b32_e64 v1, 0, v1, s[26:27]
	v_cndmask_b32_e32 v18, 0, v18, vcc
	v_or_b32_e32 v18, v1, v18
	v_mul_lo_u32 v1, v18, 12
	; wave barrier
	v_add_u32_e32 v57, v49, v1
	v_and_b32_e32 v1, 1, v18
	v_add_co_u32_e64 v19, s[28:29], -1, v1
	v_addc_co_u32_e64 v20, s[28:29], 0, -1, s[28:29]
	v_cmp_ne_u32_e64 s[28:29], 0, v1
	v_xor_b32_e32 v1, s29, v20
	v_and_b32_e32 v20, exec_hi, v1
	v_lshlrev_b32_e32 v1, 30, v18
	v_xor_b32_e32 v19, s28, v19
	v_cmp_gt_i64_e64 s[28:29], 0, v[0:1]
	v_not_b32_e32 v1, v1
	v_ashrrev_i32_e32 v1, 31, v1
	v_and_b32_e32 v19, exec_lo, v19
	v_xor_b32_e32 v21, s29, v1
	v_xor_b32_e32 v1, s28, v1
	v_and_b32_e32 v19, v19, v1
	v_lshlrev_b32_e32 v1, 29, v18
	v_cmp_gt_i64_e64 s[28:29], 0, v[0:1]
	v_not_b32_e32 v1, v1
	v_ashrrev_i32_e32 v1, 31, v1
	v_and_b32_e32 v20, v20, v21
	v_xor_b32_e32 v21, s29, v1
	v_xor_b32_e32 v1, s28, v1
	v_and_b32_e32 v19, v19, v1
	v_lshlrev_b32_e32 v1, 28, v18
	v_cmp_gt_i64_e64 s[28:29], 0, v[0:1]
	v_not_b32_e32 v1, v1
	v_ashrrev_i32_e32 v1, 31, v1
	v_and_b32_e32 v20, v20, v21
	;; [unrolled: 8-line block ×5, first 2 shown]
	v_xor_b32_e32 v21, s29, v1
	v_xor_b32_e32 v1, s28, v1
	v_and_b32_e32 v20, v20, v21
	v_and_b32_e32 v21, v19, v1
	v_lshlrev_b32_e32 v1, 24, v18
	v_cmp_gt_i64_e64 s[28:29], 0, v[0:1]
	v_not_b32_e32 v1, v1
	v_ashrrev_i32_e32 v1, 31, v1
	v_xor_b32_e32 v18, s29, v1
	v_xor_b32_e32 v1, s28, v1
	ds_read_b32 v56, v57 offset:12
	v_and_b32_e32 v19, v20, v18
	v_and_b32_e32 v18, v21, v1
	v_mbcnt_lo_u32_b32 v1, v18, 0
	v_mbcnt_hi_u32_b32 v58, v19, v1
	v_cmp_ne_u64_e64 s[28:29], 0, v[18:19]
	v_cmp_eq_u32_e64 s[30:31], 0, v58
	s_and_b64 s[30:31], s[30:31], s[28:29]
	; wave barrier
	s_and_saveexec_b64 s[28:29], s[30:31]
	s_cbranch_execz .LBB358_18
; %bb.17:                               ;   in Loop: Header=BB358_4 Depth=2
	v_bcnt_u32_b32 v1, v18, 0
	v_bcnt_u32_b32 v1, v19, v1
	s_waitcnt lgkmcnt(0)
	v_add_u32_e32 v1, v56, v1
	ds_write_b32 v57, v1 offset:12
.LBB358_18:                             ;   in Loop: Header=BB358_4 Depth=2
	s_or_b64 exec, exec, s[28:29]
	v_lshrrev_b32_e32 v18, s43, v2
	v_lshrrev_b32_e32 v1, s36, v3
	v_and_b32_e32 v18, s44, v18
	v_and_b32_e32 v1, s42, v1
	v_lshlrev_b32_e32 v18, s37, v18
	v_cndmask_b32_e64 v1, 0, v1, s[26:27]
	v_cndmask_b32_e32 v18, 0, v18, vcc
	v_or_b32_e32 v18, v1, v18
	v_mul_lo_u32 v1, v18, 12
	; wave barrier
	v_add_u32_e32 v60, v49, v1
	v_and_b32_e32 v1, 1, v18
	v_add_co_u32_e32 v19, vcc, -1, v1
	v_addc_co_u32_e64 v20, s[26:27], 0, -1, vcc
	v_cmp_ne_u32_e32 vcc, 0, v1
	v_xor_b32_e32 v1, vcc_hi, v20
	v_and_b32_e32 v20, exec_hi, v1
	v_lshlrev_b32_e32 v1, 30, v18
	v_xor_b32_e32 v19, vcc_lo, v19
	v_cmp_gt_i64_e32 vcc, 0, v[0:1]
	v_not_b32_e32 v1, v1
	v_ashrrev_i32_e32 v1, 31, v1
	v_and_b32_e32 v19, exec_lo, v19
	v_xor_b32_e32 v21, vcc_hi, v1
	v_xor_b32_e32 v1, vcc_lo, v1
	v_and_b32_e32 v19, v19, v1
	v_lshlrev_b32_e32 v1, 29, v18
	v_cmp_gt_i64_e32 vcc, 0, v[0:1]
	v_not_b32_e32 v1, v1
	v_ashrrev_i32_e32 v1, 31, v1
	v_and_b32_e32 v20, v20, v21
	v_xor_b32_e32 v21, vcc_hi, v1
	v_xor_b32_e32 v1, vcc_lo, v1
	v_and_b32_e32 v19, v19, v1
	v_lshlrev_b32_e32 v1, 28, v18
	v_cmp_gt_i64_e32 vcc, 0, v[0:1]
	v_not_b32_e32 v1, v1
	v_ashrrev_i32_e32 v1, 31, v1
	v_and_b32_e32 v20, v20, v21
	;; [unrolled: 8-line block ×5, first 2 shown]
	v_xor_b32_e32 v21, vcc_hi, v1
	v_xor_b32_e32 v1, vcc_lo, v1
	v_and_b32_e32 v20, v20, v21
	v_and_b32_e32 v21, v19, v1
	v_lshlrev_b32_e32 v1, 24, v18
	v_cmp_gt_i64_e32 vcc, 0, v[0:1]
	v_not_b32_e32 v1, v1
	v_ashrrev_i32_e32 v1, 31, v1
	v_xor_b32_e32 v18, vcc_hi, v1
	v_xor_b32_e32 v1, vcc_lo, v1
	ds_read_b32 v59, v60 offset:12
	v_and_b32_e32 v19, v20, v18
	v_and_b32_e32 v18, v21, v1
	v_mbcnt_lo_u32_b32 v1, v18, 0
	v_mbcnt_hi_u32_b32 v1, v19, v1
	v_cmp_ne_u64_e32 vcc, 0, v[18:19]
	v_cmp_eq_u32_e64 s[26:27], 0, v1
	s_and_b64 s[28:29], s[26:27], vcc
	; wave barrier
	s_and_saveexec_b64 s[26:27], s[28:29]
	s_cbranch_execz .LBB358_20
; %bb.19:                               ;   in Loop: Header=BB358_4 Depth=2
	v_bcnt_u32_b32 v18, v18, 0
	v_bcnt_u32_b32 v18, v19, v18
	s_waitcnt lgkmcnt(0)
	v_add_u32_e32 v18, v59, v18
	ds_write_b32 v60, v18 offset:12
.LBB358_20:                             ;   in Loop: Header=BB358_4 Depth=2
	s_or_b64 exec, exec, s[26:27]
	; wave barrier
	s_waitcnt lgkmcnt(0)
	s_barrier
	ds_read2_b32 v[20:21], v44 offset0:3 offset1:4
	ds_read2_b32 v[18:19], v44 offset0:5 offset1:6
	s_waitcnt lgkmcnt(1)
	v_add_u32_e32 v61, v21, v20
	s_waitcnt lgkmcnt(0)
	v_add3_u32 v19, v61, v18, v19
	s_nop 1
	v_mov_b32_dpp v61, v19 row_shr:1 row_mask:0xf bank_mask:0xf
	v_cndmask_b32_e64 v61, v61, 0, s[0:1]
	v_add_u32_e32 v19, v61, v19
	s_nop 1
	v_mov_b32_dpp v61, v19 row_shr:2 row_mask:0xf bank_mask:0xf
	v_cndmask_b32_e64 v61, 0, v61, s[2:3]
	v_add_u32_e32 v19, v19, v61
	;; [unrolled: 4-line block ×4, first 2 shown]
	s_nop 1
	v_mov_b32_dpp v61, v19 row_bcast:15 row_mask:0xf bank_mask:0xf
	v_cndmask_b32_e64 v61, v61, 0, s[8:9]
	v_add_u32_e32 v19, v19, v61
	s_nop 1
	v_mov_b32_dpp v61, v19 row_bcast:31 row_mask:0xf bank_mask:0xf
	v_cndmask_b32_e64 v61, 0, v61, s[10:11]
	v_add_u32_e32 v19, v19, v61
	s_and_saveexec_b64 s[26:27], s[12:13]
; %bb.21:                               ;   in Loop: Header=BB358_4 Depth=2
	ds_write_b32 v46, v19
; %bb.22:                               ;   in Loop: Header=BB358_4 Depth=2
	s_or_b64 exec, exec, s[26:27]
	s_waitcnt lgkmcnt(0)
	s_barrier
	s_and_saveexec_b64 s[26:27], s[14:15]
	s_cbranch_execz .LBB358_24
; %bb.23:                               ;   in Loop: Header=BB358_4 Depth=2
	ds_read_b32 v61, v47
	s_waitcnt lgkmcnt(0)
	s_nop 0
	v_mov_b32_dpp v62, v61 row_shr:1 row_mask:0xf bank_mask:0xf
	v_cndmask_b32_e64 v62, v62, 0, s[22:23]
	v_add_u32_e32 v61, v62, v61
	s_nop 1
	v_mov_b32_dpp v62, v61 row_shr:2 row_mask:0xf bank_mask:0xf
	v_cndmask_b32_e64 v62, 0, v62, s[24:25]
	v_add_u32_e32 v61, v61, v62
	ds_write_b32 v47, v61
.LBB358_24:                             ;   in Loop: Header=BB358_4 Depth=2
	s_or_b64 exec, exec, s[26:27]
	v_mov_b32_e32 v61, 0
	s_waitcnt lgkmcnt(0)
	s_barrier
	s_and_saveexec_b64 s[26:27], s[16:17]
; %bb.25:                               ;   in Loop: Header=BB358_4 Depth=2
	ds_read_b32 v61, v48
; %bb.26:                               ;   in Loop: Header=BB358_4 Depth=2
	s_or_b64 exec, exec, s[26:27]
	s_waitcnt lgkmcnt(0)
	v_add_u32_e32 v19, v61, v19
	ds_bpermute_b32 v19, v45, v19
	s_cmp_gt_u32 s36, 55
	s_mov_b64 s[26:27], -1
	s_waitcnt lgkmcnt(0)
	v_cndmask_b32_e64 v19, v19, v61, s[18:19]
	v_cndmask_b32_e64 v19, v19, 0, s[20:21]
	v_add_u32_e32 v20, v19, v20
	v_add_u32_e32 v21, v20, v21
	;; [unrolled: 1-line block ×3, first 2 shown]
	ds_write2_b32 v44, v19, v20 offset0:3 offset1:4
	ds_write2_b32 v44, v21, v18 offset0:5 offset1:6
	s_waitcnt lgkmcnt(0)
	s_barrier
	ds_read_b32 v18, v23 offset:12
	ds_read_b32 v19, v25 offset:12
	;; [unrolled: 1-line block ×8, first 2 shown]
	s_waitcnt lgkmcnt(7)
	v_add_u32_e32 v62, v18, v22
	s_waitcnt lgkmcnt(6)
	v_add3_u32 v61, v26, v24, v19
	s_waitcnt lgkmcnt(5)
	v_add3_u32 v60, v29, v27, v20
	;; [unrolled: 2-line block ×7, first 2 shown]
                                        ; implicit-def: $vgpr18_vgpr19
                                        ; implicit-def: $vgpr20_vgpr21
                                        ; implicit-def: $vgpr22_vgpr23
                                        ; implicit-def: $vgpr24_vgpr25
                                        ; implicit-def: $vgpr26_vgpr27
                                        ; implicit-def: $vgpr28_vgpr29
                                        ; implicit-def: $vgpr30_vgpr31
                                        ; implicit-def: $vgpr32_vgpr33
	s_cbranch_scc1 .LBB358_3
; %bb.27:                               ;   in Loop: Header=BB358_4 Depth=2
	v_lshrrev_b32_e32 v18, 2, v62
	v_and_b32_e32 v18, 0x3ffffff8, v18
	v_lshl_add_u32 v18, v62, 3, v18
	s_barrier
	ds_write_b64 v18, v[16:17]
	v_lshrrev_b32_e32 v18, 2, v61
	v_and_b32_e32 v18, 0x3ffffff8, v18
	v_lshl_add_u32 v18, v61, 3, v18
	ds_write_b64 v18, v[14:15]
	v_lshrrev_b32_e32 v18, 2, v60
	v_and_b32_e32 v18, 0x3ffffff8, v18
	v_lshl_add_u32 v18, v60, 3, v18
	;; [unrolled: 4-line block ×7, first 2 shown]
	ds_write_b64 v18, v[2:3]
	s_waitcnt lgkmcnt(0)
	s_barrier
	ds_read_b64 v[18:19], v36
	ds_read_b64 v[20:21], v37 offset:512
	ds_read_b64 v[22:23], v38 offset:1024
	;; [unrolled: 1-line block ×7, first 2 shown]
	s_add_i32 s34, s34, -8
	s_add_i32 s33, s33, 8
	s_add_i32 s36, s36, 8
	s_mov_b64 s[26:27], 0
	s_waitcnt lgkmcnt(0)
	s_barrier
	s_branch .LBB358_3
.LBB358_28:
	s_add_u32 s0, s38, s40
	s_addc_u32 s1, s39, s41
	v_mov_b32_e32 v0, s1
	v_add_co_u32_e32 v2, vcc, s0, v34
	v_addc_co_u32_e32 v19, vcc, 0, v0, vcc
	v_add_co_u32_e32 v0, vcc, 0x1000, v2
	v_addc_co_u32_e32 v1, vcc, 0, v19, vcc
	global_store_dwordx2 v34, v[15:16], s[0:1]
	global_store_dwordx2 v34, v[17:18], s[0:1] offset:1536
	global_store_dwordx2 v34, v[3:4], s[0:1] offset:3072
	global_store_dwordx2 v[0:1], v[5:6], off offset:512
	global_store_dwordx2 v[0:1], v[11:12], off offset:2048
	;; [unrolled: 1-line block ×3, first 2 shown]
	v_add_co_u32_e32 v0, vcc, 0x2000, v2
	v_addc_co_u32_e32 v1, vcc, 0, v19, vcc
	global_store_dwordx2 v[0:1], v[7:8], off offset:1024
	global_store_dwordx2 v[0:1], v[9:10], off offset:2560
	s_endpgm
	.section	.rodata,"a",@progbits
	.p2align	6, 0x0
	.amdhsa_kernel _Z16sort_keys_kernelI22helper_blocked_stripedN15benchmark_utils11custom_typeIiiEELj192ELj8ELj10EEvPKT0_PS4_
		.amdhsa_group_segment_fixed_size 12672
		.amdhsa_private_segment_fixed_size 0
		.amdhsa_kernarg_size 272
		.amdhsa_user_sgpr_count 6
		.amdhsa_user_sgpr_private_segment_buffer 1
		.amdhsa_user_sgpr_dispatch_ptr 0
		.amdhsa_user_sgpr_queue_ptr 0
		.amdhsa_user_sgpr_kernarg_segment_ptr 1
		.amdhsa_user_sgpr_dispatch_id 0
		.amdhsa_user_sgpr_flat_scratch_init 0
		.amdhsa_user_sgpr_private_segment_size 0
		.amdhsa_uses_dynamic_stack 0
		.amdhsa_system_sgpr_private_segment_wavefront_offset 0
		.amdhsa_system_sgpr_workgroup_id_x 1
		.amdhsa_system_sgpr_workgroup_id_y 0
		.amdhsa_system_sgpr_workgroup_id_z 0
		.amdhsa_system_sgpr_workgroup_info 0
		.amdhsa_system_vgpr_workitem_id 2
		.amdhsa_next_free_vgpr 63
		.amdhsa_next_free_sgpr 98
		.amdhsa_reserve_vcc 1
		.amdhsa_reserve_flat_scratch 0
		.amdhsa_float_round_mode_32 0
		.amdhsa_float_round_mode_16_64 0
		.amdhsa_float_denorm_mode_32 3
		.amdhsa_float_denorm_mode_16_64 3
		.amdhsa_dx10_clamp 1
		.amdhsa_ieee_mode 1
		.amdhsa_fp16_overflow 0
		.amdhsa_exception_fp_ieee_invalid_op 0
		.amdhsa_exception_fp_denorm_src 0
		.amdhsa_exception_fp_ieee_div_zero 0
		.amdhsa_exception_fp_ieee_overflow 0
		.amdhsa_exception_fp_ieee_underflow 0
		.amdhsa_exception_fp_ieee_inexact 0
		.amdhsa_exception_int_div_zero 0
	.end_amdhsa_kernel
	.section	.text._Z16sort_keys_kernelI22helper_blocked_stripedN15benchmark_utils11custom_typeIiiEELj192ELj8ELj10EEvPKT0_PS4_,"axG",@progbits,_Z16sort_keys_kernelI22helper_blocked_stripedN15benchmark_utils11custom_typeIiiEELj192ELj8ELj10EEvPKT0_PS4_,comdat
.Lfunc_end358:
	.size	_Z16sort_keys_kernelI22helper_blocked_stripedN15benchmark_utils11custom_typeIiiEELj192ELj8ELj10EEvPKT0_PS4_, .Lfunc_end358-_Z16sort_keys_kernelI22helper_blocked_stripedN15benchmark_utils11custom_typeIiiEELj192ELj8ELj10EEvPKT0_PS4_
                                        ; -- End function
	.set _Z16sort_keys_kernelI22helper_blocked_stripedN15benchmark_utils11custom_typeIiiEELj192ELj8ELj10EEvPKT0_PS4_.num_vgpr, 63
	.set _Z16sort_keys_kernelI22helper_blocked_stripedN15benchmark_utils11custom_typeIiiEELj192ELj8ELj10EEvPKT0_PS4_.num_agpr, 0
	.set _Z16sort_keys_kernelI22helper_blocked_stripedN15benchmark_utils11custom_typeIiiEELj192ELj8ELj10EEvPKT0_PS4_.numbered_sgpr, 45
	.set _Z16sort_keys_kernelI22helper_blocked_stripedN15benchmark_utils11custom_typeIiiEELj192ELj8ELj10EEvPKT0_PS4_.num_named_barrier, 0
	.set _Z16sort_keys_kernelI22helper_blocked_stripedN15benchmark_utils11custom_typeIiiEELj192ELj8ELj10EEvPKT0_PS4_.private_seg_size, 0
	.set _Z16sort_keys_kernelI22helper_blocked_stripedN15benchmark_utils11custom_typeIiiEELj192ELj8ELj10EEvPKT0_PS4_.uses_vcc, 1
	.set _Z16sort_keys_kernelI22helper_blocked_stripedN15benchmark_utils11custom_typeIiiEELj192ELj8ELj10EEvPKT0_PS4_.uses_flat_scratch, 0
	.set _Z16sort_keys_kernelI22helper_blocked_stripedN15benchmark_utils11custom_typeIiiEELj192ELj8ELj10EEvPKT0_PS4_.has_dyn_sized_stack, 0
	.set _Z16sort_keys_kernelI22helper_blocked_stripedN15benchmark_utils11custom_typeIiiEELj192ELj8ELj10EEvPKT0_PS4_.has_recursion, 0
	.set _Z16sort_keys_kernelI22helper_blocked_stripedN15benchmark_utils11custom_typeIiiEELj192ELj8ELj10EEvPKT0_PS4_.has_indirect_call, 0
	.section	.AMDGPU.csdata,"",@progbits
; Kernel info:
; codeLenInByte = 5692
; TotalNumSgprs: 49
; NumVgprs: 63
; ScratchSize: 0
; MemoryBound: 0
; FloatMode: 240
; IeeeMode: 1
; LDSByteSize: 12672 bytes/workgroup (compile time only)
; SGPRBlocks: 12
; VGPRBlocks: 15
; NumSGPRsForWavesPerEU: 102
; NumVGPRsForWavesPerEU: 63
; Occupancy: 4
; WaveLimiterHint : 1
; COMPUTE_PGM_RSRC2:SCRATCH_EN: 0
; COMPUTE_PGM_RSRC2:USER_SGPR: 6
; COMPUTE_PGM_RSRC2:TRAP_HANDLER: 0
; COMPUTE_PGM_RSRC2:TGID_X_EN: 1
; COMPUTE_PGM_RSRC2:TGID_Y_EN: 0
; COMPUTE_PGM_RSRC2:TGID_Z_EN: 0
; COMPUTE_PGM_RSRC2:TIDIG_COMP_CNT: 2
	.section	.text._Z17sort_pairs_kernelI22helper_blocked_stripedN15benchmark_utils11custom_typeIiiEELj192ELj8ELj10EEvPKT0_PS4_,"axG",@progbits,_Z17sort_pairs_kernelI22helper_blocked_stripedN15benchmark_utils11custom_typeIiiEELj192ELj8ELj10EEvPKT0_PS4_,comdat
	.protected	_Z17sort_pairs_kernelI22helper_blocked_stripedN15benchmark_utils11custom_typeIiiEELj192ELj8ELj10EEvPKT0_PS4_ ; -- Begin function _Z17sort_pairs_kernelI22helper_blocked_stripedN15benchmark_utils11custom_typeIiiEELj192ELj8ELj10EEvPKT0_PS4_
	.globl	_Z17sort_pairs_kernelI22helper_blocked_stripedN15benchmark_utils11custom_typeIiiEELj192ELj8ELj10EEvPKT0_PS4_
	.p2align	8
	.type	_Z17sort_pairs_kernelI22helper_blocked_stripedN15benchmark_utils11custom_typeIiiEELj192ELj8ELj10EEvPKT0_PS4_,@function
_Z17sort_pairs_kernelI22helper_blocked_stripedN15benchmark_utils11custom_typeIiiEELj192ELj8ELj10EEvPKT0_PS4_: ; @_Z17sort_pairs_kernelI22helper_blocked_stripedN15benchmark_utils11custom_typeIiiEELj192ELj8ELj10EEvPKT0_PS4_
; %bb.0:
	s_load_dwordx4 s[36:39], s[4:5], 0x0
	s_load_dword s12, s[4:5], 0x1c
	s_mul_i32 s40, s6, 0x600
	s_mov_b32 s41, 0
	s_lshl_b64 s[34:35], s[40:41], 3
	s_waitcnt lgkmcnt(0)
	s_add_u32 s0, s36, s34
	s_addc_u32 s1, s37, s35
	v_lshlrev_b32_e32 v19, 6, v0
	global_load_dwordx4 v[3:6], v19, s[0:1]
	global_load_dwordx4 v[7:10], v19, s[0:1] offset:16
	global_load_dwordx4 v[11:14], v19, s[0:1] offset:32
	;; [unrolled: 1-line block ×3, first 2 shown]
	s_lshr_b32 s13, s12, 16
	s_and_b32 s12, s12, 0xffff
	v_mad_u32_u24 v1, v2, s13, v1
	v_and_b32_e32 v36, 0xc0, v0
	v_mad_u64_u32 v[1:2], s[12:13], v1, s12, v[0:1]
	v_mbcnt_lo_u32_b32 v19, -1, 0
	v_min_u32_e32 v2, 0x80, v36
	v_mbcnt_hi_u32_b32 v35, -1, v19
	v_or_b32_e32 v2, 63, v2
	s_movk_i32 s0, 0x600
	v_lshlrev_b32_e32 v67, 3, v0
	v_add_u32_e32 v19, v35, v36
	v_cmp_eq_u32_e64 s[12:13], v0, v2
	v_subrev_co_u32_e64 v2, s[18:19], 1, v35
	v_and_b32_e32 v36, 64, v35
	v_and_or_b32 v20, v67, s0, v35
	v_cmp_lt_i32_e32 vcc, v2, v36
	v_and_b32_e32 v21, 15, v35
	v_and_b32_e32 v22, 16, v35
	v_lshlrev_b32_e32 v23, 1, v19
	v_lshrrev_b32_e32 v24, 2, v20
	v_lshlrev_b32_e32 v25, 3, v20
	v_add_u32_e32 v26, 64, v20
	v_or_b32_e32 v27, 0x80, v20
	v_add_u32_e32 v28, 0xc0, v20
	v_or_b32_e32 v29, 0x100, v20
	v_add_u32_e32 v30, 0x140, v20
	v_or_b32_e32 v31, 0x180, v20
	v_add_u32_e32 v20, 0x1c0, v20
	v_cndmask_b32_e32 v2, v2, v35, vcc
	v_lshlrev_b32_e32 v68, 4, v0
	v_cmp_eq_u32_e64 s[2:3], 0, v21
	v_cmp_lt_u32_e64 s[4:5], 1, v21
	v_cmp_lt_u32_e64 s[6:7], 3, v21
	;; [unrolled: 1-line block ×3, first 2 shown]
	v_cmp_eq_u32_e64 s[10:11], 0, v22
	v_and_b32_e32 v21, 0x3f8, v23
	v_and_b32_e32 v22, 0x198, v24
	v_lshrrev_b32_e32 v23, 2, v26
	v_lshrrev_b32_e32 v24, 2, v27
	;; [unrolled: 1-line block ×7, first 2 shown]
	v_lshlrev_b32_e32 v78, 2, v2
	v_lshrrev_b32_e32 v2, 4, v0
	v_lshrrev_b32_e32 v1, 4, v1
	v_lshl_add_u32 v69, v19, 6, v21
	v_add_u32_e32 v70, v22, v25
	v_and_b32_e32 v19, 0x1b8, v23
	v_and_b32_e32 v21, 0x1b8, v24
	;; [unrolled: 1-line block ×8, first 2 shown]
	v_mad_i32_i24 v80, v0, -12, v68
	v_and_b32_e32 v2, 3, v35
	v_and_b32_e32 v82, 0xffffffc, v1
	v_lshlrev_b32_e32 v1, 2, v0
	v_cmp_lt_u32_e64 s[0:1], 31, v35
	v_add_u32_e32 v71, v19, v25
	v_add_u32_e32 v72, v21, v25
	v_add_u32_e32 v73, v22, v25
	v_add_u32_e32 v74, v23, v25
	v_add_u32_e32 v75, v24, v25
	v_add_u32_e32 v76, v26, v25
	v_add_u32_e32 v77, v20, v25
	v_cmp_gt_u32_e64 s[14:15], 3, v0
	v_cmp_lt_u32_e64 s[16:17], 63, v0
	v_cmp_eq_u32_e64 s[20:21], 0, v0
	v_cmp_eq_u32_e64 s[22:23], 0, v2
	s_waitcnt vmcnt(3)
	v_add_u32_e32 v20, 1, v4
	v_add_u32_e32 v19, 1, v3
	v_add_u32_e32 v22, 1, v6
	v_add_u32_e32 v21, 1, v5
	s_waitcnt vmcnt(2)
	v_add_u32_e32 v24, 1, v8
	v_add_u32_e32 v23, 1, v7
	v_add_u32_e32 v26, 1, v10
	v_add_u32_e32 v25, 1, v9
	s_waitcnt vmcnt(1)
	v_add_u32_e32 v28, 1, v12
	v_add_u32_e32 v27, 1, v11
	v_add_u32_e32 v30, 1, v14
	v_add_u32_e32 v29, 1, v13
	s_waitcnt vmcnt(0)
	v_add_u32_e32 v32, 1, v16
	v_add_u32_e32 v31, 1, v15
	v_add_u32_e32 v34, 1, v18
	v_add_u32_e32 v33, 1, v17
	v_cmp_lt_u32_e64 s[24:25], 1, v2
	v_add_u32_e32 v81, -4, v79
	v_mov_b32_e32 v0, 0
	v_add_u32_e32 v83, v80, v1
	s_branch .LBB359_2
.LBB359_1:                              ;   in Loop: Header=BB359_2 Depth=1
	v_lshlrev_b32_e32 v51, 3, v89
	s_barrier
	ds_write_b64 v51, v[32:33]
	v_lshlrev_b32_e32 v32, 3, v88
	ds_write_b64 v32, v[30:31]
	v_lshlrev_b32_e32 v30, 3, v87
	ds_write_b64 v30, v[28:29]
	v_lshlrev_b32_e32 v28, 3, v86
	ds_write_b64 v28, v[26:27]
	v_lshlrev_b32_e32 v26, 3, v85
	ds_write_b64 v26, v[24:25]
	v_lshlrev_b32_e32 v24, 3, v84
	ds_write_b64 v24, v[22:23]
	v_lshlrev_b32_e32 v22, 3, v34
	v_lshlrev_b32_e32 v1, 3, v1
	ds_write_b64 v22, v[20:21]
	ds_write_b64 v1, v[18:19]
	s_waitcnt lgkmcnt(0)
	s_barrier
	ds_read2st64_b64 v[35:38], v83 offset1:3
	ds_read2st64_b64 v[39:42], v83 offset0:6 offset1:9
	ds_read2st64_b64 v[43:46], v83 offset0:12 offset1:15
	;; [unrolled: 1-line block ×3, first 2 shown]
	s_waitcnt lgkmcnt(0)
	s_barrier
	ds_write_b64 v51, v[16:17]
	ds_write_b64 v32, v[14:15]
	;; [unrolled: 1-line block ×8, first 2 shown]
	s_waitcnt lgkmcnt(0)
	s_barrier
	ds_read2st64_b64 v[19:22], v83 offset1:3
	ds_read2st64_b64 v[23:26], v83 offset0:6 offset1:9
	ds_read2st64_b64 v[27:30], v83 offset0:12 offset1:15
	;; [unrolled: 1-line block ×3, first 2 shown]
	s_add_i32 s41, s41, 1
	v_xor_b32_e32 v3, 0x80000000, v35
	v_xor_b32_e32 v4, 0x80000000, v36
	;; [unrolled: 1-line block ×15, first 2 shown]
	s_cmp_lg_u32 s41, 10
	v_xor_b32_e32 v18, 0x80000000, v50
	s_cbranch_scc0 .LBB359_28
.LBB359_2:                              ; =>This Loop Header: Depth=1
                                        ;     Child Loop BB359_4 Depth 2
	v_xor_b32_e32 v2, 0x80000000, v4
	v_xor_b32_e32 v1, 0x80000000, v3
	;; [unrolled: 1-line block ×16, first 2 shown]
	ds_write2_b64 v69, v[1:2], v[3:4] offset1:1
	ds_write2_b64 v69, v[5:6], v[7:8] offset0:2 offset1:3
	ds_write2_b64 v69, v[9:10], v[11:12] offset0:4 offset1:5
	;; [unrolled: 1-line block ×3, first 2 shown]
	; wave barrier
	ds_read_b64 v[35:36], v70
	ds_read_b64 v[37:38], v71 offset:512
	ds_read_b64 v[39:40], v72 offset:1024
	ds_read_b64 v[41:42], v73 offset:1536
	ds_read_b64 v[43:44], v74 offset:2048
	ds_read_b64 v[45:46], v75 offset:2560
	ds_read_b64 v[47:48], v76 offset:3072
	ds_read_b64 v[49:50], v77 offset:3584
	; wave barrier
	s_waitcnt lgkmcnt(14)
	ds_write2_b64 v69, v[19:20], v[21:22] offset1:1
	ds_write2_b64 v69, v[23:24], v[25:26] offset0:2 offset1:3
	s_waitcnt lgkmcnt(14)
	ds_write2_b64 v69, v[27:28], v[29:30] offset0:4 offset1:5
	ds_write2_b64 v69, v[31:32], v[33:34] offset0:6 offset1:7
	; wave barrier
	ds_read_b64 v[51:52], v70
	ds_read_b64 v[53:54], v71 offset:512
	ds_read_b64 v[55:56], v72 offset:1024
	;; [unrolled: 1-line block ×7, first 2 shown]
	s_mov_b32 s33, 8
	s_mov_b32 s36, 32
	;; [unrolled: 1-line block ×3, first 2 shown]
	s_waitcnt lgkmcnt(0)
	s_barrier
	s_branch .LBB359_4
.LBB359_3:                              ;   in Loop: Header=BB359_4 Depth=2
	s_andn2_b64 vcc, exec, s[26:27]
	s_cbranch_vccz .LBB359_1
.LBB359_4:                              ;   Parent Loop BB359_2 Depth=1
                                        ; =>  This Inner Loop Header: Depth=2
	s_min_i32 s28, s33, 32
	s_cmp_lt_u32 s37, 32
	s_cselect_b64 s[26:27], -1, 0
	s_cmp_gt_u32 s37, 31
	s_cselect_b64 vcc, -1, 0
	s_sub_i32 s28, s28, 32
	s_add_i32 s29, s28, s36
	s_lshl_b32 s29, -1, s29
	s_not_b32 s29, s29
	s_cmp_lg_u32 s28, s37
	s_cselect_b32 s42, s29, -1
	s_max_i32 s40, s36, 0
	s_max_i32 s28, s37, 32
	s_sub_i32 s43, s28, 32
	s_sub_i32 s28, s28, s40
	;; [unrolled: 1-line block ×3, first 2 shown]
	s_min_i32 s28, s28, 32
	s_sub_i32 s28, s28, s43
	s_lshl_b32 s29, -1, s28
	s_not_b32 s29, s29
	v_mov_b32_e32 v32, v35
	s_cmp_lg_u32 s28, 32
	v_mov_b32_e32 v33, v36
	s_cselect_b32 s44, s29, -1
	v_lshrrev_b32_e32 v34, s43, v32
	v_lshrrev_b32_e32 v1, s37, v33
	v_and_b32_e32 v34, s44, v34
	v_and_b32_e32 v1, s42, v1
	v_lshlrev_b32_e32 v34, s40, v34
	v_cndmask_b32_e64 v1, 0, v1, s[26:27]
	v_cndmask_b32_e32 v34, 0, v34, vcc
	v_or_b32_e32 v34, v1, v34
	v_and_b32_e32 v1, 1, v34
	v_mov_b32_e32 v30, v37
	v_add_co_u32_e64 v35, s[28:29], -1, v1
	v_mov_b32_e32 v31, v38
	v_addc_co_u32_e64 v37, s[28:29], 0, -1, s[28:29]
	v_cmp_ne_u32_e64 s[28:29], 0, v1
	v_xor_b32_e32 v1, s29, v37
	v_and_b32_e32 v37, exec_hi, v1
	v_lshlrev_b32_e32 v1, 30, v34
	v_xor_b32_e32 v35, s28, v35
	v_cmp_gt_i64_e64 s[28:29], 0, v[0:1]
	v_not_b32_e32 v1, v1
	v_ashrrev_i32_e32 v1, 31, v1
	v_and_b32_e32 v35, exec_lo, v35
	v_xor_b32_e32 v38, s29, v1
	v_xor_b32_e32 v1, s28, v1
	v_and_b32_e32 v35, v35, v1
	v_lshlrev_b32_e32 v1, 29, v34
	v_cmp_gt_i64_e64 s[28:29], 0, v[0:1]
	v_not_b32_e32 v1, v1
	v_ashrrev_i32_e32 v1, 31, v1
	v_and_b32_e32 v37, v37, v38
	v_xor_b32_e32 v38, s29, v1
	v_xor_b32_e32 v1, s28, v1
	v_and_b32_e32 v35, v35, v1
	v_lshlrev_b32_e32 v1, 28, v34
	v_cmp_gt_i64_e64 s[28:29], 0, v[0:1]
	v_not_b32_e32 v1, v1
	v_ashrrev_i32_e32 v1, 31, v1
	v_and_b32_e32 v37, v37, v38
	;; [unrolled: 8-line block ×5, first 2 shown]
	v_xor_b32_e32 v38, s29, v1
	v_xor_b32_e32 v1, s28, v1
	v_and_b32_e32 v37, v37, v38
	v_and_b32_e32 v38, v35, v1
	v_lshlrev_b32_e32 v1, 24, v34
	v_cmp_gt_i64_e64 s[28:29], 0, v[0:1]
	v_not_b32_e32 v1, v1
	v_ashrrev_i32_e32 v1, 31, v1
	v_mul_lo_u32 v36, v34, 12
	v_xor_b32_e32 v34, s29, v1
	v_xor_b32_e32 v1, s28, v1
	v_and_b32_e32 v35, v37, v34
	v_and_b32_e32 v34, v38, v1
	v_mbcnt_lo_u32_b32 v1, v34, 0
	v_mbcnt_hi_u32_b32 v38, v35, v1
	v_cmp_ne_u64_e64 s[28:29], 0, v[34:35]
	v_mov_b32_e32 v16, v51
	v_mov_b32_e32 v14, v53
	;; [unrolled: 1-line block ×14, first 2 shown]
	v_cmp_eq_u32_e64 s[30:31], 0, v38
	v_mov_b32_e32 v17, v52
	v_mov_b32_e32 v15, v54
	;; [unrolled: 1-line block ×14, first 2 shown]
	s_and_b64 s[30:31], s[30:31], s[28:29]
	v_add_u32_e32 v39, v82, v36
	ds_write2_b32 v68, v0, v0 offset0:3 offset1:4
	ds_write2_b32 v68, v0, v0 offset0:5 offset1:6
	s_waitcnt lgkmcnt(0)
	s_barrier
	; wave barrier
	s_and_saveexec_b64 s[28:29], s[30:31]
; %bb.5:                                ;   in Loop: Header=BB359_4 Depth=2
	v_bcnt_u32_b32 v1, v34, 0
	v_bcnt_u32_b32 v1, v35, v1
	ds_write_b32 v39, v1 offset:12
; %bb.6:                                ;   in Loop: Header=BB359_4 Depth=2
	s_or_b64 exec, exec, s[28:29]
	v_lshrrev_b32_e32 v34, s43, v30
	v_lshrrev_b32_e32 v1, s37, v31
	v_and_b32_e32 v34, s44, v34
	v_and_b32_e32 v1, s42, v1
	v_lshlrev_b32_e32 v34, s40, v34
	v_cndmask_b32_e64 v1, 0, v1, s[26:27]
	v_cndmask_b32_e32 v34, 0, v34, vcc
	v_or_b32_e32 v34, v1, v34
	v_mul_lo_u32 v1, v34, 12
	; wave barrier
	v_add_u32_e32 v41, v82, v1
	v_and_b32_e32 v1, 1, v34
	v_add_co_u32_e64 v35, s[28:29], -1, v1
	v_addc_co_u32_e64 v36, s[28:29], 0, -1, s[28:29]
	v_cmp_ne_u32_e64 s[28:29], 0, v1
	v_xor_b32_e32 v1, s29, v36
	v_and_b32_e32 v36, exec_hi, v1
	v_lshlrev_b32_e32 v1, 30, v34
	v_xor_b32_e32 v35, s28, v35
	v_cmp_gt_i64_e64 s[28:29], 0, v[0:1]
	v_not_b32_e32 v1, v1
	v_ashrrev_i32_e32 v1, 31, v1
	v_and_b32_e32 v35, exec_lo, v35
	v_xor_b32_e32 v37, s29, v1
	v_xor_b32_e32 v1, s28, v1
	v_and_b32_e32 v35, v35, v1
	v_lshlrev_b32_e32 v1, 29, v34
	v_cmp_gt_i64_e64 s[28:29], 0, v[0:1]
	v_not_b32_e32 v1, v1
	v_ashrrev_i32_e32 v1, 31, v1
	v_and_b32_e32 v36, v36, v37
	v_xor_b32_e32 v37, s29, v1
	v_xor_b32_e32 v1, s28, v1
	v_and_b32_e32 v35, v35, v1
	v_lshlrev_b32_e32 v1, 28, v34
	v_cmp_gt_i64_e64 s[28:29], 0, v[0:1]
	v_not_b32_e32 v1, v1
	v_ashrrev_i32_e32 v1, 31, v1
	v_and_b32_e32 v36, v36, v37
	;; [unrolled: 8-line block ×5, first 2 shown]
	v_xor_b32_e32 v37, s29, v1
	v_xor_b32_e32 v1, s28, v1
	v_and_b32_e32 v36, v36, v37
	v_and_b32_e32 v37, v35, v1
	v_lshlrev_b32_e32 v1, 24, v34
	v_cmp_gt_i64_e64 s[28:29], 0, v[0:1]
	v_not_b32_e32 v1, v1
	v_ashrrev_i32_e32 v1, 31, v1
	v_xor_b32_e32 v34, s29, v1
	v_xor_b32_e32 v1, s28, v1
	ds_read_b32 v40, v41 offset:12
	v_and_b32_e32 v35, v36, v34
	v_and_b32_e32 v34, v37, v1
	v_mbcnt_lo_u32_b32 v1, v34, 0
	v_mbcnt_hi_u32_b32 v42, v35, v1
	v_cmp_ne_u64_e64 s[28:29], 0, v[34:35]
	v_cmp_eq_u32_e64 s[30:31], 0, v42
	s_and_b64 s[30:31], s[30:31], s[28:29]
	; wave barrier
	s_and_saveexec_b64 s[28:29], s[30:31]
	s_cbranch_execz .LBB359_8
; %bb.7:                                ;   in Loop: Header=BB359_4 Depth=2
	v_bcnt_u32_b32 v1, v34, 0
	v_bcnt_u32_b32 v1, v35, v1
	s_waitcnt lgkmcnt(0)
	v_add_u32_e32 v1, v40, v1
	ds_write_b32 v41, v1 offset:12
.LBB359_8:                              ;   in Loop: Header=BB359_4 Depth=2
	s_or_b64 exec, exec, s[28:29]
	v_lshrrev_b32_e32 v34, s43, v28
	v_lshrrev_b32_e32 v1, s37, v29
	v_and_b32_e32 v34, s44, v34
	v_and_b32_e32 v1, s42, v1
	v_lshlrev_b32_e32 v34, s40, v34
	v_cndmask_b32_e64 v1, 0, v1, s[26:27]
	v_cndmask_b32_e32 v34, 0, v34, vcc
	v_or_b32_e32 v34, v1, v34
	v_mul_lo_u32 v1, v34, 12
	; wave barrier
	v_add_u32_e32 v44, v82, v1
	v_and_b32_e32 v1, 1, v34
	v_add_co_u32_e64 v35, s[28:29], -1, v1
	v_addc_co_u32_e64 v36, s[28:29], 0, -1, s[28:29]
	v_cmp_ne_u32_e64 s[28:29], 0, v1
	v_xor_b32_e32 v1, s29, v36
	v_and_b32_e32 v36, exec_hi, v1
	v_lshlrev_b32_e32 v1, 30, v34
	v_xor_b32_e32 v35, s28, v35
	v_cmp_gt_i64_e64 s[28:29], 0, v[0:1]
	v_not_b32_e32 v1, v1
	v_ashrrev_i32_e32 v1, 31, v1
	v_and_b32_e32 v35, exec_lo, v35
	v_xor_b32_e32 v37, s29, v1
	v_xor_b32_e32 v1, s28, v1
	v_and_b32_e32 v35, v35, v1
	v_lshlrev_b32_e32 v1, 29, v34
	v_cmp_gt_i64_e64 s[28:29], 0, v[0:1]
	v_not_b32_e32 v1, v1
	v_ashrrev_i32_e32 v1, 31, v1
	v_and_b32_e32 v36, v36, v37
	v_xor_b32_e32 v37, s29, v1
	v_xor_b32_e32 v1, s28, v1
	v_and_b32_e32 v35, v35, v1
	v_lshlrev_b32_e32 v1, 28, v34
	v_cmp_gt_i64_e64 s[28:29], 0, v[0:1]
	v_not_b32_e32 v1, v1
	v_ashrrev_i32_e32 v1, 31, v1
	v_and_b32_e32 v36, v36, v37
	;; [unrolled: 8-line block ×5, first 2 shown]
	v_xor_b32_e32 v37, s29, v1
	v_xor_b32_e32 v1, s28, v1
	v_and_b32_e32 v36, v36, v37
	v_and_b32_e32 v37, v35, v1
	v_lshlrev_b32_e32 v1, 24, v34
	v_cmp_gt_i64_e64 s[28:29], 0, v[0:1]
	v_not_b32_e32 v1, v1
	v_ashrrev_i32_e32 v1, 31, v1
	v_xor_b32_e32 v34, s29, v1
	v_xor_b32_e32 v1, s28, v1
	ds_read_b32 v43, v44 offset:12
	v_and_b32_e32 v35, v36, v34
	v_and_b32_e32 v34, v37, v1
	v_mbcnt_lo_u32_b32 v1, v34, 0
	v_mbcnt_hi_u32_b32 v45, v35, v1
	v_cmp_ne_u64_e64 s[28:29], 0, v[34:35]
	v_cmp_eq_u32_e64 s[30:31], 0, v45
	s_and_b64 s[30:31], s[30:31], s[28:29]
	; wave barrier
	s_and_saveexec_b64 s[28:29], s[30:31]
	s_cbranch_execz .LBB359_10
; %bb.9:                                ;   in Loop: Header=BB359_4 Depth=2
	v_bcnt_u32_b32 v1, v34, 0
	v_bcnt_u32_b32 v1, v35, v1
	s_waitcnt lgkmcnt(0)
	v_add_u32_e32 v1, v43, v1
	ds_write_b32 v44, v1 offset:12
.LBB359_10:                             ;   in Loop: Header=BB359_4 Depth=2
	s_or_b64 exec, exec, s[28:29]
	v_lshrrev_b32_e32 v34, s43, v26
	v_lshrrev_b32_e32 v1, s37, v27
	v_and_b32_e32 v34, s44, v34
	v_and_b32_e32 v1, s42, v1
	v_lshlrev_b32_e32 v34, s40, v34
	v_cndmask_b32_e64 v1, 0, v1, s[26:27]
	v_cndmask_b32_e32 v34, 0, v34, vcc
	v_or_b32_e32 v34, v1, v34
	v_mul_lo_u32 v1, v34, 12
	; wave barrier
	v_add_u32_e32 v47, v82, v1
	v_and_b32_e32 v1, 1, v34
	v_add_co_u32_e64 v35, s[28:29], -1, v1
	v_addc_co_u32_e64 v36, s[28:29], 0, -1, s[28:29]
	v_cmp_ne_u32_e64 s[28:29], 0, v1
	v_xor_b32_e32 v1, s29, v36
	v_and_b32_e32 v36, exec_hi, v1
	v_lshlrev_b32_e32 v1, 30, v34
	v_xor_b32_e32 v35, s28, v35
	v_cmp_gt_i64_e64 s[28:29], 0, v[0:1]
	v_not_b32_e32 v1, v1
	v_ashrrev_i32_e32 v1, 31, v1
	v_and_b32_e32 v35, exec_lo, v35
	v_xor_b32_e32 v37, s29, v1
	v_xor_b32_e32 v1, s28, v1
	v_and_b32_e32 v35, v35, v1
	v_lshlrev_b32_e32 v1, 29, v34
	v_cmp_gt_i64_e64 s[28:29], 0, v[0:1]
	v_not_b32_e32 v1, v1
	v_ashrrev_i32_e32 v1, 31, v1
	v_and_b32_e32 v36, v36, v37
	v_xor_b32_e32 v37, s29, v1
	v_xor_b32_e32 v1, s28, v1
	v_and_b32_e32 v35, v35, v1
	v_lshlrev_b32_e32 v1, 28, v34
	v_cmp_gt_i64_e64 s[28:29], 0, v[0:1]
	v_not_b32_e32 v1, v1
	v_ashrrev_i32_e32 v1, 31, v1
	v_and_b32_e32 v36, v36, v37
	;; [unrolled: 8-line block ×5, first 2 shown]
	v_xor_b32_e32 v37, s29, v1
	v_xor_b32_e32 v1, s28, v1
	v_and_b32_e32 v36, v36, v37
	v_and_b32_e32 v37, v35, v1
	v_lshlrev_b32_e32 v1, 24, v34
	v_cmp_gt_i64_e64 s[28:29], 0, v[0:1]
	v_not_b32_e32 v1, v1
	v_ashrrev_i32_e32 v1, 31, v1
	v_xor_b32_e32 v34, s29, v1
	v_xor_b32_e32 v1, s28, v1
	ds_read_b32 v46, v47 offset:12
	v_and_b32_e32 v35, v36, v34
	v_and_b32_e32 v34, v37, v1
	v_mbcnt_lo_u32_b32 v1, v34, 0
	v_mbcnt_hi_u32_b32 v48, v35, v1
	v_cmp_ne_u64_e64 s[28:29], 0, v[34:35]
	v_cmp_eq_u32_e64 s[30:31], 0, v48
	s_and_b64 s[30:31], s[30:31], s[28:29]
	; wave barrier
	s_and_saveexec_b64 s[28:29], s[30:31]
	s_cbranch_execz .LBB359_12
; %bb.11:                               ;   in Loop: Header=BB359_4 Depth=2
	v_bcnt_u32_b32 v1, v34, 0
	v_bcnt_u32_b32 v1, v35, v1
	s_waitcnt lgkmcnt(0)
	v_add_u32_e32 v1, v46, v1
	ds_write_b32 v47, v1 offset:12
.LBB359_12:                             ;   in Loop: Header=BB359_4 Depth=2
	s_or_b64 exec, exec, s[28:29]
	v_lshrrev_b32_e32 v34, s43, v24
	v_lshrrev_b32_e32 v1, s37, v25
	v_and_b32_e32 v34, s44, v34
	v_and_b32_e32 v1, s42, v1
	v_lshlrev_b32_e32 v34, s40, v34
	v_cndmask_b32_e64 v1, 0, v1, s[26:27]
	v_cndmask_b32_e32 v34, 0, v34, vcc
	v_or_b32_e32 v34, v1, v34
	v_mul_lo_u32 v1, v34, 12
	; wave barrier
	v_add_u32_e32 v50, v82, v1
	v_and_b32_e32 v1, 1, v34
	v_add_co_u32_e64 v35, s[28:29], -1, v1
	v_addc_co_u32_e64 v36, s[28:29], 0, -1, s[28:29]
	v_cmp_ne_u32_e64 s[28:29], 0, v1
	v_xor_b32_e32 v1, s29, v36
	v_and_b32_e32 v36, exec_hi, v1
	v_lshlrev_b32_e32 v1, 30, v34
	v_xor_b32_e32 v35, s28, v35
	v_cmp_gt_i64_e64 s[28:29], 0, v[0:1]
	v_not_b32_e32 v1, v1
	v_ashrrev_i32_e32 v1, 31, v1
	v_and_b32_e32 v35, exec_lo, v35
	v_xor_b32_e32 v37, s29, v1
	v_xor_b32_e32 v1, s28, v1
	v_and_b32_e32 v35, v35, v1
	v_lshlrev_b32_e32 v1, 29, v34
	v_cmp_gt_i64_e64 s[28:29], 0, v[0:1]
	v_not_b32_e32 v1, v1
	v_ashrrev_i32_e32 v1, 31, v1
	v_and_b32_e32 v36, v36, v37
	v_xor_b32_e32 v37, s29, v1
	v_xor_b32_e32 v1, s28, v1
	v_and_b32_e32 v35, v35, v1
	v_lshlrev_b32_e32 v1, 28, v34
	v_cmp_gt_i64_e64 s[28:29], 0, v[0:1]
	v_not_b32_e32 v1, v1
	v_ashrrev_i32_e32 v1, 31, v1
	v_and_b32_e32 v36, v36, v37
	;; [unrolled: 8-line block ×5, first 2 shown]
	v_xor_b32_e32 v37, s29, v1
	v_xor_b32_e32 v1, s28, v1
	v_and_b32_e32 v36, v36, v37
	v_and_b32_e32 v37, v35, v1
	v_lshlrev_b32_e32 v1, 24, v34
	v_cmp_gt_i64_e64 s[28:29], 0, v[0:1]
	v_not_b32_e32 v1, v1
	v_ashrrev_i32_e32 v1, 31, v1
	v_xor_b32_e32 v34, s29, v1
	v_xor_b32_e32 v1, s28, v1
	ds_read_b32 v49, v50 offset:12
	v_and_b32_e32 v35, v36, v34
	v_and_b32_e32 v34, v37, v1
	v_mbcnt_lo_u32_b32 v1, v34, 0
	v_mbcnt_hi_u32_b32 v51, v35, v1
	v_cmp_ne_u64_e64 s[28:29], 0, v[34:35]
	v_cmp_eq_u32_e64 s[30:31], 0, v51
	s_and_b64 s[30:31], s[30:31], s[28:29]
	; wave barrier
	s_and_saveexec_b64 s[28:29], s[30:31]
	s_cbranch_execz .LBB359_14
; %bb.13:                               ;   in Loop: Header=BB359_4 Depth=2
	v_bcnt_u32_b32 v1, v34, 0
	v_bcnt_u32_b32 v1, v35, v1
	s_waitcnt lgkmcnt(0)
	v_add_u32_e32 v1, v49, v1
	ds_write_b32 v50, v1 offset:12
.LBB359_14:                             ;   in Loop: Header=BB359_4 Depth=2
	s_or_b64 exec, exec, s[28:29]
	v_lshrrev_b32_e32 v34, s43, v22
	v_lshrrev_b32_e32 v1, s37, v23
	v_and_b32_e32 v34, s44, v34
	v_and_b32_e32 v1, s42, v1
	v_lshlrev_b32_e32 v34, s40, v34
	v_cndmask_b32_e64 v1, 0, v1, s[26:27]
	v_cndmask_b32_e32 v34, 0, v34, vcc
	v_or_b32_e32 v34, v1, v34
	v_mul_lo_u32 v1, v34, 12
	; wave barrier
	v_add_u32_e32 v53, v82, v1
	v_and_b32_e32 v1, 1, v34
	v_add_co_u32_e64 v35, s[28:29], -1, v1
	v_addc_co_u32_e64 v36, s[28:29], 0, -1, s[28:29]
	v_cmp_ne_u32_e64 s[28:29], 0, v1
	v_xor_b32_e32 v1, s29, v36
	v_and_b32_e32 v36, exec_hi, v1
	v_lshlrev_b32_e32 v1, 30, v34
	v_xor_b32_e32 v35, s28, v35
	v_cmp_gt_i64_e64 s[28:29], 0, v[0:1]
	v_not_b32_e32 v1, v1
	v_ashrrev_i32_e32 v1, 31, v1
	v_and_b32_e32 v35, exec_lo, v35
	v_xor_b32_e32 v37, s29, v1
	v_xor_b32_e32 v1, s28, v1
	v_and_b32_e32 v35, v35, v1
	v_lshlrev_b32_e32 v1, 29, v34
	v_cmp_gt_i64_e64 s[28:29], 0, v[0:1]
	v_not_b32_e32 v1, v1
	v_ashrrev_i32_e32 v1, 31, v1
	v_and_b32_e32 v36, v36, v37
	v_xor_b32_e32 v37, s29, v1
	v_xor_b32_e32 v1, s28, v1
	v_and_b32_e32 v35, v35, v1
	v_lshlrev_b32_e32 v1, 28, v34
	v_cmp_gt_i64_e64 s[28:29], 0, v[0:1]
	v_not_b32_e32 v1, v1
	v_ashrrev_i32_e32 v1, 31, v1
	v_and_b32_e32 v36, v36, v37
	;; [unrolled: 8-line block ×5, first 2 shown]
	v_xor_b32_e32 v37, s29, v1
	v_xor_b32_e32 v1, s28, v1
	v_and_b32_e32 v36, v36, v37
	v_and_b32_e32 v37, v35, v1
	v_lshlrev_b32_e32 v1, 24, v34
	v_cmp_gt_i64_e64 s[28:29], 0, v[0:1]
	v_not_b32_e32 v1, v1
	v_ashrrev_i32_e32 v1, 31, v1
	v_xor_b32_e32 v34, s29, v1
	v_xor_b32_e32 v1, s28, v1
	ds_read_b32 v52, v53 offset:12
	v_and_b32_e32 v35, v36, v34
	v_and_b32_e32 v34, v37, v1
	v_mbcnt_lo_u32_b32 v1, v34, 0
	v_mbcnt_hi_u32_b32 v54, v35, v1
	v_cmp_ne_u64_e64 s[28:29], 0, v[34:35]
	v_cmp_eq_u32_e64 s[30:31], 0, v54
	s_and_b64 s[30:31], s[30:31], s[28:29]
	; wave barrier
	s_and_saveexec_b64 s[28:29], s[30:31]
	s_cbranch_execz .LBB359_16
; %bb.15:                               ;   in Loop: Header=BB359_4 Depth=2
	v_bcnt_u32_b32 v1, v34, 0
	v_bcnt_u32_b32 v1, v35, v1
	s_waitcnt lgkmcnt(0)
	v_add_u32_e32 v1, v52, v1
	ds_write_b32 v53, v1 offset:12
.LBB359_16:                             ;   in Loop: Header=BB359_4 Depth=2
	s_or_b64 exec, exec, s[28:29]
	v_lshrrev_b32_e32 v34, s43, v20
	v_lshrrev_b32_e32 v1, s37, v21
	v_and_b32_e32 v34, s44, v34
	v_and_b32_e32 v1, s42, v1
	v_lshlrev_b32_e32 v34, s40, v34
	v_cndmask_b32_e64 v1, 0, v1, s[26:27]
	v_cndmask_b32_e32 v34, 0, v34, vcc
	v_or_b32_e32 v34, v1, v34
	v_mul_lo_u32 v1, v34, 12
	; wave barrier
	v_add_u32_e32 v56, v82, v1
	v_and_b32_e32 v1, 1, v34
	v_add_co_u32_e64 v35, s[28:29], -1, v1
	v_addc_co_u32_e64 v36, s[28:29], 0, -1, s[28:29]
	v_cmp_ne_u32_e64 s[28:29], 0, v1
	v_xor_b32_e32 v1, s29, v36
	v_and_b32_e32 v36, exec_hi, v1
	v_lshlrev_b32_e32 v1, 30, v34
	v_xor_b32_e32 v35, s28, v35
	v_cmp_gt_i64_e64 s[28:29], 0, v[0:1]
	v_not_b32_e32 v1, v1
	v_ashrrev_i32_e32 v1, 31, v1
	v_and_b32_e32 v35, exec_lo, v35
	v_xor_b32_e32 v37, s29, v1
	v_xor_b32_e32 v1, s28, v1
	v_and_b32_e32 v35, v35, v1
	v_lshlrev_b32_e32 v1, 29, v34
	v_cmp_gt_i64_e64 s[28:29], 0, v[0:1]
	v_not_b32_e32 v1, v1
	v_ashrrev_i32_e32 v1, 31, v1
	v_and_b32_e32 v36, v36, v37
	v_xor_b32_e32 v37, s29, v1
	v_xor_b32_e32 v1, s28, v1
	v_and_b32_e32 v35, v35, v1
	v_lshlrev_b32_e32 v1, 28, v34
	v_cmp_gt_i64_e64 s[28:29], 0, v[0:1]
	v_not_b32_e32 v1, v1
	v_ashrrev_i32_e32 v1, 31, v1
	v_and_b32_e32 v36, v36, v37
	;; [unrolled: 8-line block ×5, first 2 shown]
	v_xor_b32_e32 v37, s29, v1
	v_xor_b32_e32 v1, s28, v1
	v_and_b32_e32 v36, v36, v37
	v_and_b32_e32 v37, v35, v1
	v_lshlrev_b32_e32 v1, 24, v34
	v_cmp_gt_i64_e64 s[28:29], 0, v[0:1]
	v_not_b32_e32 v1, v1
	v_ashrrev_i32_e32 v1, 31, v1
	v_xor_b32_e32 v34, s29, v1
	v_xor_b32_e32 v1, s28, v1
	ds_read_b32 v55, v56 offset:12
	v_and_b32_e32 v35, v36, v34
	v_and_b32_e32 v34, v37, v1
	v_mbcnt_lo_u32_b32 v1, v34, 0
	v_mbcnt_hi_u32_b32 v57, v35, v1
	v_cmp_ne_u64_e64 s[28:29], 0, v[34:35]
	v_cmp_eq_u32_e64 s[30:31], 0, v57
	s_and_b64 s[30:31], s[30:31], s[28:29]
	; wave barrier
	s_and_saveexec_b64 s[28:29], s[30:31]
	s_cbranch_execz .LBB359_18
; %bb.17:                               ;   in Loop: Header=BB359_4 Depth=2
	v_bcnt_u32_b32 v1, v34, 0
	v_bcnt_u32_b32 v1, v35, v1
	s_waitcnt lgkmcnt(0)
	v_add_u32_e32 v1, v55, v1
	ds_write_b32 v56, v1 offset:12
.LBB359_18:                             ;   in Loop: Header=BB359_4 Depth=2
	s_or_b64 exec, exec, s[28:29]
	v_lshrrev_b32_e32 v34, s43, v18
	v_lshrrev_b32_e32 v1, s37, v19
	v_and_b32_e32 v34, s44, v34
	v_and_b32_e32 v1, s42, v1
	v_lshlrev_b32_e32 v34, s40, v34
	v_cndmask_b32_e64 v1, 0, v1, s[26:27]
	v_cndmask_b32_e32 v34, 0, v34, vcc
	v_or_b32_e32 v34, v1, v34
	v_mul_lo_u32 v1, v34, 12
	; wave barrier
	v_add_u32_e32 v59, v82, v1
	v_and_b32_e32 v1, 1, v34
	v_add_co_u32_e32 v35, vcc, -1, v1
	v_addc_co_u32_e64 v36, s[26:27], 0, -1, vcc
	v_cmp_ne_u32_e32 vcc, 0, v1
	v_xor_b32_e32 v1, vcc_hi, v36
	v_and_b32_e32 v36, exec_hi, v1
	v_lshlrev_b32_e32 v1, 30, v34
	v_xor_b32_e32 v35, vcc_lo, v35
	v_cmp_gt_i64_e32 vcc, 0, v[0:1]
	v_not_b32_e32 v1, v1
	v_ashrrev_i32_e32 v1, 31, v1
	v_and_b32_e32 v35, exec_lo, v35
	v_xor_b32_e32 v37, vcc_hi, v1
	v_xor_b32_e32 v1, vcc_lo, v1
	v_and_b32_e32 v35, v35, v1
	v_lshlrev_b32_e32 v1, 29, v34
	v_cmp_gt_i64_e32 vcc, 0, v[0:1]
	v_not_b32_e32 v1, v1
	v_ashrrev_i32_e32 v1, 31, v1
	v_and_b32_e32 v36, v36, v37
	v_xor_b32_e32 v37, vcc_hi, v1
	v_xor_b32_e32 v1, vcc_lo, v1
	v_and_b32_e32 v35, v35, v1
	v_lshlrev_b32_e32 v1, 28, v34
	v_cmp_gt_i64_e32 vcc, 0, v[0:1]
	v_not_b32_e32 v1, v1
	v_ashrrev_i32_e32 v1, 31, v1
	v_and_b32_e32 v36, v36, v37
	;; [unrolled: 8-line block ×5, first 2 shown]
	v_xor_b32_e32 v37, vcc_hi, v1
	v_xor_b32_e32 v1, vcc_lo, v1
	v_and_b32_e32 v36, v36, v37
	v_and_b32_e32 v37, v35, v1
	v_lshlrev_b32_e32 v1, 24, v34
	v_cmp_gt_i64_e32 vcc, 0, v[0:1]
	v_not_b32_e32 v1, v1
	v_ashrrev_i32_e32 v1, 31, v1
	v_xor_b32_e32 v34, vcc_hi, v1
	v_xor_b32_e32 v1, vcc_lo, v1
	ds_read_b32 v58, v59 offset:12
	v_and_b32_e32 v35, v36, v34
	v_and_b32_e32 v34, v37, v1
	v_mbcnt_lo_u32_b32 v1, v34, 0
	v_mbcnt_hi_u32_b32 v1, v35, v1
	v_cmp_ne_u64_e32 vcc, 0, v[34:35]
	v_cmp_eq_u32_e64 s[26:27], 0, v1
	s_and_b64 s[28:29], s[26:27], vcc
	; wave barrier
	s_and_saveexec_b64 s[26:27], s[28:29]
	s_cbranch_execz .LBB359_20
; %bb.19:                               ;   in Loop: Header=BB359_4 Depth=2
	v_bcnt_u32_b32 v34, v34, 0
	v_bcnt_u32_b32 v34, v35, v34
	s_waitcnt lgkmcnt(0)
	v_add_u32_e32 v34, v58, v34
	ds_write_b32 v59, v34 offset:12
.LBB359_20:                             ;   in Loop: Header=BB359_4 Depth=2
	s_or_b64 exec, exec, s[26:27]
	; wave barrier
	s_waitcnt lgkmcnt(0)
	s_barrier
	ds_read2_b32 v[36:37], v68 offset0:3 offset1:4
	ds_read2_b32 v[34:35], v68 offset0:5 offset1:6
	s_waitcnt lgkmcnt(1)
	v_add_u32_e32 v60, v37, v36
	s_waitcnt lgkmcnt(0)
	v_add3_u32 v35, v60, v34, v35
	s_nop 1
	v_mov_b32_dpp v60, v35 row_shr:1 row_mask:0xf bank_mask:0xf
	v_cndmask_b32_e64 v60, v60, 0, s[2:3]
	v_add_u32_e32 v35, v60, v35
	s_nop 1
	v_mov_b32_dpp v60, v35 row_shr:2 row_mask:0xf bank_mask:0xf
	v_cndmask_b32_e64 v60, 0, v60, s[4:5]
	v_add_u32_e32 v35, v35, v60
	;; [unrolled: 4-line block ×4, first 2 shown]
	s_nop 1
	v_mov_b32_dpp v60, v35 row_bcast:15 row_mask:0xf bank_mask:0xf
	v_cndmask_b32_e64 v60, v60, 0, s[10:11]
	v_add_u32_e32 v35, v35, v60
	s_nop 1
	v_mov_b32_dpp v60, v35 row_bcast:31 row_mask:0xf bank_mask:0xf
	v_cndmask_b32_e64 v60, 0, v60, s[0:1]
	v_add_u32_e32 v35, v35, v60
	s_and_saveexec_b64 s[26:27], s[12:13]
; %bb.21:                               ;   in Loop: Header=BB359_4 Depth=2
	ds_write_b32 v79, v35
; %bb.22:                               ;   in Loop: Header=BB359_4 Depth=2
	s_or_b64 exec, exec, s[26:27]
	s_waitcnt lgkmcnt(0)
	s_barrier
	s_and_saveexec_b64 s[26:27], s[14:15]
	s_cbranch_execz .LBB359_24
; %bb.23:                               ;   in Loop: Header=BB359_4 Depth=2
	ds_read_b32 v60, v80
	s_waitcnt lgkmcnt(0)
	s_nop 0
	v_mov_b32_dpp v61, v60 row_shr:1 row_mask:0xf bank_mask:0xf
	v_cndmask_b32_e64 v61, v61, 0, s[22:23]
	v_add_u32_e32 v60, v61, v60
	s_nop 1
	v_mov_b32_dpp v61, v60 row_shr:2 row_mask:0xf bank_mask:0xf
	v_cndmask_b32_e64 v61, 0, v61, s[24:25]
	v_add_u32_e32 v60, v60, v61
	ds_write_b32 v80, v60
.LBB359_24:                             ;   in Loop: Header=BB359_4 Depth=2
	s_or_b64 exec, exec, s[26:27]
	v_mov_b32_e32 v60, 0
	s_waitcnt lgkmcnt(0)
	s_barrier
	s_and_saveexec_b64 s[26:27], s[16:17]
; %bb.25:                               ;   in Loop: Header=BB359_4 Depth=2
	ds_read_b32 v60, v81
; %bb.26:                               ;   in Loop: Header=BB359_4 Depth=2
	s_or_b64 exec, exec, s[26:27]
	s_waitcnt lgkmcnt(0)
	v_add_u32_e32 v35, v60, v35
	ds_bpermute_b32 v35, v78, v35
	s_cmp_gt_u32 s37, 55
	s_mov_b64 s[26:27], -1
                                        ; implicit-def: $vgpr61_vgpr62
                                        ; implicit-def: $vgpr63_vgpr64
                                        ; implicit-def: $vgpr65_vgpr66
	s_waitcnt lgkmcnt(0)
	v_cndmask_b32_e64 v35, v35, v60, s[18:19]
	v_cndmask_b32_e64 v35, v35, 0, s[20:21]
	v_add_u32_e32 v36, v35, v36
	v_add_u32_e32 v37, v36, v37
	v_add_u32_e32 v34, v37, v34
	ds_write2_b32 v68, v35, v36 offset0:3 offset1:4
	ds_write2_b32 v68, v37, v34 offset0:5 offset1:6
	s_waitcnt lgkmcnt(0)
	s_barrier
	ds_read_b32 v34, v39 offset:12
	ds_read_b32 v35, v41 offset:12
	;; [unrolled: 1-line block ×8, first 2 shown]
	s_waitcnt lgkmcnt(7)
	v_add_u32_e32 v89, v34, v38
	s_waitcnt lgkmcnt(6)
	v_add3_u32 v88, v42, v40, v35
	s_waitcnt lgkmcnt(5)
	v_add3_u32 v87, v45, v43, v36
	;; [unrolled: 2-line block ×7, first 2 shown]
                                        ; implicit-def: $vgpr51_vgpr52
                                        ; implicit-def: $vgpr53_vgpr54
                                        ; implicit-def: $vgpr55_vgpr56
                                        ; implicit-def: $vgpr57_vgpr58
                                        ; implicit-def: $vgpr59_vgpr60
                                        ; implicit-def: $vgpr35_vgpr36
                                        ; implicit-def: $vgpr37_vgpr38
                                        ; implicit-def: $vgpr39_vgpr40
                                        ; implicit-def: $vgpr41_vgpr42
                                        ; implicit-def: $vgpr43_vgpr44
                                        ; implicit-def: $vgpr45_vgpr46
                                        ; implicit-def: $vgpr47_vgpr48
                                        ; implicit-def: $vgpr49_vgpr50
	s_cbranch_scc1 .LBB359_3
; %bb.27:                               ;   in Loop: Header=BB359_4 Depth=2
	v_lshrrev_b32_e32 v35, 2, v89
	v_and_b32_e32 v35, 0x3ffffff8, v35
	v_lshl_add_u32 v51, v89, 3, v35
	v_lshrrev_b32_e32 v35, 2, v88
	v_and_b32_e32 v35, 0x3ffffff8, v35
	v_lshl_add_u32 v52, v88, 3, v35
	v_lshrrev_b32_e32 v35, 2, v87
	v_and_b32_e32 v35, 0x3ffffff8, v35
	v_lshl_add_u32 v53, v87, 3, v35
	v_lshrrev_b32_e32 v35, 2, v86
	v_and_b32_e32 v35, 0x3ffffff8, v35
	v_lshl_add_u32 v54, v86, 3, v35
	v_lshrrev_b32_e32 v35, 2, v85
	v_and_b32_e32 v35, 0x3ffffff8, v35
	v_lshl_add_u32 v55, v85, 3, v35
	v_lshrrev_b32_e32 v35, 2, v84
	v_and_b32_e32 v35, 0x3ffffff8, v35
	v_lshl_add_u32 v56, v84, 3, v35
	v_lshrrev_b32_e32 v35, 2, v34
	v_and_b32_e32 v35, 0x3ffffff8, v35
	v_lshl_add_u32 v57, v34, 3, v35
	v_lshrrev_b32_e32 v35, 2, v1
	v_and_b32_e32 v35, 0x3ffffff8, v35
	v_lshl_add_u32 v58, v1, 3, v35
	s_barrier
	ds_write_b64 v51, v[32:33]
	ds_write_b64 v52, v[30:31]
	;; [unrolled: 1-line block ×8, first 2 shown]
	s_waitcnt lgkmcnt(0)
	s_barrier
	ds_read_b64 v[35:36], v70
	ds_read_b64 v[37:38], v71 offset:512
	ds_read_b64 v[39:40], v72 offset:1024
	;; [unrolled: 1-line block ×7, first 2 shown]
	s_waitcnt lgkmcnt(0)
	s_barrier
	ds_write_b64 v51, v[16:17]
	ds_write_b64 v52, v[14:15]
	;; [unrolled: 1-line block ×8, first 2 shown]
	s_waitcnt lgkmcnt(0)
	s_barrier
	ds_read_b64 v[51:52], v70
	ds_read_b64 v[53:54], v71 offset:512
	ds_read_b64 v[55:56], v72 offset:1024
	;; [unrolled: 1-line block ×7, first 2 shown]
	s_add_i32 s36, s36, -8
	s_add_i32 s33, s33, 8
	s_add_i32 s37, s37, 8
	s_mov_b64 s[26:27], 0
	s_waitcnt lgkmcnt(0)
	s_barrier
	s_branch .LBB359_3
.LBB359_28:
	s_add_u32 s0, s38, s34
	s_addc_u32 s1, s39, s35
	s_waitcnt lgkmcnt(3)
	v_add_u32_e32 v0, v3, v19
	v_add_u32_e32 v1, v4, v20
	v_add_u32_e32 v2, v5, v21
	s_waitcnt lgkmcnt(2)
	v_add_u32_e32 v4, v7, v23
	v_add_u32_e32 v5, v8, v24
	v_add_u32_e32 v7, v10, v26
	;; [unrolled: 4-line block ×3, first 2 shown]
	s_waitcnt lgkmcnt(0)
	v_add_u32_e32 v13, v16, v32
	v_add_u32_e32 v14, v17, v33
	v_mov_b32_e32 v16, s1
	v_add_co_u32_e32 v17, vcc, s0, v67
	v_add_u32_e32 v3, v6, v22
	v_addc_co_u32_e32 v16, vcc, 0, v16, vcc
	global_store_dwordx2 v67, v[0:1], s[0:1]
	global_store_dwordx2 v67, v[2:3], s[0:1] offset:1536
	global_store_dwordx2 v67, v[4:5], s[0:1] offset:3072
	s_movk_i32 s0, 0x1000
	v_add_co_u32_e32 v0, vcc, s0, v17
	v_add_u32_e32 v6, v9, v25
	v_addc_co_u32_e32 v1, vcc, 0, v16, vcc
	v_add_u32_e32 v9, v12, v28
	global_store_dwordx2 v[0:1], v[6:7], off offset:512
	global_store_dwordx2 v[0:1], v[8:9], off offset:2048
	;; [unrolled: 1-line block ×3, first 2 shown]
	v_add_co_u32_e32 v0, vcc, 0x2000, v17
	v_add_u32_e32 v12, v15, v31
	v_addc_co_u32_e32 v1, vcc, 0, v16, vcc
	v_add_u32_e32 v15, v18, v34
	global_store_dwordx2 v[0:1], v[12:13], off offset:1024
	global_store_dwordx2 v[0:1], v[14:15], off offset:2560
	s_endpgm
	.section	.rodata,"a",@progbits
	.p2align	6, 0x0
	.amdhsa_kernel _Z17sort_pairs_kernelI22helper_blocked_stripedN15benchmark_utils11custom_typeIiiEELj192ELj8ELj10EEvPKT0_PS4_
		.amdhsa_group_segment_fixed_size 12672
		.amdhsa_private_segment_fixed_size 0
		.amdhsa_kernarg_size 272
		.amdhsa_user_sgpr_count 6
		.amdhsa_user_sgpr_private_segment_buffer 1
		.amdhsa_user_sgpr_dispatch_ptr 0
		.amdhsa_user_sgpr_queue_ptr 0
		.amdhsa_user_sgpr_kernarg_segment_ptr 1
		.amdhsa_user_sgpr_dispatch_id 0
		.amdhsa_user_sgpr_flat_scratch_init 0
		.amdhsa_user_sgpr_private_segment_size 0
		.amdhsa_uses_dynamic_stack 0
		.amdhsa_system_sgpr_private_segment_wavefront_offset 0
		.amdhsa_system_sgpr_workgroup_id_x 1
		.amdhsa_system_sgpr_workgroup_id_y 0
		.amdhsa_system_sgpr_workgroup_id_z 0
		.amdhsa_system_sgpr_workgroup_info 0
		.amdhsa_system_vgpr_workitem_id 2
		.amdhsa_next_free_vgpr 90
		.amdhsa_next_free_sgpr 98
		.amdhsa_reserve_vcc 1
		.amdhsa_reserve_flat_scratch 0
		.amdhsa_float_round_mode_32 0
		.amdhsa_float_round_mode_16_64 0
		.amdhsa_float_denorm_mode_32 3
		.amdhsa_float_denorm_mode_16_64 3
		.amdhsa_dx10_clamp 1
		.amdhsa_ieee_mode 1
		.amdhsa_fp16_overflow 0
		.amdhsa_exception_fp_ieee_invalid_op 0
		.amdhsa_exception_fp_denorm_src 0
		.amdhsa_exception_fp_ieee_div_zero 0
		.amdhsa_exception_fp_ieee_overflow 0
		.amdhsa_exception_fp_ieee_underflow 0
		.amdhsa_exception_fp_ieee_inexact 0
		.amdhsa_exception_int_div_zero 0
	.end_amdhsa_kernel
	.section	.text._Z17sort_pairs_kernelI22helper_blocked_stripedN15benchmark_utils11custom_typeIiiEELj192ELj8ELj10EEvPKT0_PS4_,"axG",@progbits,_Z17sort_pairs_kernelI22helper_blocked_stripedN15benchmark_utils11custom_typeIiiEELj192ELj8ELj10EEvPKT0_PS4_,comdat
.Lfunc_end359:
	.size	_Z17sort_pairs_kernelI22helper_blocked_stripedN15benchmark_utils11custom_typeIiiEELj192ELj8ELj10EEvPKT0_PS4_, .Lfunc_end359-_Z17sort_pairs_kernelI22helper_blocked_stripedN15benchmark_utils11custom_typeIiiEELj192ELj8ELj10EEvPKT0_PS4_
                                        ; -- End function
	.set _Z17sort_pairs_kernelI22helper_blocked_stripedN15benchmark_utils11custom_typeIiiEELj192ELj8ELj10EEvPKT0_PS4_.num_vgpr, 90
	.set _Z17sort_pairs_kernelI22helper_blocked_stripedN15benchmark_utils11custom_typeIiiEELj192ELj8ELj10EEvPKT0_PS4_.num_agpr, 0
	.set _Z17sort_pairs_kernelI22helper_blocked_stripedN15benchmark_utils11custom_typeIiiEELj192ELj8ELj10EEvPKT0_PS4_.numbered_sgpr, 45
	.set _Z17sort_pairs_kernelI22helper_blocked_stripedN15benchmark_utils11custom_typeIiiEELj192ELj8ELj10EEvPKT0_PS4_.num_named_barrier, 0
	.set _Z17sort_pairs_kernelI22helper_blocked_stripedN15benchmark_utils11custom_typeIiiEELj192ELj8ELj10EEvPKT0_PS4_.private_seg_size, 0
	.set _Z17sort_pairs_kernelI22helper_blocked_stripedN15benchmark_utils11custom_typeIiiEELj192ELj8ELj10EEvPKT0_PS4_.uses_vcc, 1
	.set _Z17sort_pairs_kernelI22helper_blocked_stripedN15benchmark_utils11custom_typeIiiEELj192ELj8ELj10EEvPKT0_PS4_.uses_flat_scratch, 0
	.set _Z17sort_pairs_kernelI22helper_blocked_stripedN15benchmark_utils11custom_typeIiiEELj192ELj8ELj10EEvPKT0_PS4_.has_dyn_sized_stack, 0
	.set _Z17sort_pairs_kernelI22helper_blocked_stripedN15benchmark_utils11custom_typeIiiEELj192ELj8ELj10EEvPKT0_PS4_.has_recursion, 0
	.set _Z17sort_pairs_kernelI22helper_blocked_stripedN15benchmark_utils11custom_typeIiiEELj192ELj8ELj10EEvPKT0_PS4_.has_indirect_call, 0
	.section	.AMDGPU.csdata,"",@progbits
; Kernel info:
; codeLenInByte = 6244
; TotalNumSgprs: 49
; NumVgprs: 90
; ScratchSize: 0
; MemoryBound: 0
; FloatMode: 240
; IeeeMode: 1
; LDSByteSize: 12672 bytes/workgroup (compile time only)
; SGPRBlocks: 12
; VGPRBlocks: 22
; NumSGPRsForWavesPerEU: 102
; NumVGPRsForWavesPerEU: 90
; Occupancy: 2
; WaveLimiterHint : 1
; COMPUTE_PGM_RSRC2:SCRATCH_EN: 0
; COMPUTE_PGM_RSRC2:USER_SGPR: 6
; COMPUTE_PGM_RSRC2:TRAP_HANDLER: 0
; COMPUTE_PGM_RSRC2:TGID_X_EN: 1
; COMPUTE_PGM_RSRC2:TGID_Y_EN: 0
; COMPUTE_PGM_RSRC2:TGID_Z_EN: 0
; COMPUTE_PGM_RSRC2:TIDIG_COMP_CNT: 2
	.section	.text._Z16sort_keys_kernelI22helper_blocked_stripedN15benchmark_utils11custom_typeIiiEELj256ELj1ELj10EEvPKT0_PS4_,"axG",@progbits,_Z16sort_keys_kernelI22helper_blocked_stripedN15benchmark_utils11custom_typeIiiEELj256ELj1ELj10EEvPKT0_PS4_,comdat
	.protected	_Z16sort_keys_kernelI22helper_blocked_stripedN15benchmark_utils11custom_typeIiiEELj256ELj1ELj10EEvPKT0_PS4_ ; -- Begin function _Z16sort_keys_kernelI22helper_blocked_stripedN15benchmark_utils11custom_typeIiiEELj256ELj1ELj10EEvPKT0_PS4_
	.globl	_Z16sort_keys_kernelI22helper_blocked_stripedN15benchmark_utils11custom_typeIiiEELj256ELj1ELj10EEvPKT0_PS4_
	.p2align	8
	.type	_Z16sort_keys_kernelI22helper_blocked_stripedN15benchmark_utils11custom_typeIiiEELj256ELj1ELj10EEvPKT0_PS4_,@function
_Z16sort_keys_kernelI22helper_blocked_stripedN15benchmark_utils11custom_typeIiiEELj256ELj1ELj10EEvPKT0_PS4_: ; @_Z16sort_keys_kernelI22helper_blocked_stripedN15benchmark_utils11custom_typeIiiEELj256ELj1ELj10EEvPKT0_PS4_
; %bb.0:
	s_load_dwordx4 s[28:31], s[4:5], 0x0
	s_load_dword s26, s[4:5], 0x1c
	s_lshl_b32 s36, s6, 8
	s_mov_b32 s37, 0
	s_lshl_b64 s[34:35], s[36:37], 3
	s_waitcnt lgkmcnt(0)
	s_add_u32 s0, s28, s34
	s_addc_u32 s1, s29, s35
	v_lshlrev_b32_e32 v3, 3, v0
	global_load_dwordx2 v[3:4], v3, s[0:1]
	v_mbcnt_lo_u32_b32 v6, -1, 0
	v_mbcnt_hi_u32_b32 v6, -1, v6
	v_subrev_co_u32_e64 v25, s[4:5], 1, v6
	v_and_b32_e32 v26, 64, v6
	v_and_b32_e32 v10, 15, v6
	v_cmp_lt_i32_e64 s[24:25], v25, v26
	v_cmp_eq_u32_e64 s[8:9], 0, v10
	v_cmp_lt_u32_e64 s[10:11], 1, v10
	v_cmp_lt_u32_e64 s[12:13], 3, v10
	;; [unrolled: 1-line block ×3, first 2 shown]
	v_cndmask_b32_e64 v10, v25, v6, s[24:25]
	s_lshr_b32 s24, s26, 16
	s_and_b32 s25, s26, 0xffff
	v_mad_u32_u24 v1, v2, s24, v1
	v_mad_u64_u32 v[1:2], s[24:25], v1, s25, v[0:1]
	v_lshlrev_b32_e32 v22, 4, v0
	v_and_b32_e32 v7, 0xc0, v0
	v_lshrrev_b32_e32 v8, 4, v0
	v_lshlrev_b32_e32 v9, 2, v0
	s_mov_b32 s28, s37
	v_or_b32_e32 v12, 63, v7
	v_lshlrev_b32_e32 v7, 3, v7
	v_mad_i32_i24 v24, v0, -12, v22
	s_mov_b32 s36, s37
	s_mov_b32 s29, s37
	v_and_b32_e32 v11, 16, v6
	v_and_b32_e32 v27, 3, v6
	;; [unrolled: 1-line block ×3, first 2 shown]
	v_lshl_add_u32 v25, v6, 3, v7
	v_add_u32_e32 v26, v24, v9
	v_mov_b32_e32 v7, s36
	v_lshlrev_b32_e32 v28, 2, v10
	v_lshrrev_b32_e32 v1, 4, v1
	v_mov_b32_e32 v9, s28
	s_mov_b32 s33, 10
	s_movk_i32 s38, 0xff
	v_mov_b32_e32 v13, 4
	v_mov_b32_e32 v14, 1
	;; [unrolled: 1-line block ×10, first 2 shown]
	v_cmp_gt_u32_e32 vcc, 4, v0
	v_cmp_lt_u32_e64 s[0:1], 63, v0
	v_cmp_eq_u32_e64 s[2:3], 0, v0
	v_cmp_lt_u32_e64 s[6:7], 31, v6
	v_cmp_eq_u32_e64 s[16:17], 0, v11
	v_cmp_eq_u32_e64 s[18:19], v0, v12
	v_cmp_eq_u32_e64 s[20:21], 0, v27
	v_cmp_lt_u32_e64 s[22:23], 1, v27
	v_add_u32_e32 v27, -4, v23
	v_mov_b32_e32 v8, s37
	v_and_b32_e32 v29, 0xffffffc, v1
	v_mov_b32_e32 v10, s29
	s_waitcnt vmcnt(0)
	v_xor_b32_e32 v11, 0x80000000, v3
	v_xor_b32_e32 v12, 0x80000000, v4
	s_branch .LBB360_2
.LBB360_1:                              ;   in Loop: Header=BB360_2 Depth=1
	s_or_b64 exec, exec, s[24:25]
	s_waitcnt lgkmcnt(0)
	v_add_u32_e32 v4, v31, v4
	ds_bpermute_b32 v4, v28, v4
	s_add_i32 s33, s33, -1
	s_cmp_eq_u32 s33, 0
	s_waitcnt lgkmcnt(0)
	v_cndmask_b32_e64 v4, v4, v31, s[4:5]
	v_cndmask_b32_e64 v31, v4, 0, s[2:3]
	v_add_u32_e32 v32, v31, v1
	v_add_u32_e32 v1, v32, v2
	;; [unrolled: 1-line block ×3, first 2 shown]
	ds_write2_b64 v22, v[31:32], v[1:2] offset0:2 offset1:3
	s_waitcnt lgkmcnt(0)
	s_barrier
	ds_read_b32 v1, v30 offset:16
	v_lshlrev_b32_e32 v2, 3, v6
	s_waitcnt lgkmcnt(0)
	s_barrier
	v_lshl_add_u32 v1, v1, 3, v2
	ds_write_b64 v1, v[11:12]
	s_waitcnt lgkmcnt(0)
	s_barrier
	ds_read_b64 v[11:12], v26
	s_cbranch_scc1 .LBB360_66
.LBB360_2:                              ; =>This Inner Loop Header: Depth=1
	s_waitcnt lgkmcnt(0)
	v_and_b32_e32 v1, 1, v12
	v_add_co_u32_e64 v2, s[24:25], -1, v1
	v_addc_co_u32_e64 v4, s[24:25], 0, -1, s[24:25]
	v_cmp_ne_u32_e64 s[24:25], 0, v1
	v_lshlrev_b32_e32 v6, 30, v12
	v_xor_b32_e32 v1, s25, v4
	v_xor_b32_e32 v2, s24, v2
	v_cmp_gt_i64_e64 s[24:25], 0, v[5:6]
	v_not_b32_e32 v4, v6
	v_ashrrev_i32_e32 v4, 31, v4
	v_and_b32_e32 v1, exec_hi, v1
	v_xor_b32_e32 v6, s25, v4
	v_and_b32_e32 v2, exec_lo, v2
	v_xor_b32_e32 v4, s24, v4
	v_and_b32_e32 v1, v1, v6
	v_lshlrev_b32_e32 v6, 29, v12
	v_and_b32_e32 v2, v2, v4
	v_cmp_gt_i64_e64 s[24:25], 0, v[5:6]
	v_not_b32_e32 v4, v6
	v_ashrrev_i32_e32 v4, 31, v4
	v_xor_b32_e32 v6, s25, v4
	v_xor_b32_e32 v4, s24, v4
	v_and_b32_e32 v1, v1, v6
	v_lshlrev_b32_e32 v6, 28, v12
	v_and_b32_e32 v2, v2, v4
	v_cmp_gt_i64_e64 s[24:25], 0, v[5:6]
	v_not_b32_e32 v4, v6
	v_ashrrev_i32_e32 v4, 31, v4
	v_xor_b32_e32 v6, s25, v4
	;; [unrolled: 8-line block ×6, first 2 shown]
	v_xor_b32_e32 v30, s24, v2
	v_and_b32_e32 v2, v1, v6
	v_and_b32_e32 v1, v4, v30
	v_mbcnt_lo_u32_b32 v4, v1, 0
	v_mbcnt_hi_u32_b32 v6, v2, v4
	v_cmp_ne_u64_e64 s[24:25], 0, v[1:2]
	v_lshlrev_b32_sdwa v3, v13, v12 dst_sel:DWORD dst_unused:UNUSED_PAD src0_sel:DWORD src1_sel:BYTE_0
	v_cmp_eq_u32_e64 s[26:27], 0, v6
	s_and_b64 s[26:27], s[26:27], s[24:25]
	v_add_u32_e32 v30, v29, v3
	ds_write2_b64 v22, v[7:8], v[9:10] offset0:2 offset1:3
	s_waitcnt lgkmcnt(0)
	s_barrier
	; wave barrier
	s_and_saveexec_b64 s[24:25], s[26:27]
; %bb.3:                                ;   in Loop: Header=BB360_2 Depth=1
	v_bcnt_u32_b32 v1, v1, 0
	v_bcnt_u32_b32 v1, v2, v1
	ds_write_b32 v30, v1 offset:16
; %bb.4:                                ;   in Loop: Header=BB360_2 Depth=1
	s_or_b64 exec, exec, s[24:25]
	; wave barrier
	s_waitcnt lgkmcnt(0)
	s_barrier
	ds_read2_b64 v[1:4], v22 offset0:2 offset1:3
	s_waitcnt lgkmcnt(0)
	v_add_u32_e32 v31, v2, v1
	v_add3_u32 v4, v31, v3, v4
	s_nop 1
	v_mov_b32_dpp v31, v4 row_shr:1 row_mask:0xf bank_mask:0xf
	v_cndmask_b32_e64 v31, v31, 0, s[8:9]
	v_add_u32_e32 v4, v31, v4
	s_nop 1
	v_mov_b32_dpp v31, v4 row_shr:2 row_mask:0xf bank_mask:0xf
	v_cndmask_b32_e64 v31, 0, v31, s[10:11]
	v_add_u32_e32 v4, v4, v31
	s_nop 1
	v_mov_b32_dpp v31, v4 row_shr:4 row_mask:0xf bank_mask:0xf
	v_cndmask_b32_e64 v31, 0, v31, s[12:13]
	v_add_u32_e32 v4, v4, v31
	s_nop 1
	v_mov_b32_dpp v31, v4 row_shr:8 row_mask:0xf bank_mask:0xf
	v_cndmask_b32_e64 v31, 0, v31, s[14:15]
	v_add_u32_e32 v4, v4, v31
	s_nop 1
	v_mov_b32_dpp v31, v4 row_bcast:15 row_mask:0xf bank_mask:0xf
	v_cndmask_b32_e64 v31, v31, 0, s[16:17]
	v_add_u32_e32 v4, v4, v31
	s_nop 1
	v_mov_b32_dpp v31, v4 row_bcast:31 row_mask:0xf bank_mask:0xf
	v_cndmask_b32_e64 v31, 0, v31, s[6:7]
	v_add_u32_e32 v4, v4, v31
	s_and_saveexec_b64 s[24:25], s[18:19]
; %bb.5:                                ;   in Loop: Header=BB360_2 Depth=1
	ds_write_b32 v23, v4
; %bb.6:                                ;   in Loop: Header=BB360_2 Depth=1
	s_or_b64 exec, exec, s[24:25]
	s_waitcnt lgkmcnt(0)
	s_barrier
	s_and_saveexec_b64 s[24:25], vcc
	s_cbranch_execz .LBB360_8
; %bb.7:                                ;   in Loop: Header=BB360_2 Depth=1
	ds_read_b32 v31, v24
	s_waitcnt lgkmcnt(0)
	s_nop 0
	v_mov_b32_dpp v32, v31 row_shr:1 row_mask:0xf bank_mask:0xf
	v_cndmask_b32_e64 v32, v32, 0, s[20:21]
	v_add_u32_e32 v31, v32, v31
	s_nop 1
	v_mov_b32_dpp v32, v31 row_shr:2 row_mask:0xf bank_mask:0xf
	v_cndmask_b32_e64 v32, 0, v32, s[22:23]
	v_add_u32_e32 v31, v31, v32
	ds_write_b32 v24, v31
.LBB360_8:                              ;   in Loop: Header=BB360_2 Depth=1
	s_or_b64 exec, exec, s[24:25]
	v_mov_b32_e32 v31, 0
	s_waitcnt lgkmcnt(0)
	s_barrier
	s_and_saveexec_b64 s[24:25], s[0:1]
; %bb.9:                                ;   in Loop: Header=BB360_2 Depth=1
	ds_read_b32 v31, v27
; %bb.10:                               ;   in Loop: Header=BB360_2 Depth=1
	s_or_b64 exec, exec, s[24:25]
	s_waitcnt lgkmcnt(0)
	v_add_u32_e32 v4, v31, v4
	ds_bpermute_b32 v4, v28, v4
	s_waitcnt lgkmcnt(0)
	v_cndmask_b32_e64 v4, v4, v31, s[4:5]
	v_cndmask_b32_e64 v31, v4, 0, s[2:3]
	v_add_u32_e32 v32, v31, v1
	v_add_u32_e32 v1, v32, v2
	;; [unrolled: 1-line block ×3, first 2 shown]
	ds_write2_b64 v22, v[31:32], v[1:2] offset0:2 offset1:3
	s_waitcnt lgkmcnt(0)
	s_barrier
	ds_read_b32 v1, v30 offset:16
	v_lshlrev_b32_e32 v2, 3, v6
	s_waitcnt lgkmcnt(0)
	s_barrier
	v_lshl_add_u32 v1, v1, 3, v2
	ds_write_b64 v1, v[11:12]
	s_waitcnt lgkmcnt(0)
	s_barrier
	ds_read_b64 v[11:12], v25
	s_waitcnt lgkmcnt(0)
	s_barrier
	ds_write2_b64 v22, v[7:8], v[9:10] offset0:2 offset1:3
	v_lshrrev_b32_e32 v1, 8, v12
	v_and_b32_e32 v2, 1, v1
	v_add_co_u32_e64 v4, s[24:25], -1, v2
	v_addc_co_u32_e64 v6, s[24:25], 0, -1, s[24:25]
	v_cmp_ne_u32_e64 s[24:25], 0, v2
	v_xor_b32_e32 v2, s25, v6
	v_lshlrev_b32_e32 v6, 30, v1
	v_xor_b32_e32 v4, s24, v4
	v_cmp_gt_i64_e64 s[24:25], 0, v[5:6]
	v_not_b32_e32 v6, v6
	v_ashrrev_i32_e32 v6, 31, v6
	v_and_b32_e32 v4, exec_lo, v4
	v_xor_b32_e32 v30, s25, v6
	v_xor_b32_e32 v6, s24, v6
	v_and_b32_e32 v4, v4, v6
	v_lshlrev_b32_e32 v6, 29, v1
	v_cmp_gt_i64_e64 s[24:25], 0, v[5:6]
	v_not_b32_e32 v6, v6
	v_and_b32_e32 v2, exec_hi, v2
	v_ashrrev_i32_e32 v6, 31, v6
	v_and_b32_e32 v2, v2, v30
	v_xor_b32_e32 v30, s25, v6
	v_xor_b32_e32 v6, s24, v6
	v_and_b32_e32 v4, v4, v6
	v_lshlrev_b32_e32 v6, 28, v1
	v_cmp_gt_i64_e64 s[24:25], 0, v[5:6]
	v_not_b32_e32 v6, v6
	v_ashrrev_i32_e32 v6, 31, v6
	v_and_b32_e32 v2, v2, v30
	v_xor_b32_e32 v30, s25, v6
	v_xor_b32_e32 v6, s24, v6
	v_and_b32_e32 v4, v4, v6
	v_lshlrev_b32_e32 v6, 27, v1
	v_cmp_gt_i64_e64 s[24:25], 0, v[5:6]
	v_not_b32_e32 v6, v6
	;; [unrolled: 8-line block ×4, first 2 shown]
	v_ashrrev_i32_e32 v6, 31, v6
	v_and_b32_e32 v2, v2, v30
	v_xor_b32_e32 v30, s25, v6
	v_xor_b32_e32 v6, s24, v6
	v_and_b32_e32 v4, v4, v6
	v_lshlrev_b32_e32 v6, 24, v1
	v_lshlrev_b32_sdwa v3, v13, v1 dst_sel:DWORD dst_unused:UNUSED_PAD src0_sel:DWORD src1_sel:BYTE_0
	v_cmp_gt_i64_e64 s[24:25], 0, v[5:6]
	v_not_b32_e32 v1, v6
	v_ashrrev_i32_e32 v1, 31, v1
	v_xor_b32_e32 v6, s25, v1
	v_xor_b32_e32 v1, s24, v1
	v_and_b32_e32 v2, v2, v30
	v_and_b32_e32 v1, v4, v1
	;; [unrolled: 1-line block ×3, first 2 shown]
	v_mbcnt_lo_u32_b32 v4, v1, 0
	v_mbcnt_hi_u32_b32 v6, v2, v4
	v_cmp_ne_u64_e64 s[24:25], 0, v[1:2]
	v_cmp_eq_u32_e64 s[26:27], 0, v6
	s_and_b64 s[26:27], s[26:27], s[24:25]
	v_add_u32_e32 v30, v29, v3
	s_waitcnt lgkmcnt(0)
	s_barrier
	; wave barrier
	s_and_saveexec_b64 s[24:25], s[26:27]
; %bb.11:                               ;   in Loop: Header=BB360_2 Depth=1
	v_bcnt_u32_b32 v1, v1, 0
	v_bcnt_u32_b32 v1, v2, v1
	ds_write_b32 v30, v1 offset:16
; %bb.12:                               ;   in Loop: Header=BB360_2 Depth=1
	s_or_b64 exec, exec, s[24:25]
	; wave barrier
	s_waitcnt lgkmcnt(0)
	s_barrier
	ds_read2_b64 v[1:4], v22 offset0:2 offset1:3
	s_waitcnt lgkmcnt(0)
	v_add_u32_e32 v31, v2, v1
	v_add3_u32 v4, v31, v3, v4
	s_nop 1
	v_mov_b32_dpp v31, v4 row_shr:1 row_mask:0xf bank_mask:0xf
	v_cndmask_b32_e64 v31, v31, 0, s[8:9]
	v_add_u32_e32 v4, v31, v4
	s_nop 1
	v_mov_b32_dpp v31, v4 row_shr:2 row_mask:0xf bank_mask:0xf
	v_cndmask_b32_e64 v31, 0, v31, s[10:11]
	v_add_u32_e32 v4, v4, v31
	s_nop 1
	v_mov_b32_dpp v31, v4 row_shr:4 row_mask:0xf bank_mask:0xf
	v_cndmask_b32_e64 v31, 0, v31, s[12:13]
	v_add_u32_e32 v4, v4, v31
	s_nop 1
	v_mov_b32_dpp v31, v4 row_shr:8 row_mask:0xf bank_mask:0xf
	v_cndmask_b32_e64 v31, 0, v31, s[14:15]
	v_add_u32_e32 v4, v4, v31
	s_nop 1
	v_mov_b32_dpp v31, v4 row_bcast:15 row_mask:0xf bank_mask:0xf
	v_cndmask_b32_e64 v31, v31, 0, s[16:17]
	v_add_u32_e32 v4, v4, v31
	s_nop 1
	v_mov_b32_dpp v31, v4 row_bcast:31 row_mask:0xf bank_mask:0xf
	v_cndmask_b32_e64 v31, 0, v31, s[6:7]
	v_add_u32_e32 v4, v4, v31
	s_and_saveexec_b64 s[24:25], s[18:19]
; %bb.13:                               ;   in Loop: Header=BB360_2 Depth=1
	ds_write_b32 v23, v4
; %bb.14:                               ;   in Loop: Header=BB360_2 Depth=1
	s_or_b64 exec, exec, s[24:25]
	s_waitcnt lgkmcnt(0)
	s_barrier
	s_and_saveexec_b64 s[24:25], vcc
	s_cbranch_execz .LBB360_16
; %bb.15:                               ;   in Loop: Header=BB360_2 Depth=1
	ds_read_b32 v31, v24
	s_waitcnt lgkmcnt(0)
	s_nop 0
	v_mov_b32_dpp v32, v31 row_shr:1 row_mask:0xf bank_mask:0xf
	v_cndmask_b32_e64 v32, v32, 0, s[20:21]
	v_add_u32_e32 v31, v32, v31
	s_nop 1
	v_mov_b32_dpp v32, v31 row_shr:2 row_mask:0xf bank_mask:0xf
	v_cndmask_b32_e64 v32, 0, v32, s[22:23]
	v_add_u32_e32 v31, v31, v32
	ds_write_b32 v24, v31
.LBB360_16:                             ;   in Loop: Header=BB360_2 Depth=1
	s_or_b64 exec, exec, s[24:25]
	v_mov_b32_e32 v31, 0
	s_waitcnt lgkmcnt(0)
	s_barrier
	s_and_saveexec_b64 s[24:25], s[0:1]
; %bb.17:                               ;   in Loop: Header=BB360_2 Depth=1
	ds_read_b32 v31, v27
; %bb.18:                               ;   in Loop: Header=BB360_2 Depth=1
	s_or_b64 exec, exec, s[24:25]
	s_waitcnt lgkmcnt(0)
	v_add_u32_e32 v4, v31, v4
	ds_bpermute_b32 v4, v28, v4
	s_waitcnt lgkmcnt(0)
	v_cndmask_b32_e64 v4, v4, v31, s[4:5]
	v_cndmask_b32_e64 v31, v4, 0, s[2:3]
	v_add_u32_e32 v32, v31, v1
	v_add_u32_e32 v1, v32, v2
	;; [unrolled: 1-line block ×3, first 2 shown]
	ds_write2_b64 v22, v[31:32], v[1:2] offset0:2 offset1:3
	s_waitcnt lgkmcnt(0)
	s_barrier
	ds_read_b32 v1, v30 offset:16
	v_lshlrev_b32_e32 v2, 3, v6
	s_waitcnt lgkmcnt(0)
	s_barrier
	v_lshl_add_u32 v1, v1, 3, v2
	ds_write_b64 v1, v[11:12]
	s_waitcnt lgkmcnt(0)
	s_barrier
	ds_read_b64 v[11:12], v25
	v_mov_b32_e32 v1, s36
	v_mov_b32_e32 v3, s28
	;; [unrolled: 1-line block ×4, first 2 shown]
	s_waitcnt lgkmcnt(0)
	s_barrier
	ds_write2_b64 v22, v[1:2], v[3:4] offset0:2 offset1:3
	v_and_b32_sdwa v1, v12, s38 dst_sel:DWORD dst_unused:UNUSED_PAD src0_sel:WORD_1 src1_sel:DWORD
	v_lshlrev_b32_e32 v3, 4, v1
	v_and_b32_sdwa v1, v12, v14 dst_sel:DWORD dst_unused:UNUSED_PAD src0_sel:WORD_1 src1_sel:DWORD
	v_add_co_u32_e64 v2, s[24:25], -1, v1
	v_addc_co_u32_e64 v4, s[24:25], 0, -1, s[24:25]
	v_cmp_ne_u32_e64 s[24:25], 0, v1
	v_lshlrev_b32_sdwa v6, v15, v12 dst_sel:DWORD dst_unused:UNUSED_PAD src0_sel:DWORD src1_sel:WORD_1
	v_xor_b32_e32 v1, s25, v4
	v_xor_b32_e32 v2, s24, v2
	v_cmp_gt_i64_e64 s[24:25], 0, v[5:6]
	v_not_b32_e32 v4, v6
	v_ashrrev_i32_e32 v4, 31, v4
	v_and_b32_e32 v1, exec_hi, v1
	v_xor_b32_e32 v6, s25, v4
	v_and_b32_e32 v2, exec_lo, v2
	v_xor_b32_e32 v4, s24, v4
	v_and_b32_e32 v1, v1, v6
	v_lshlrev_b32_sdwa v6, v16, v12 dst_sel:DWORD dst_unused:UNUSED_PAD src0_sel:DWORD src1_sel:WORD_1
	v_and_b32_e32 v2, v2, v4
	v_cmp_gt_i64_e64 s[24:25], 0, v[5:6]
	v_not_b32_e32 v4, v6
	v_ashrrev_i32_e32 v4, 31, v4
	v_xor_b32_e32 v6, s25, v4
	v_xor_b32_e32 v4, s24, v4
	v_and_b32_e32 v1, v1, v6
	v_lshlrev_b32_sdwa v6, v17, v12 dst_sel:DWORD dst_unused:UNUSED_PAD src0_sel:DWORD src1_sel:WORD_1
	v_and_b32_e32 v2, v2, v4
	v_cmp_gt_i64_e64 s[24:25], 0, v[5:6]
	v_not_b32_e32 v4, v6
	v_ashrrev_i32_e32 v4, 31, v4
	v_xor_b32_e32 v6, s25, v4
	;; [unrolled: 8-line block ×6, first 2 shown]
	v_xor_b32_e32 v30, s24, v2
	v_and_b32_e32 v2, v1, v6
	v_and_b32_e32 v1, v4, v30
	v_mbcnt_lo_u32_b32 v4, v1, 0
	v_mbcnt_hi_u32_b32 v6, v2, v4
	v_cmp_ne_u64_e64 s[24:25], 0, v[1:2]
	v_cmp_eq_u32_e64 s[26:27], 0, v6
	s_and_b64 s[26:27], s[26:27], s[24:25]
	v_add_u32_e32 v30, v29, v3
	s_waitcnt lgkmcnt(0)
	s_barrier
	; wave barrier
	s_and_saveexec_b64 s[24:25], s[26:27]
; %bb.19:                               ;   in Loop: Header=BB360_2 Depth=1
	v_bcnt_u32_b32 v1, v1, 0
	v_bcnt_u32_b32 v1, v2, v1
	ds_write_b32 v30, v1 offset:16
; %bb.20:                               ;   in Loop: Header=BB360_2 Depth=1
	s_or_b64 exec, exec, s[24:25]
	; wave barrier
	s_waitcnt lgkmcnt(0)
	s_barrier
	ds_read2_b64 v[1:4], v22 offset0:2 offset1:3
	s_waitcnt lgkmcnt(0)
	v_add_u32_e32 v31, v2, v1
	v_add3_u32 v4, v31, v3, v4
	s_nop 1
	v_mov_b32_dpp v31, v4 row_shr:1 row_mask:0xf bank_mask:0xf
	v_cndmask_b32_e64 v31, v31, 0, s[8:9]
	v_add_u32_e32 v4, v31, v4
	s_nop 1
	v_mov_b32_dpp v31, v4 row_shr:2 row_mask:0xf bank_mask:0xf
	v_cndmask_b32_e64 v31, 0, v31, s[10:11]
	v_add_u32_e32 v4, v4, v31
	;; [unrolled: 4-line block ×4, first 2 shown]
	s_nop 1
	v_mov_b32_dpp v31, v4 row_bcast:15 row_mask:0xf bank_mask:0xf
	v_cndmask_b32_e64 v31, v31, 0, s[16:17]
	v_add_u32_e32 v4, v4, v31
	s_nop 1
	v_mov_b32_dpp v31, v4 row_bcast:31 row_mask:0xf bank_mask:0xf
	v_cndmask_b32_e64 v31, 0, v31, s[6:7]
	v_add_u32_e32 v4, v4, v31
	s_and_saveexec_b64 s[24:25], s[18:19]
; %bb.21:                               ;   in Loop: Header=BB360_2 Depth=1
	ds_write_b32 v23, v4
; %bb.22:                               ;   in Loop: Header=BB360_2 Depth=1
	s_or_b64 exec, exec, s[24:25]
	s_waitcnt lgkmcnt(0)
	s_barrier
	s_and_saveexec_b64 s[24:25], vcc
	s_cbranch_execz .LBB360_24
; %bb.23:                               ;   in Loop: Header=BB360_2 Depth=1
	ds_read_b32 v31, v24
	s_waitcnt lgkmcnt(0)
	s_nop 0
	v_mov_b32_dpp v32, v31 row_shr:1 row_mask:0xf bank_mask:0xf
	v_cndmask_b32_e64 v32, v32, 0, s[20:21]
	v_add_u32_e32 v31, v32, v31
	s_nop 1
	v_mov_b32_dpp v32, v31 row_shr:2 row_mask:0xf bank_mask:0xf
	v_cndmask_b32_e64 v32, 0, v32, s[22:23]
	v_add_u32_e32 v31, v31, v32
	ds_write_b32 v24, v31
.LBB360_24:                             ;   in Loop: Header=BB360_2 Depth=1
	s_or_b64 exec, exec, s[24:25]
	v_mov_b32_e32 v31, 0
	s_waitcnt lgkmcnt(0)
	s_barrier
	s_and_saveexec_b64 s[24:25], s[0:1]
; %bb.25:                               ;   in Loop: Header=BB360_2 Depth=1
	ds_read_b32 v31, v27
; %bb.26:                               ;   in Loop: Header=BB360_2 Depth=1
	s_or_b64 exec, exec, s[24:25]
	s_waitcnt lgkmcnt(0)
	v_add_u32_e32 v4, v31, v4
	ds_bpermute_b32 v4, v28, v4
	s_waitcnt lgkmcnt(0)
	v_cndmask_b32_e64 v4, v4, v31, s[4:5]
	v_cndmask_b32_e64 v31, v4, 0, s[2:3]
	v_add_u32_e32 v32, v31, v1
	v_add_u32_e32 v1, v32, v2
	;; [unrolled: 1-line block ×3, first 2 shown]
	ds_write2_b64 v22, v[31:32], v[1:2] offset0:2 offset1:3
	s_waitcnt lgkmcnt(0)
	s_barrier
	ds_read_b32 v1, v30 offset:16
	v_lshlrev_b32_e32 v2, 3, v6
	s_waitcnt lgkmcnt(0)
	s_barrier
	v_lshl_add_u32 v1, v1, 3, v2
	ds_write_b64 v1, v[11:12]
	s_waitcnt lgkmcnt(0)
	s_barrier
	ds_read_b64 v[11:12], v25
	v_mov_b32_e32 v1, s36
	v_mov_b32_e32 v3, s28
	;; [unrolled: 1-line block ×4, first 2 shown]
	s_waitcnt lgkmcnt(0)
	s_barrier
	ds_write2_b64 v22, v[1:2], v[3:4] offset0:2 offset1:3
	v_and_b32_sdwa v1, v12, v14 dst_sel:DWORD dst_unused:UNUSED_PAD src0_sel:BYTE_3 src1_sel:DWORD
	v_add_co_u32_e64 v2, s[24:25], -1, v1
	v_addc_co_u32_e64 v4, s[24:25], 0, -1, s[24:25]
	v_cmp_ne_u32_e64 s[24:25], 0, v1
	v_lshlrev_b32_sdwa v6, v15, v12 dst_sel:DWORD dst_unused:UNUSED_PAD src0_sel:DWORD src1_sel:BYTE_3
	v_xor_b32_e32 v1, s25, v4
	v_xor_b32_e32 v2, s24, v2
	v_cmp_gt_i64_e64 s[24:25], 0, v[5:6]
	v_not_b32_e32 v4, v6
	v_ashrrev_i32_e32 v4, 31, v4
	v_and_b32_e32 v1, exec_hi, v1
	v_xor_b32_e32 v6, s25, v4
	v_and_b32_e32 v2, exec_lo, v2
	v_xor_b32_e32 v4, s24, v4
	v_and_b32_e32 v1, v1, v6
	v_lshlrev_b32_sdwa v6, v16, v12 dst_sel:DWORD dst_unused:UNUSED_PAD src0_sel:DWORD src1_sel:BYTE_3
	v_and_b32_e32 v2, v2, v4
	v_cmp_gt_i64_e64 s[24:25], 0, v[5:6]
	v_not_b32_e32 v4, v6
	v_ashrrev_i32_e32 v4, 31, v4
	v_xor_b32_e32 v6, s25, v4
	v_xor_b32_e32 v4, s24, v4
	v_and_b32_e32 v1, v1, v6
	v_lshlrev_b32_sdwa v6, v17, v12 dst_sel:DWORD dst_unused:UNUSED_PAD src0_sel:DWORD src1_sel:BYTE_3
	v_and_b32_e32 v2, v2, v4
	v_cmp_gt_i64_e64 s[24:25], 0, v[5:6]
	v_not_b32_e32 v4, v6
	v_ashrrev_i32_e32 v4, 31, v4
	v_xor_b32_e32 v6, s25, v4
	;; [unrolled: 8-line block ×6, first 2 shown]
	v_xor_b32_e32 v30, s24, v2
	v_and_b32_e32 v2, v1, v6
	v_and_b32_e32 v1, v4, v30
	v_mbcnt_lo_u32_b32 v4, v1, 0
	v_mbcnt_hi_u32_b32 v6, v2, v4
	v_cmp_ne_u64_e64 s[24:25], 0, v[1:2]
	v_lshlrev_b32_sdwa v3, v13, v12 dst_sel:DWORD dst_unused:UNUSED_PAD src0_sel:DWORD src1_sel:BYTE_3
	v_cmp_eq_u32_e64 s[26:27], 0, v6
	s_and_b64 s[26:27], s[26:27], s[24:25]
	v_add_u32_e32 v30, v29, v3
	s_waitcnt lgkmcnt(0)
	s_barrier
	; wave barrier
	s_and_saveexec_b64 s[24:25], s[26:27]
; %bb.27:                               ;   in Loop: Header=BB360_2 Depth=1
	v_bcnt_u32_b32 v1, v1, 0
	v_bcnt_u32_b32 v1, v2, v1
	ds_write_b32 v30, v1 offset:16
; %bb.28:                               ;   in Loop: Header=BB360_2 Depth=1
	s_or_b64 exec, exec, s[24:25]
	; wave barrier
	s_waitcnt lgkmcnt(0)
	s_barrier
	ds_read2_b64 v[1:4], v22 offset0:2 offset1:3
	s_waitcnt lgkmcnt(0)
	v_add_u32_e32 v31, v2, v1
	v_add3_u32 v4, v31, v3, v4
	s_nop 1
	v_mov_b32_dpp v31, v4 row_shr:1 row_mask:0xf bank_mask:0xf
	v_cndmask_b32_e64 v31, v31, 0, s[8:9]
	v_add_u32_e32 v4, v31, v4
	s_nop 1
	v_mov_b32_dpp v31, v4 row_shr:2 row_mask:0xf bank_mask:0xf
	v_cndmask_b32_e64 v31, 0, v31, s[10:11]
	v_add_u32_e32 v4, v4, v31
	;; [unrolled: 4-line block ×4, first 2 shown]
	s_nop 1
	v_mov_b32_dpp v31, v4 row_bcast:15 row_mask:0xf bank_mask:0xf
	v_cndmask_b32_e64 v31, v31, 0, s[16:17]
	v_add_u32_e32 v4, v4, v31
	s_nop 1
	v_mov_b32_dpp v31, v4 row_bcast:31 row_mask:0xf bank_mask:0xf
	v_cndmask_b32_e64 v31, 0, v31, s[6:7]
	v_add_u32_e32 v4, v4, v31
	s_and_saveexec_b64 s[24:25], s[18:19]
; %bb.29:                               ;   in Loop: Header=BB360_2 Depth=1
	ds_write_b32 v23, v4
; %bb.30:                               ;   in Loop: Header=BB360_2 Depth=1
	s_or_b64 exec, exec, s[24:25]
	s_waitcnt lgkmcnt(0)
	s_barrier
	s_and_saveexec_b64 s[24:25], vcc
	s_cbranch_execz .LBB360_32
; %bb.31:                               ;   in Loop: Header=BB360_2 Depth=1
	ds_read_b32 v31, v24
	s_waitcnt lgkmcnt(0)
	s_nop 0
	v_mov_b32_dpp v32, v31 row_shr:1 row_mask:0xf bank_mask:0xf
	v_cndmask_b32_e64 v32, v32, 0, s[20:21]
	v_add_u32_e32 v31, v32, v31
	s_nop 1
	v_mov_b32_dpp v32, v31 row_shr:2 row_mask:0xf bank_mask:0xf
	v_cndmask_b32_e64 v32, 0, v32, s[22:23]
	v_add_u32_e32 v31, v31, v32
	ds_write_b32 v24, v31
.LBB360_32:                             ;   in Loop: Header=BB360_2 Depth=1
	s_or_b64 exec, exec, s[24:25]
	v_mov_b32_e32 v31, 0
	s_waitcnt lgkmcnt(0)
	s_barrier
	s_and_saveexec_b64 s[24:25], s[0:1]
; %bb.33:                               ;   in Loop: Header=BB360_2 Depth=1
	ds_read_b32 v31, v27
; %bb.34:                               ;   in Loop: Header=BB360_2 Depth=1
	s_or_b64 exec, exec, s[24:25]
	s_waitcnt lgkmcnt(0)
	v_add_u32_e32 v4, v31, v4
	ds_bpermute_b32 v4, v28, v4
	s_waitcnt lgkmcnt(0)
	v_cndmask_b32_e64 v4, v4, v31, s[4:5]
	v_cndmask_b32_e64 v31, v4, 0, s[2:3]
	v_add_u32_e32 v32, v31, v1
	v_add_u32_e32 v1, v32, v2
	v_add_u32_e32 v2, v1, v3
	ds_write2_b64 v22, v[31:32], v[1:2] offset0:2 offset1:3
	s_waitcnt lgkmcnt(0)
	s_barrier
	ds_read_b32 v1, v30 offset:16
	v_lshlrev_b32_e32 v2, 3, v6
	s_waitcnt lgkmcnt(0)
	s_barrier
	v_lshl_add_u32 v1, v1, 3, v2
	ds_write_b64 v1, v[11:12]
	s_waitcnt lgkmcnt(0)
	s_barrier
	ds_read_b64 v[11:12], v25
	v_mov_b32_e32 v1, s36
	v_mov_b32_e32 v3, s28
	;; [unrolled: 1-line block ×4, first 2 shown]
	s_waitcnt lgkmcnt(0)
	s_barrier
	ds_write2_b64 v22, v[1:2], v[3:4] offset0:2 offset1:3
	v_and_b32_e32 v1, 1, v11
	v_add_co_u32_e64 v2, s[24:25], -1, v1
	v_addc_co_u32_e64 v4, s[24:25], 0, -1, s[24:25]
	v_cmp_ne_u32_e64 s[24:25], 0, v1
	v_lshlrev_b32_e32 v6, 30, v11
	v_xor_b32_e32 v1, s25, v4
	v_xor_b32_e32 v2, s24, v2
	v_cmp_gt_i64_e64 s[24:25], 0, v[5:6]
	v_not_b32_e32 v4, v6
	v_ashrrev_i32_e32 v4, 31, v4
	v_and_b32_e32 v1, exec_hi, v1
	v_xor_b32_e32 v6, s25, v4
	v_and_b32_e32 v2, exec_lo, v2
	v_xor_b32_e32 v4, s24, v4
	v_and_b32_e32 v1, v1, v6
	v_lshlrev_b32_e32 v6, 29, v11
	v_and_b32_e32 v2, v2, v4
	v_cmp_gt_i64_e64 s[24:25], 0, v[5:6]
	v_not_b32_e32 v4, v6
	v_ashrrev_i32_e32 v4, 31, v4
	v_xor_b32_e32 v6, s25, v4
	v_xor_b32_e32 v4, s24, v4
	v_and_b32_e32 v1, v1, v6
	v_lshlrev_b32_e32 v6, 28, v11
	v_and_b32_e32 v2, v2, v4
	v_cmp_gt_i64_e64 s[24:25], 0, v[5:6]
	v_not_b32_e32 v4, v6
	v_ashrrev_i32_e32 v4, 31, v4
	v_xor_b32_e32 v6, s25, v4
	;; [unrolled: 8-line block ×6, first 2 shown]
	v_xor_b32_e32 v30, s24, v2
	v_and_b32_e32 v2, v1, v6
	v_and_b32_e32 v1, v4, v30
	v_mbcnt_lo_u32_b32 v4, v1, 0
	v_mbcnt_hi_u32_b32 v6, v2, v4
	v_cmp_ne_u64_e64 s[24:25], 0, v[1:2]
	v_lshlrev_b32_sdwa v3, v13, v11 dst_sel:DWORD dst_unused:UNUSED_PAD src0_sel:DWORD src1_sel:BYTE_0
	v_cmp_eq_u32_e64 s[26:27], 0, v6
	s_and_b64 s[26:27], s[26:27], s[24:25]
	v_add_u32_e32 v30, v29, v3
	s_waitcnt lgkmcnt(0)
	s_barrier
	; wave barrier
	s_and_saveexec_b64 s[24:25], s[26:27]
; %bb.35:                               ;   in Loop: Header=BB360_2 Depth=1
	v_bcnt_u32_b32 v1, v1, 0
	v_bcnt_u32_b32 v1, v2, v1
	ds_write_b32 v30, v1 offset:16
; %bb.36:                               ;   in Loop: Header=BB360_2 Depth=1
	s_or_b64 exec, exec, s[24:25]
	; wave barrier
	s_waitcnt lgkmcnt(0)
	s_barrier
	ds_read2_b64 v[1:4], v22 offset0:2 offset1:3
	s_waitcnt lgkmcnt(0)
	v_add_u32_e32 v31, v2, v1
	v_add3_u32 v4, v31, v3, v4
	s_nop 1
	v_mov_b32_dpp v31, v4 row_shr:1 row_mask:0xf bank_mask:0xf
	v_cndmask_b32_e64 v31, v31, 0, s[8:9]
	v_add_u32_e32 v4, v31, v4
	s_nop 1
	v_mov_b32_dpp v31, v4 row_shr:2 row_mask:0xf bank_mask:0xf
	v_cndmask_b32_e64 v31, 0, v31, s[10:11]
	v_add_u32_e32 v4, v4, v31
	;; [unrolled: 4-line block ×4, first 2 shown]
	s_nop 1
	v_mov_b32_dpp v31, v4 row_bcast:15 row_mask:0xf bank_mask:0xf
	v_cndmask_b32_e64 v31, v31, 0, s[16:17]
	v_add_u32_e32 v4, v4, v31
	s_nop 1
	v_mov_b32_dpp v31, v4 row_bcast:31 row_mask:0xf bank_mask:0xf
	v_cndmask_b32_e64 v31, 0, v31, s[6:7]
	v_add_u32_e32 v4, v4, v31
	s_and_saveexec_b64 s[24:25], s[18:19]
; %bb.37:                               ;   in Loop: Header=BB360_2 Depth=1
	ds_write_b32 v23, v4
; %bb.38:                               ;   in Loop: Header=BB360_2 Depth=1
	s_or_b64 exec, exec, s[24:25]
	s_waitcnt lgkmcnt(0)
	s_barrier
	s_and_saveexec_b64 s[24:25], vcc
	s_cbranch_execz .LBB360_40
; %bb.39:                               ;   in Loop: Header=BB360_2 Depth=1
	ds_read_b32 v31, v24
	s_waitcnt lgkmcnt(0)
	s_nop 0
	v_mov_b32_dpp v32, v31 row_shr:1 row_mask:0xf bank_mask:0xf
	v_cndmask_b32_e64 v32, v32, 0, s[20:21]
	v_add_u32_e32 v31, v32, v31
	s_nop 1
	v_mov_b32_dpp v32, v31 row_shr:2 row_mask:0xf bank_mask:0xf
	v_cndmask_b32_e64 v32, 0, v32, s[22:23]
	v_add_u32_e32 v31, v31, v32
	ds_write_b32 v24, v31
.LBB360_40:                             ;   in Loop: Header=BB360_2 Depth=1
	s_or_b64 exec, exec, s[24:25]
	v_mov_b32_e32 v31, 0
	s_waitcnt lgkmcnt(0)
	s_barrier
	s_and_saveexec_b64 s[24:25], s[0:1]
; %bb.41:                               ;   in Loop: Header=BB360_2 Depth=1
	ds_read_b32 v31, v27
; %bb.42:                               ;   in Loop: Header=BB360_2 Depth=1
	s_or_b64 exec, exec, s[24:25]
	s_waitcnt lgkmcnt(0)
	v_add_u32_e32 v4, v31, v4
	ds_bpermute_b32 v4, v28, v4
	s_waitcnt lgkmcnt(0)
	v_cndmask_b32_e64 v4, v4, v31, s[4:5]
	v_cndmask_b32_e64 v31, v4, 0, s[2:3]
	v_add_u32_e32 v32, v31, v1
	v_add_u32_e32 v1, v32, v2
	;; [unrolled: 1-line block ×3, first 2 shown]
	ds_write2_b64 v22, v[31:32], v[1:2] offset0:2 offset1:3
	s_waitcnt lgkmcnt(0)
	s_barrier
	ds_read_b32 v1, v30 offset:16
	v_lshlrev_b32_e32 v2, 3, v6
	s_waitcnt lgkmcnt(0)
	s_barrier
	v_lshl_add_u32 v1, v1, 3, v2
	ds_write_b64 v1, v[11:12]
	s_waitcnt lgkmcnt(0)
	s_barrier
	ds_read_b64 v[11:12], v25
	v_mov_b32_e32 v1, s36
	v_mov_b32_e32 v3, s28
	;; [unrolled: 1-line block ×4, first 2 shown]
	s_waitcnt lgkmcnt(0)
	s_barrier
	ds_write2_b64 v22, v[1:2], v[3:4] offset0:2 offset1:3
	v_lshrrev_b32_e32 v1, 8, v11
	v_and_b32_e32 v2, 1, v1
	v_add_co_u32_e64 v4, s[24:25], -1, v2
	v_addc_co_u32_e64 v6, s[24:25], 0, -1, s[24:25]
	v_cmp_ne_u32_e64 s[24:25], 0, v2
	v_xor_b32_e32 v2, s25, v6
	v_lshlrev_b32_e32 v6, 30, v1
	v_xor_b32_e32 v4, s24, v4
	v_cmp_gt_i64_e64 s[24:25], 0, v[5:6]
	v_not_b32_e32 v6, v6
	v_ashrrev_i32_e32 v6, 31, v6
	v_and_b32_e32 v4, exec_lo, v4
	v_xor_b32_e32 v30, s25, v6
	v_xor_b32_e32 v6, s24, v6
	v_and_b32_e32 v4, v4, v6
	v_lshlrev_b32_e32 v6, 29, v1
	v_cmp_gt_i64_e64 s[24:25], 0, v[5:6]
	v_not_b32_e32 v6, v6
	v_and_b32_e32 v2, exec_hi, v2
	v_ashrrev_i32_e32 v6, 31, v6
	v_and_b32_e32 v2, v2, v30
	v_xor_b32_e32 v30, s25, v6
	v_xor_b32_e32 v6, s24, v6
	v_and_b32_e32 v4, v4, v6
	v_lshlrev_b32_e32 v6, 28, v1
	v_cmp_gt_i64_e64 s[24:25], 0, v[5:6]
	v_not_b32_e32 v6, v6
	v_ashrrev_i32_e32 v6, 31, v6
	v_and_b32_e32 v2, v2, v30
	v_xor_b32_e32 v30, s25, v6
	v_xor_b32_e32 v6, s24, v6
	v_and_b32_e32 v4, v4, v6
	v_lshlrev_b32_e32 v6, 27, v1
	v_cmp_gt_i64_e64 s[24:25], 0, v[5:6]
	v_not_b32_e32 v6, v6
	;; [unrolled: 8-line block ×4, first 2 shown]
	v_ashrrev_i32_e32 v6, 31, v6
	v_and_b32_e32 v2, v2, v30
	v_xor_b32_e32 v30, s25, v6
	v_xor_b32_e32 v6, s24, v6
	v_and_b32_e32 v4, v4, v6
	v_lshlrev_b32_e32 v6, 24, v1
	v_lshlrev_b32_sdwa v3, v13, v1 dst_sel:DWORD dst_unused:UNUSED_PAD src0_sel:DWORD src1_sel:BYTE_0
	v_cmp_gt_i64_e64 s[24:25], 0, v[5:6]
	v_not_b32_e32 v1, v6
	v_ashrrev_i32_e32 v1, 31, v1
	v_xor_b32_e32 v6, s25, v1
	v_xor_b32_e32 v1, s24, v1
	v_and_b32_e32 v2, v2, v30
	v_and_b32_e32 v1, v4, v1
	;; [unrolled: 1-line block ×3, first 2 shown]
	v_mbcnt_lo_u32_b32 v4, v1, 0
	v_mbcnt_hi_u32_b32 v6, v2, v4
	v_cmp_ne_u64_e64 s[24:25], 0, v[1:2]
	v_cmp_eq_u32_e64 s[26:27], 0, v6
	s_and_b64 s[26:27], s[26:27], s[24:25]
	v_add_u32_e32 v30, v29, v3
	s_waitcnt lgkmcnt(0)
	s_barrier
	; wave barrier
	s_and_saveexec_b64 s[24:25], s[26:27]
; %bb.43:                               ;   in Loop: Header=BB360_2 Depth=1
	v_bcnt_u32_b32 v1, v1, 0
	v_bcnt_u32_b32 v1, v2, v1
	ds_write_b32 v30, v1 offset:16
; %bb.44:                               ;   in Loop: Header=BB360_2 Depth=1
	s_or_b64 exec, exec, s[24:25]
	; wave barrier
	s_waitcnt lgkmcnt(0)
	s_barrier
	ds_read2_b64 v[1:4], v22 offset0:2 offset1:3
	s_waitcnt lgkmcnt(0)
	v_add_u32_e32 v31, v2, v1
	v_add3_u32 v4, v31, v3, v4
	s_nop 1
	v_mov_b32_dpp v31, v4 row_shr:1 row_mask:0xf bank_mask:0xf
	v_cndmask_b32_e64 v31, v31, 0, s[8:9]
	v_add_u32_e32 v4, v31, v4
	s_nop 1
	v_mov_b32_dpp v31, v4 row_shr:2 row_mask:0xf bank_mask:0xf
	v_cndmask_b32_e64 v31, 0, v31, s[10:11]
	v_add_u32_e32 v4, v4, v31
	;; [unrolled: 4-line block ×4, first 2 shown]
	s_nop 1
	v_mov_b32_dpp v31, v4 row_bcast:15 row_mask:0xf bank_mask:0xf
	v_cndmask_b32_e64 v31, v31, 0, s[16:17]
	v_add_u32_e32 v4, v4, v31
	s_nop 1
	v_mov_b32_dpp v31, v4 row_bcast:31 row_mask:0xf bank_mask:0xf
	v_cndmask_b32_e64 v31, 0, v31, s[6:7]
	v_add_u32_e32 v4, v4, v31
	s_and_saveexec_b64 s[24:25], s[18:19]
; %bb.45:                               ;   in Loop: Header=BB360_2 Depth=1
	ds_write_b32 v23, v4
; %bb.46:                               ;   in Loop: Header=BB360_2 Depth=1
	s_or_b64 exec, exec, s[24:25]
	s_waitcnt lgkmcnt(0)
	s_barrier
	s_and_saveexec_b64 s[24:25], vcc
	s_cbranch_execz .LBB360_48
; %bb.47:                               ;   in Loop: Header=BB360_2 Depth=1
	ds_read_b32 v31, v24
	s_waitcnt lgkmcnt(0)
	s_nop 0
	v_mov_b32_dpp v32, v31 row_shr:1 row_mask:0xf bank_mask:0xf
	v_cndmask_b32_e64 v32, v32, 0, s[20:21]
	v_add_u32_e32 v31, v32, v31
	s_nop 1
	v_mov_b32_dpp v32, v31 row_shr:2 row_mask:0xf bank_mask:0xf
	v_cndmask_b32_e64 v32, 0, v32, s[22:23]
	v_add_u32_e32 v31, v31, v32
	ds_write_b32 v24, v31
.LBB360_48:                             ;   in Loop: Header=BB360_2 Depth=1
	s_or_b64 exec, exec, s[24:25]
	v_mov_b32_e32 v31, 0
	s_waitcnt lgkmcnt(0)
	s_barrier
	s_and_saveexec_b64 s[24:25], s[0:1]
; %bb.49:                               ;   in Loop: Header=BB360_2 Depth=1
	ds_read_b32 v31, v27
; %bb.50:                               ;   in Loop: Header=BB360_2 Depth=1
	s_or_b64 exec, exec, s[24:25]
	s_waitcnt lgkmcnt(0)
	v_add_u32_e32 v4, v31, v4
	ds_bpermute_b32 v4, v28, v4
	s_waitcnt lgkmcnt(0)
	v_cndmask_b32_e64 v4, v4, v31, s[4:5]
	v_cndmask_b32_e64 v31, v4, 0, s[2:3]
	v_add_u32_e32 v32, v31, v1
	v_add_u32_e32 v1, v32, v2
	;; [unrolled: 1-line block ×3, first 2 shown]
	ds_write2_b64 v22, v[31:32], v[1:2] offset0:2 offset1:3
	s_waitcnt lgkmcnt(0)
	s_barrier
	ds_read_b32 v1, v30 offset:16
	v_lshlrev_b32_e32 v2, 3, v6
	s_waitcnt lgkmcnt(0)
	s_barrier
	v_lshl_add_u32 v1, v1, 3, v2
	ds_write_b64 v1, v[11:12]
	s_waitcnt lgkmcnt(0)
	s_barrier
	ds_read_b64 v[11:12], v25
	v_mov_b32_e32 v1, s36
	v_mov_b32_e32 v3, s28
	;; [unrolled: 1-line block ×4, first 2 shown]
	s_waitcnt lgkmcnt(0)
	s_barrier
	ds_write2_b64 v22, v[1:2], v[3:4] offset0:2 offset1:3
	v_and_b32_sdwa v1, v11, s38 dst_sel:DWORD dst_unused:UNUSED_PAD src0_sel:WORD_1 src1_sel:DWORD
	v_lshlrev_b32_e32 v3, 4, v1
	v_and_b32_sdwa v1, v11, v14 dst_sel:DWORD dst_unused:UNUSED_PAD src0_sel:WORD_1 src1_sel:DWORD
	v_add_co_u32_e64 v2, s[24:25], -1, v1
	v_addc_co_u32_e64 v4, s[24:25], 0, -1, s[24:25]
	v_cmp_ne_u32_e64 s[24:25], 0, v1
	v_lshlrev_b32_sdwa v6, v15, v11 dst_sel:DWORD dst_unused:UNUSED_PAD src0_sel:DWORD src1_sel:WORD_1
	v_xor_b32_e32 v1, s25, v4
	v_xor_b32_e32 v2, s24, v2
	v_cmp_gt_i64_e64 s[24:25], 0, v[5:6]
	v_not_b32_e32 v4, v6
	v_ashrrev_i32_e32 v4, 31, v4
	v_and_b32_e32 v1, exec_hi, v1
	v_xor_b32_e32 v6, s25, v4
	v_and_b32_e32 v2, exec_lo, v2
	v_xor_b32_e32 v4, s24, v4
	v_and_b32_e32 v1, v1, v6
	v_lshlrev_b32_sdwa v6, v16, v11 dst_sel:DWORD dst_unused:UNUSED_PAD src0_sel:DWORD src1_sel:WORD_1
	v_and_b32_e32 v2, v2, v4
	v_cmp_gt_i64_e64 s[24:25], 0, v[5:6]
	v_not_b32_e32 v4, v6
	v_ashrrev_i32_e32 v4, 31, v4
	v_xor_b32_e32 v6, s25, v4
	v_xor_b32_e32 v4, s24, v4
	v_and_b32_e32 v1, v1, v6
	v_lshlrev_b32_sdwa v6, v17, v11 dst_sel:DWORD dst_unused:UNUSED_PAD src0_sel:DWORD src1_sel:WORD_1
	v_and_b32_e32 v2, v2, v4
	v_cmp_gt_i64_e64 s[24:25], 0, v[5:6]
	v_not_b32_e32 v4, v6
	v_ashrrev_i32_e32 v4, 31, v4
	v_xor_b32_e32 v6, s25, v4
	;; [unrolled: 8-line block ×6, first 2 shown]
	v_xor_b32_e32 v30, s24, v2
	v_and_b32_e32 v2, v1, v6
	v_and_b32_e32 v1, v4, v30
	v_mbcnt_lo_u32_b32 v4, v1, 0
	v_mbcnt_hi_u32_b32 v6, v2, v4
	v_cmp_ne_u64_e64 s[24:25], 0, v[1:2]
	v_cmp_eq_u32_e64 s[26:27], 0, v6
	s_and_b64 s[26:27], s[26:27], s[24:25]
	v_add_u32_e32 v30, v29, v3
	s_waitcnt lgkmcnt(0)
	s_barrier
	; wave barrier
	s_and_saveexec_b64 s[24:25], s[26:27]
; %bb.51:                               ;   in Loop: Header=BB360_2 Depth=1
	v_bcnt_u32_b32 v1, v1, 0
	v_bcnt_u32_b32 v1, v2, v1
	ds_write_b32 v30, v1 offset:16
; %bb.52:                               ;   in Loop: Header=BB360_2 Depth=1
	s_or_b64 exec, exec, s[24:25]
	; wave barrier
	s_waitcnt lgkmcnt(0)
	s_barrier
	ds_read2_b64 v[1:4], v22 offset0:2 offset1:3
	s_waitcnt lgkmcnt(0)
	v_add_u32_e32 v31, v2, v1
	v_add3_u32 v4, v31, v3, v4
	s_nop 1
	v_mov_b32_dpp v31, v4 row_shr:1 row_mask:0xf bank_mask:0xf
	v_cndmask_b32_e64 v31, v31, 0, s[8:9]
	v_add_u32_e32 v4, v31, v4
	s_nop 1
	v_mov_b32_dpp v31, v4 row_shr:2 row_mask:0xf bank_mask:0xf
	v_cndmask_b32_e64 v31, 0, v31, s[10:11]
	v_add_u32_e32 v4, v4, v31
	;; [unrolled: 4-line block ×4, first 2 shown]
	s_nop 1
	v_mov_b32_dpp v31, v4 row_bcast:15 row_mask:0xf bank_mask:0xf
	v_cndmask_b32_e64 v31, v31, 0, s[16:17]
	v_add_u32_e32 v4, v4, v31
	s_nop 1
	v_mov_b32_dpp v31, v4 row_bcast:31 row_mask:0xf bank_mask:0xf
	v_cndmask_b32_e64 v31, 0, v31, s[6:7]
	v_add_u32_e32 v4, v4, v31
	s_and_saveexec_b64 s[24:25], s[18:19]
; %bb.53:                               ;   in Loop: Header=BB360_2 Depth=1
	ds_write_b32 v23, v4
; %bb.54:                               ;   in Loop: Header=BB360_2 Depth=1
	s_or_b64 exec, exec, s[24:25]
	s_waitcnt lgkmcnt(0)
	s_barrier
	s_and_saveexec_b64 s[24:25], vcc
	s_cbranch_execz .LBB360_56
; %bb.55:                               ;   in Loop: Header=BB360_2 Depth=1
	ds_read_b32 v31, v24
	s_waitcnt lgkmcnt(0)
	s_nop 0
	v_mov_b32_dpp v32, v31 row_shr:1 row_mask:0xf bank_mask:0xf
	v_cndmask_b32_e64 v32, v32, 0, s[20:21]
	v_add_u32_e32 v31, v32, v31
	s_nop 1
	v_mov_b32_dpp v32, v31 row_shr:2 row_mask:0xf bank_mask:0xf
	v_cndmask_b32_e64 v32, 0, v32, s[22:23]
	v_add_u32_e32 v31, v31, v32
	ds_write_b32 v24, v31
.LBB360_56:                             ;   in Loop: Header=BB360_2 Depth=1
	s_or_b64 exec, exec, s[24:25]
	v_mov_b32_e32 v31, 0
	s_waitcnt lgkmcnt(0)
	s_barrier
	s_and_saveexec_b64 s[24:25], s[0:1]
; %bb.57:                               ;   in Loop: Header=BB360_2 Depth=1
	ds_read_b32 v31, v27
; %bb.58:                               ;   in Loop: Header=BB360_2 Depth=1
	s_or_b64 exec, exec, s[24:25]
	s_waitcnt lgkmcnt(0)
	v_add_u32_e32 v4, v31, v4
	ds_bpermute_b32 v4, v28, v4
	s_waitcnt lgkmcnt(0)
	v_cndmask_b32_e64 v4, v4, v31, s[4:5]
	v_cndmask_b32_e64 v31, v4, 0, s[2:3]
	v_add_u32_e32 v32, v31, v1
	v_add_u32_e32 v1, v32, v2
	;; [unrolled: 1-line block ×3, first 2 shown]
	ds_write2_b64 v22, v[31:32], v[1:2] offset0:2 offset1:3
	s_waitcnt lgkmcnt(0)
	s_barrier
	ds_read_b32 v1, v30 offset:16
	v_lshlrev_b32_e32 v2, 3, v6
	s_waitcnt lgkmcnt(0)
	s_barrier
	v_lshl_add_u32 v1, v1, 3, v2
	ds_write_b64 v1, v[11:12]
	s_waitcnt lgkmcnt(0)
	s_barrier
	ds_read_b64 v[11:12], v25
	v_mov_b32_e32 v1, s36
	v_mov_b32_e32 v3, s28
	v_mov_b32_e32 v2, s37
	v_mov_b32_e32 v4, s29
	s_waitcnt lgkmcnt(0)
	s_barrier
	ds_write2_b64 v22, v[1:2], v[3:4] offset0:2 offset1:3
	v_and_b32_sdwa v1, v11, v14 dst_sel:DWORD dst_unused:UNUSED_PAD src0_sel:BYTE_3 src1_sel:DWORD
	v_add_co_u32_e64 v2, s[24:25], -1, v1
	v_addc_co_u32_e64 v4, s[24:25], 0, -1, s[24:25]
	v_cmp_ne_u32_e64 s[24:25], 0, v1
	v_lshlrev_b32_sdwa v6, v15, v11 dst_sel:DWORD dst_unused:UNUSED_PAD src0_sel:DWORD src1_sel:BYTE_3
	v_xor_b32_e32 v1, s25, v4
	v_xor_b32_e32 v2, s24, v2
	v_cmp_gt_i64_e64 s[24:25], 0, v[5:6]
	v_not_b32_e32 v4, v6
	v_ashrrev_i32_e32 v4, 31, v4
	v_and_b32_e32 v1, exec_hi, v1
	v_xor_b32_e32 v6, s25, v4
	v_and_b32_e32 v2, exec_lo, v2
	v_xor_b32_e32 v4, s24, v4
	v_and_b32_e32 v1, v1, v6
	v_lshlrev_b32_sdwa v6, v16, v11 dst_sel:DWORD dst_unused:UNUSED_PAD src0_sel:DWORD src1_sel:BYTE_3
	v_and_b32_e32 v2, v2, v4
	v_cmp_gt_i64_e64 s[24:25], 0, v[5:6]
	v_not_b32_e32 v4, v6
	v_ashrrev_i32_e32 v4, 31, v4
	v_xor_b32_e32 v6, s25, v4
	v_xor_b32_e32 v4, s24, v4
	v_and_b32_e32 v1, v1, v6
	v_lshlrev_b32_sdwa v6, v17, v11 dst_sel:DWORD dst_unused:UNUSED_PAD src0_sel:DWORD src1_sel:BYTE_3
	v_and_b32_e32 v2, v2, v4
	v_cmp_gt_i64_e64 s[24:25], 0, v[5:6]
	v_not_b32_e32 v4, v6
	v_ashrrev_i32_e32 v4, 31, v4
	v_xor_b32_e32 v6, s25, v4
	;; [unrolled: 8-line block ×6, first 2 shown]
	v_xor_b32_e32 v30, s24, v2
	v_and_b32_e32 v2, v1, v6
	v_and_b32_e32 v1, v4, v30
	v_mbcnt_lo_u32_b32 v4, v1, 0
	v_mbcnt_hi_u32_b32 v6, v2, v4
	v_cmp_ne_u64_e64 s[24:25], 0, v[1:2]
	v_lshlrev_b32_sdwa v3, v13, v11 dst_sel:DWORD dst_unused:UNUSED_PAD src0_sel:DWORD src1_sel:BYTE_3
	v_cmp_eq_u32_e64 s[26:27], 0, v6
	s_and_b64 s[26:27], s[26:27], s[24:25]
	v_add_u32_e32 v30, v29, v3
	s_waitcnt lgkmcnt(0)
	s_barrier
	; wave barrier
	s_and_saveexec_b64 s[24:25], s[26:27]
; %bb.59:                               ;   in Loop: Header=BB360_2 Depth=1
	v_bcnt_u32_b32 v1, v1, 0
	v_bcnt_u32_b32 v1, v2, v1
	ds_write_b32 v30, v1 offset:16
; %bb.60:                               ;   in Loop: Header=BB360_2 Depth=1
	s_or_b64 exec, exec, s[24:25]
	; wave barrier
	s_waitcnt lgkmcnt(0)
	s_barrier
	ds_read2_b64 v[1:4], v22 offset0:2 offset1:3
	s_waitcnt lgkmcnt(0)
	v_add_u32_e32 v31, v2, v1
	v_add3_u32 v4, v31, v3, v4
	s_nop 1
	v_mov_b32_dpp v31, v4 row_shr:1 row_mask:0xf bank_mask:0xf
	v_cndmask_b32_e64 v31, v31, 0, s[8:9]
	v_add_u32_e32 v4, v31, v4
	s_nop 1
	v_mov_b32_dpp v31, v4 row_shr:2 row_mask:0xf bank_mask:0xf
	v_cndmask_b32_e64 v31, 0, v31, s[10:11]
	v_add_u32_e32 v4, v4, v31
	;; [unrolled: 4-line block ×4, first 2 shown]
	s_nop 1
	v_mov_b32_dpp v31, v4 row_bcast:15 row_mask:0xf bank_mask:0xf
	v_cndmask_b32_e64 v31, v31, 0, s[16:17]
	v_add_u32_e32 v4, v4, v31
	s_nop 1
	v_mov_b32_dpp v31, v4 row_bcast:31 row_mask:0xf bank_mask:0xf
	v_cndmask_b32_e64 v31, 0, v31, s[6:7]
	v_add_u32_e32 v4, v4, v31
	s_and_saveexec_b64 s[24:25], s[18:19]
; %bb.61:                               ;   in Loop: Header=BB360_2 Depth=1
	ds_write_b32 v23, v4
; %bb.62:                               ;   in Loop: Header=BB360_2 Depth=1
	s_or_b64 exec, exec, s[24:25]
	s_waitcnt lgkmcnt(0)
	s_barrier
	s_and_saveexec_b64 s[24:25], vcc
	s_cbranch_execz .LBB360_64
; %bb.63:                               ;   in Loop: Header=BB360_2 Depth=1
	ds_read_b32 v31, v24
	s_waitcnt lgkmcnt(0)
	s_nop 0
	v_mov_b32_dpp v32, v31 row_shr:1 row_mask:0xf bank_mask:0xf
	v_cndmask_b32_e64 v32, v32, 0, s[20:21]
	v_add_u32_e32 v31, v32, v31
	s_nop 1
	v_mov_b32_dpp v32, v31 row_shr:2 row_mask:0xf bank_mask:0xf
	v_cndmask_b32_e64 v32, 0, v32, s[22:23]
	v_add_u32_e32 v31, v31, v32
	ds_write_b32 v24, v31
.LBB360_64:                             ;   in Loop: Header=BB360_2 Depth=1
	s_or_b64 exec, exec, s[24:25]
	v_mov_b32_e32 v31, 0
	s_waitcnt lgkmcnt(0)
	s_barrier
	s_and_saveexec_b64 s[24:25], s[0:1]
	s_cbranch_execz .LBB360_1
; %bb.65:                               ;   in Loop: Header=BB360_2 Depth=1
	ds_read_b32 v31, v27
	s_branch .LBB360_1
.LBB360_66:
	s_add_u32 s0, s30, s34
	s_waitcnt lgkmcnt(0)
	v_xor_b32_e32 v2, 0x80000000, v12
	v_xor_b32_e32 v1, 0x80000000, v11
	s_addc_u32 s1, s31, s35
	v_lshlrev_b32_e32 v0, 3, v0
	global_store_dwordx2 v0, v[1:2], s[0:1]
	s_endpgm
	.section	.rodata,"a",@progbits
	.p2align	6, 0x0
	.amdhsa_kernel _Z16sort_keys_kernelI22helper_blocked_stripedN15benchmark_utils11custom_typeIiiEELj256ELj1ELj10EEvPKT0_PS4_
		.amdhsa_group_segment_fixed_size 4112
		.amdhsa_private_segment_fixed_size 0
		.amdhsa_kernarg_size 272
		.amdhsa_user_sgpr_count 6
		.amdhsa_user_sgpr_private_segment_buffer 1
		.amdhsa_user_sgpr_dispatch_ptr 0
		.amdhsa_user_sgpr_queue_ptr 0
		.amdhsa_user_sgpr_kernarg_segment_ptr 1
		.amdhsa_user_sgpr_dispatch_id 0
		.amdhsa_user_sgpr_flat_scratch_init 0
		.amdhsa_user_sgpr_private_segment_size 0
		.amdhsa_uses_dynamic_stack 0
		.amdhsa_system_sgpr_private_segment_wavefront_offset 0
		.amdhsa_system_sgpr_workgroup_id_x 1
		.amdhsa_system_sgpr_workgroup_id_y 0
		.amdhsa_system_sgpr_workgroup_id_z 0
		.amdhsa_system_sgpr_workgroup_info 0
		.amdhsa_system_vgpr_workitem_id 2
		.amdhsa_next_free_vgpr 33
		.amdhsa_next_free_sgpr 39
		.amdhsa_reserve_vcc 1
		.amdhsa_reserve_flat_scratch 0
		.amdhsa_float_round_mode_32 0
		.amdhsa_float_round_mode_16_64 0
		.amdhsa_float_denorm_mode_32 3
		.amdhsa_float_denorm_mode_16_64 3
		.amdhsa_dx10_clamp 1
		.amdhsa_ieee_mode 1
		.amdhsa_fp16_overflow 0
		.amdhsa_exception_fp_ieee_invalid_op 0
		.amdhsa_exception_fp_denorm_src 0
		.amdhsa_exception_fp_ieee_div_zero 0
		.amdhsa_exception_fp_ieee_overflow 0
		.amdhsa_exception_fp_ieee_underflow 0
		.amdhsa_exception_fp_ieee_inexact 0
		.amdhsa_exception_int_div_zero 0
	.end_amdhsa_kernel
	.section	.text._Z16sort_keys_kernelI22helper_blocked_stripedN15benchmark_utils11custom_typeIiiEELj256ELj1ELj10EEvPKT0_PS4_,"axG",@progbits,_Z16sort_keys_kernelI22helper_blocked_stripedN15benchmark_utils11custom_typeIiiEELj256ELj1ELj10EEvPKT0_PS4_,comdat
.Lfunc_end360:
	.size	_Z16sort_keys_kernelI22helper_blocked_stripedN15benchmark_utils11custom_typeIiiEELj256ELj1ELj10EEvPKT0_PS4_, .Lfunc_end360-_Z16sort_keys_kernelI22helper_blocked_stripedN15benchmark_utils11custom_typeIiiEELj256ELj1ELj10EEvPKT0_PS4_
                                        ; -- End function
	.set _Z16sort_keys_kernelI22helper_blocked_stripedN15benchmark_utils11custom_typeIiiEELj256ELj1ELj10EEvPKT0_PS4_.num_vgpr, 33
	.set _Z16sort_keys_kernelI22helper_blocked_stripedN15benchmark_utils11custom_typeIiiEELj256ELj1ELj10EEvPKT0_PS4_.num_agpr, 0
	.set _Z16sort_keys_kernelI22helper_blocked_stripedN15benchmark_utils11custom_typeIiiEELj256ELj1ELj10EEvPKT0_PS4_.numbered_sgpr, 39
	.set _Z16sort_keys_kernelI22helper_blocked_stripedN15benchmark_utils11custom_typeIiiEELj256ELj1ELj10EEvPKT0_PS4_.num_named_barrier, 0
	.set _Z16sort_keys_kernelI22helper_blocked_stripedN15benchmark_utils11custom_typeIiiEELj256ELj1ELj10EEvPKT0_PS4_.private_seg_size, 0
	.set _Z16sort_keys_kernelI22helper_blocked_stripedN15benchmark_utils11custom_typeIiiEELj256ELj1ELj10EEvPKT0_PS4_.uses_vcc, 1
	.set _Z16sort_keys_kernelI22helper_blocked_stripedN15benchmark_utils11custom_typeIiiEELj256ELj1ELj10EEvPKT0_PS4_.uses_flat_scratch, 0
	.set _Z16sort_keys_kernelI22helper_blocked_stripedN15benchmark_utils11custom_typeIiiEELj256ELj1ELj10EEvPKT0_PS4_.has_dyn_sized_stack, 0
	.set _Z16sort_keys_kernelI22helper_blocked_stripedN15benchmark_utils11custom_typeIiiEELj256ELj1ELj10EEvPKT0_PS4_.has_recursion, 0
	.set _Z16sort_keys_kernelI22helper_blocked_stripedN15benchmark_utils11custom_typeIiiEELj256ELj1ELj10EEvPKT0_PS4_.has_indirect_call, 0
	.section	.AMDGPU.csdata,"",@progbits
; Kernel info:
; codeLenInByte = 7292
; TotalNumSgprs: 43
; NumVgprs: 33
; ScratchSize: 0
; MemoryBound: 0
; FloatMode: 240
; IeeeMode: 1
; LDSByteSize: 4112 bytes/workgroup (compile time only)
; SGPRBlocks: 5
; VGPRBlocks: 8
; NumSGPRsForWavesPerEU: 43
; NumVGPRsForWavesPerEU: 33
; Occupancy: 7
; WaveLimiterHint : 0
; COMPUTE_PGM_RSRC2:SCRATCH_EN: 0
; COMPUTE_PGM_RSRC2:USER_SGPR: 6
; COMPUTE_PGM_RSRC2:TRAP_HANDLER: 0
; COMPUTE_PGM_RSRC2:TGID_X_EN: 1
; COMPUTE_PGM_RSRC2:TGID_Y_EN: 0
; COMPUTE_PGM_RSRC2:TGID_Z_EN: 0
; COMPUTE_PGM_RSRC2:TIDIG_COMP_CNT: 2
	.section	.text._Z17sort_pairs_kernelI22helper_blocked_stripedN15benchmark_utils11custom_typeIiiEELj256ELj1ELj10EEvPKT0_PS4_,"axG",@progbits,_Z17sort_pairs_kernelI22helper_blocked_stripedN15benchmark_utils11custom_typeIiiEELj256ELj1ELj10EEvPKT0_PS4_,comdat
	.protected	_Z17sort_pairs_kernelI22helper_blocked_stripedN15benchmark_utils11custom_typeIiiEELj256ELj1ELj10EEvPKT0_PS4_ ; -- Begin function _Z17sort_pairs_kernelI22helper_blocked_stripedN15benchmark_utils11custom_typeIiiEELj256ELj1ELj10EEvPKT0_PS4_
	.globl	_Z17sort_pairs_kernelI22helper_blocked_stripedN15benchmark_utils11custom_typeIiiEELj256ELj1ELj10EEvPKT0_PS4_
	.p2align	8
	.type	_Z17sort_pairs_kernelI22helper_blocked_stripedN15benchmark_utils11custom_typeIiiEELj256ELj1ELj10EEvPKT0_PS4_,@function
_Z17sort_pairs_kernelI22helper_blocked_stripedN15benchmark_utils11custom_typeIiiEELj256ELj1ELj10EEvPKT0_PS4_: ; @_Z17sort_pairs_kernelI22helper_blocked_stripedN15benchmark_utils11custom_typeIiiEELj256ELj1ELj10EEvPKT0_PS4_
; %bb.0:
	s_load_dwordx4 s[28:31], s[4:5], 0x0
	s_load_dword s26, s[4:5], 0x1c
	s_lshl_b32 s36, s6, 8
	s_mov_b32 s37, 0
	s_lshl_b64 s[34:35], s[36:37], 3
	s_waitcnt lgkmcnt(0)
	s_add_u32 s0, s28, s34
	s_addc_u32 s1, s29, s35
	v_lshlrev_b32_e32 v3, 3, v0
	global_load_dwordx2 v[3:4], v3, s[0:1]
	s_lshr_b32 s27, s26, 16
	v_mbcnt_lo_u32_b32 v6, -1, 0
	s_and_b32 s26, s26, 0xffff
	v_mad_u32_u24 v1, v2, s27, v1
	v_mbcnt_hi_u32_b32 v6, -1, v6
	v_mad_u64_u32 v[1:2], s[26:27], v1, s26, v[0:1]
	v_subrev_co_u32_e64 v13, s[6:7], 1, v6
	v_and_b32_e32 v14, 64, v6
	v_lshlrev_b32_e32 v20, 4, v0
	v_and_b32_e32 v7, 0xc0, v0
	v_and_b32_e32 v10, 15, v6
	v_cmp_lt_i32_e32 vcc, v13, v14
	v_lshrrev_b32_e32 v8, 4, v0
	v_lshlrev_b32_e32 v9, 2, v0
	s_mov_b32 s28, s37
	v_or_b32_e32 v12, 63, v7
	v_and_b32_e32 v23, 3, v6
	v_lshlrev_b32_e32 v7, 3, v7
	v_mad_i32_i24 v22, v0, -12, v20
	s_mov_b32 s36, s37
	v_cmp_eq_u32_e64 s[10:11], 0, v10
	v_cmp_lt_u32_e64 s[12:13], 1, v10
	v_cmp_lt_u32_e64 s[14:15], 3, v10
	;; [unrolled: 1-line block ×3, first 2 shown]
	v_cndmask_b32_e32 v10, v13, v6, vcc
	s_mov_b32 s29, s37
	v_and_b32_e32 v11, 16, v6
	v_and_b32_e32 v21, 12, v8
	v_cmp_eq_u32_e64 s[22:23], 0, v23
	v_cmp_lt_u32_e64 s[24:25], 1, v23
	v_lshl_add_u32 v23, v6, 3, v7
	v_add_u32_e32 v24, v22, v9
	v_mov_b32_e32 v7, s36
	v_lshlrev_b32_e32 v26, 2, v10
	v_lshrrev_b32_e32 v1, 4, v1
	v_mov_b32_e32 v9, s28
	s_movk_i32 s33, 0xff
	v_mov_b32_e32 v15, 4
	v_mov_b32_e32 v16, 27
	;; [unrolled: 1-line block ×6, first 2 shown]
	v_cmp_gt_u32_e64 s[0:1], 4, v0
	v_cmp_lt_u32_e64 s[2:3], 63, v0
	v_cmp_eq_u32_e64 s[4:5], 0, v0
	s_mov_b32 s38, s37
	v_cmp_lt_u32_e64 s[8:9], 31, v6
	v_cmp_eq_u32_e64 s[18:19], 0, v11
	v_cmp_eq_u32_e64 s[20:21], v0, v12
	v_add_u32_e32 v25, -4, v21
	v_mov_b32_e32 v8, s37
	v_and_b32_e32 v27, 0xffffffc, v1
	v_mov_b32_e32 v10, s29
	s_waitcnt vmcnt(0)
	v_add_u32_e32 v14, 1, v4
	v_add_u32_e32 v13, 1, v3
	v_xor_b32_e32 v11, 0x80000000, v3
	v_xor_b32_e32 v12, 0x80000000, v4
	s_branch .LBB361_2
.LBB361_1:                              ;   in Loop: Header=BB361_2 Depth=1
	s_barrier
	ds_write_b64 v6, v[3:4]
	s_waitcnt lgkmcnt(0)
	s_barrier
	ds_read_b64 v[11:12], v24
	s_waitcnt lgkmcnt(0)
	s_barrier
	ds_write_b64 v6, v[1:2]
	s_waitcnt lgkmcnt(0)
	s_barrier
	ds_read_b64 v[13:14], v24
	s_add_i32 s38, s38, 1
	s_cmp_eq_u32 s38, 10
	s_cbranch_scc1 .LBB361_38
.LBB361_2:                              ; =>This Loop Header: Depth=1
                                        ;     Child Loop BB361_28 Depth 2
	v_and_b32_e32 v1, 1, v12
	v_add_co_u32_e32 v2, vcc, -1, v1
	v_addc_co_u32_e64 v4, s[26:27], 0, -1, vcc
	v_cmp_ne_u32_e32 vcc, 0, v1
	v_lshlrev_b32_e32 v6, 30, v12
	v_xor_b32_e32 v1, vcc_hi, v4
	v_xor_b32_e32 v2, vcc_lo, v2
	v_cmp_gt_i64_e32 vcc, 0, v[5:6]
	v_not_b32_e32 v4, v6
	v_ashrrev_i32_e32 v4, 31, v4
	v_and_b32_e32 v1, exec_hi, v1
	v_xor_b32_e32 v6, vcc_hi, v4
	v_and_b32_e32 v2, exec_lo, v2
	v_xor_b32_e32 v4, vcc_lo, v4
	v_and_b32_e32 v1, v1, v6
	v_lshlrev_b32_e32 v6, 29, v12
	v_and_b32_e32 v2, v2, v4
	v_cmp_gt_i64_e32 vcc, 0, v[5:6]
	v_not_b32_e32 v4, v6
	v_ashrrev_i32_e32 v4, 31, v4
	v_xor_b32_e32 v6, vcc_hi, v4
	v_xor_b32_e32 v4, vcc_lo, v4
	v_and_b32_e32 v1, v1, v6
	v_lshlrev_b32_e32 v6, 28, v12
	v_and_b32_e32 v2, v2, v4
	v_cmp_gt_i64_e32 vcc, 0, v[5:6]
	v_not_b32_e32 v4, v6
	v_ashrrev_i32_e32 v4, 31, v4
	v_xor_b32_e32 v6, vcc_hi, v4
	;; [unrolled: 8-line block ×6, first 2 shown]
	v_xor_b32_e32 v28, vcc_lo, v2
	v_and_b32_e32 v2, v1, v6
	v_and_b32_e32 v1, v4, v28
	v_mbcnt_lo_u32_b32 v4, v1, 0
	v_mbcnt_hi_u32_b32 v6, v2, v4
	v_cmp_ne_u64_e32 vcc, 0, v[1:2]
	v_lshlrev_b32_sdwa v3, v15, v12 dst_sel:DWORD dst_unused:UNUSED_PAD src0_sel:DWORD src1_sel:BYTE_0
	v_cmp_eq_u32_e64 s[26:27], 0, v6
	s_and_b64 s[40:41], s[26:27], vcc
	v_add_u32_e32 v28, v27, v3
	ds_write2_b64 v20, v[7:8], v[9:10] offset0:2 offset1:3
	s_waitcnt lgkmcnt(0)
	s_barrier
	; wave barrier
	s_and_saveexec_b64 s[26:27], s[40:41]
; %bb.3:                                ;   in Loop: Header=BB361_2 Depth=1
	v_bcnt_u32_b32 v1, v1, 0
	v_bcnt_u32_b32 v1, v2, v1
	ds_write_b32 v28, v1 offset:16
; %bb.4:                                ;   in Loop: Header=BB361_2 Depth=1
	s_or_b64 exec, exec, s[26:27]
	; wave barrier
	s_waitcnt lgkmcnt(0)
	s_barrier
	ds_read2_b64 v[1:4], v20 offset0:2 offset1:3
	s_waitcnt lgkmcnt(0)
	v_add_u32_e32 v29, v2, v1
	v_add3_u32 v4, v29, v3, v4
	s_nop 1
	v_mov_b32_dpp v29, v4 row_shr:1 row_mask:0xf bank_mask:0xf
	v_cndmask_b32_e64 v29, v29, 0, s[10:11]
	v_add_u32_e32 v4, v29, v4
	s_nop 1
	v_mov_b32_dpp v29, v4 row_shr:2 row_mask:0xf bank_mask:0xf
	v_cndmask_b32_e64 v29, 0, v29, s[12:13]
	v_add_u32_e32 v4, v4, v29
	;; [unrolled: 4-line block ×4, first 2 shown]
	s_nop 1
	v_mov_b32_dpp v29, v4 row_bcast:15 row_mask:0xf bank_mask:0xf
	v_cndmask_b32_e64 v29, v29, 0, s[18:19]
	v_add_u32_e32 v4, v4, v29
	s_nop 1
	v_mov_b32_dpp v29, v4 row_bcast:31 row_mask:0xf bank_mask:0xf
	v_cndmask_b32_e64 v29, 0, v29, s[8:9]
	v_add_u32_e32 v4, v4, v29
	s_and_saveexec_b64 s[26:27], s[20:21]
; %bb.5:                                ;   in Loop: Header=BB361_2 Depth=1
	ds_write_b32 v21, v4
; %bb.6:                                ;   in Loop: Header=BB361_2 Depth=1
	s_or_b64 exec, exec, s[26:27]
	s_waitcnt lgkmcnt(0)
	s_barrier
	s_and_saveexec_b64 s[26:27], s[0:1]
	s_cbranch_execz .LBB361_8
; %bb.7:                                ;   in Loop: Header=BB361_2 Depth=1
	ds_read_b32 v29, v22
	s_waitcnt lgkmcnt(0)
	s_nop 0
	v_mov_b32_dpp v30, v29 row_shr:1 row_mask:0xf bank_mask:0xf
	v_cndmask_b32_e64 v30, v30, 0, s[22:23]
	v_add_u32_e32 v29, v30, v29
	s_nop 1
	v_mov_b32_dpp v30, v29 row_shr:2 row_mask:0xf bank_mask:0xf
	v_cndmask_b32_e64 v30, 0, v30, s[24:25]
	v_add_u32_e32 v29, v29, v30
	ds_write_b32 v22, v29
.LBB361_8:                              ;   in Loop: Header=BB361_2 Depth=1
	s_or_b64 exec, exec, s[26:27]
	v_mov_b32_e32 v29, 0
	s_waitcnt lgkmcnt(0)
	s_barrier
	s_and_saveexec_b64 s[26:27], s[2:3]
; %bb.9:                                ;   in Loop: Header=BB361_2 Depth=1
	ds_read_b32 v29, v25
; %bb.10:                               ;   in Loop: Header=BB361_2 Depth=1
	s_or_b64 exec, exec, s[26:27]
	s_waitcnt lgkmcnt(0)
	v_add_u32_e32 v4, v29, v4
	ds_bpermute_b32 v4, v26, v4
	s_waitcnt lgkmcnt(0)
	v_cndmask_b32_e64 v4, v4, v29, s[6:7]
	v_cndmask_b32_e64 v29, v4, 0, s[4:5]
	v_add_u32_e32 v30, v29, v1
	v_add_u32_e32 v1, v30, v2
	;; [unrolled: 1-line block ×3, first 2 shown]
	ds_write2_b64 v20, v[29:30], v[1:2] offset0:2 offset1:3
	s_waitcnt lgkmcnt(0)
	s_barrier
	ds_read_b32 v1, v28 offset:16
	v_lshlrev_b32_e32 v2, 3, v6
	s_waitcnt lgkmcnt(0)
	s_barrier
	v_lshl_add_u32 v1, v1, 3, v2
	ds_write_b64 v1, v[11:12]
	s_waitcnt lgkmcnt(0)
	s_barrier
	ds_read_b64 v[11:12], v23
	s_waitcnt lgkmcnt(0)
	s_barrier
	ds_write_b64 v1, v[13:14]
	v_lshrrev_b32_e32 v1, 8, v12
	v_and_b32_e32 v2, 1, v1
	v_add_co_u32_e32 v4, vcc, -1, v2
	v_addc_co_u32_e64 v6, s[26:27], 0, -1, vcc
	v_cmp_ne_u32_e32 vcc, 0, v2
	v_xor_b32_e32 v2, vcc_hi, v6
	v_lshlrev_b32_e32 v6, 30, v1
	v_xor_b32_e32 v4, vcc_lo, v4
	v_cmp_gt_i64_e32 vcc, 0, v[5:6]
	v_not_b32_e32 v6, v6
	v_ashrrev_i32_e32 v6, 31, v6
	v_and_b32_e32 v4, exec_lo, v4
	v_xor_b32_e32 v28, vcc_hi, v6
	v_xor_b32_e32 v6, vcc_lo, v6
	v_and_b32_e32 v4, v4, v6
	v_lshlrev_b32_e32 v6, 29, v1
	v_cmp_gt_i64_e32 vcc, 0, v[5:6]
	v_not_b32_e32 v6, v6
	v_and_b32_e32 v2, exec_hi, v2
	v_ashrrev_i32_e32 v6, 31, v6
	v_and_b32_e32 v2, v2, v28
	v_xor_b32_e32 v28, vcc_hi, v6
	v_xor_b32_e32 v6, vcc_lo, v6
	v_and_b32_e32 v4, v4, v6
	v_lshlrev_b32_e32 v6, 28, v1
	v_cmp_gt_i64_e32 vcc, 0, v[5:6]
	v_not_b32_e32 v6, v6
	v_ashrrev_i32_e32 v6, 31, v6
	v_and_b32_e32 v2, v2, v28
	v_xor_b32_e32 v28, vcc_hi, v6
	v_xor_b32_e32 v6, vcc_lo, v6
	v_and_b32_e32 v4, v4, v6
	v_lshlrev_b32_e32 v6, 27, v1
	v_cmp_gt_i64_e32 vcc, 0, v[5:6]
	v_not_b32_e32 v6, v6
	;; [unrolled: 8-line block ×4, first 2 shown]
	v_ashrrev_i32_e32 v6, 31, v6
	v_and_b32_e32 v2, v2, v28
	v_xor_b32_e32 v28, vcc_hi, v6
	v_xor_b32_e32 v6, vcc_lo, v6
	v_and_b32_e32 v4, v4, v6
	v_lshlrev_b32_e32 v6, 24, v1
	v_lshlrev_b32_sdwa v3, v15, v1 dst_sel:DWORD dst_unused:UNUSED_PAD src0_sel:DWORD src1_sel:BYTE_0
	v_cmp_gt_i64_e32 vcc, 0, v[5:6]
	v_not_b32_e32 v1, v6
	v_ashrrev_i32_e32 v1, 31, v1
	v_xor_b32_e32 v6, vcc_hi, v1
	v_xor_b32_e32 v1, vcc_lo, v1
	s_waitcnt lgkmcnt(0)
	s_barrier
	ds_read_b64 v[13:14], v23
	v_and_b32_e32 v2, v2, v28
	v_and_b32_e32 v1, v4, v1
	;; [unrolled: 1-line block ×3, first 2 shown]
	v_mbcnt_lo_u32_b32 v4, v1, 0
	v_mbcnt_hi_u32_b32 v6, v2, v4
	v_cmp_ne_u64_e32 vcc, 0, v[1:2]
	v_cmp_eq_u32_e64 s[26:27], 0, v6
	s_and_b64 s[40:41], s[26:27], vcc
	v_add_u32_e32 v28, v27, v3
	s_waitcnt lgkmcnt(0)
	s_barrier
	ds_write2_b64 v20, v[7:8], v[9:10] offset0:2 offset1:3
	s_waitcnt lgkmcnt(0)
	s_barrier
	; wave barrier
	s_and_saveexec_b64 s[26:27], s[40:41]
; %bb.11:                               ;   in Loop: Header=BB361_2 Depth=1
	v_bcnt_u32_b32 v1, v1, 0
	v_bcnt_u32_b32 v1, v2, v1
	ds_write_b32 v28, v1 offset:16
; %bb.12:                               ;   in Loop: Header=BB361_2 Depth=1
	s_or_b64 exec, exec, s[26:27]
	; wave barrier
	s_waitcnt lgkmcnt(0)
	s_barrier
	ds_read2_b64 v[1:4], v20 offset0:2 offset1:3
	s_waitcnt lgkmcnt(0)
	v_add_u32_e32 v29, v2, v1
	v_add3_u32 v4, v29, v3, v4
	s_nop 1
	v_mov_b32_dpp v29, v4 row_shr:1 row_mask:0xf bank_mask:0xf
	v_cndmask_b32_e64 v29, v29, 0, s[10:11]
	v_add_u32_e32 v4, v29, v4
	s_nop 1
	v_mov_b32_dpp v29, v4 row_shr:2 row_mask:0xf bank_mask:0xf
	v_cndmask_b32_e64 v29, 0, v29, s[12:13]
	v_add_u32_e32 v4, v4, v29
	;; [unrolled: 4-line block ×4, first 2 shown]
	s_nop 1
	v_mov_b32_dpp v29, v4 row_bcast:15 row_mask:0xf bank_mask:0xf
	v_cndmask_b32_e64 v29, v29, 0, s[18:19]
	v_add_u32_e32 v4, v4, v29
	s_nop 1
	v_mov_b32_dpp v29, v4 row_bcast:31 row_mask:0xf bank_mask:0xf
	v_cndmask_b32_e64 v29, 0, v29, s[8:9]
	v_add_u32_e32 v4, v4, v29
	s_and_saveexec_b64 s[26:27], s[20:21]
; %bb.13:                               ;   in Loop: Header=BB361_2 Depth=1
	ds_write_b32 v21, v4
; %bb.14:                               ;   in Loop: Header=BB361_2 Depth=1
	s_or_b64 exec, exec, s[26:27]
	s_waitcnt lgkmcnt(0)
	s_barrier
	s_and_saveexec_b64 s[26:27], s[0:1]
	s_cbranch_execz .LBB361_16
; %bb.15:                               ;   in Loop: Header=BB361_2 Depth=1
	ds_read_b32 v29, v22
	s_waitcnt lgkmcnt(0)
	s_nop 0
	v_mov_b32_dpp v30, v29 row_shr:1 row_mask:0xf bank_mask:0xf
	v_cndmask_b32_e64 v30, v30, 0, s[22:23]
	v_add_u32_e32 v29, v30, v29
	s_nop 1
	v_mov_b32_dpp v30, v29 row_shr:2 row_mask:0xf bank_mask:0xf
	v_cndmask_b32_e64 v30, 0, v30, s[24:25]
	v_add_u32_e32 v29, v29, v30
	ds_write_b32 v22, v29
.LBB361_16:                             ;   in Loop: Header=BB361_2 Depth=1
	s_or_b64 exec, exec, s[26:27]
	v_mov_b32_e32 v29, 0
	s_waitcnt lgkmcnt(0)
	s_barrier
	s_and_saveexec_b64 s[26:27], s[2:3]
; %bb.17:                               ;   in Loop: Header=BB361_2 Depth=1
	ds_read_b32 v29, v25
; %bb.18:                               ;   in Loop: Header=BB361_2 Depth=1
	s_or_b64 exec, exec, s[26:27]
	s_waitcnt lgkmcnt(0)
	v_add_u32_e32 v4, v29, v4
	ds_bpermute_b32 v4, v26, v4
	s_waitcnt lgkmcnt(0)
	v_cndmask_b32_e64 v4, v4, v29, s[6:7]
	v_cndmask_b32_e64 v29, v4, 0, s[4:5]
	v_add_u32_e32 v30, v29, v1
	v_add_u32_e32 v1, v30, v2
	;; [unrolled: 1-line block ×3, first 2 shown]
	ds_write2_b64 v20, v[29:30], v[1:2] offset0:2 offset1:3
	s_waitcnt lgkmcnt(0)
	s_barrier
	ds_read_b32 v1, v28 offset:16
	v_lshlrev_b32_e32 v2, 3, v6
	s_waitcnt lgkmcnt(0)
	s_barrier
	v_lshl_add_u32 v1, v1, 3, v2
	ds_write_b64 v1, v[11:12]
	s_waitcnt lgkmcnt(0)
	s_barrier
	ds_read_b64 v[11:12], v23
	s_waitcnt lgkmcnt(0)
	s_barrier
	ds_write_b64 v1, v[13:14]
	v_mov_b32_e32 v1, s36
	v_mov_b32_e32 v3, s28
	;; [unrolled: 1-line block ×4, first 2 shown]
	s_waitcnt lgkmcnt(0)
	s_barrier
	ds_read_b64 v[13:14], v23
	s_waitcnt lgkmcnt(0)
	s_barrier
	ds_write2_b64 v20, v[1:2], v[3:4] offset0:2 offset1:3
	v_and_b32_sdwa v1, v12, s33 dst_sel:DWORD dst_unused:UNUSED_PAD src0_sel:WORD_1 src1_sel:DWORD
	v_lshlrev_b32_e32 v3, 4, v1
	v_mov_b32_e32 v1, 1
	v_and_b32_sdwa v1, v12, v1 dst_sel:DWORD dst_unused:UNUSED_PAD src0_sel:WORD_1 src1_sel:DWORD
	v_add_co_u32_e32 v2, vcc, -1, v1
	v_addc_co_u32_e64 v4, s[26:27], 0, -1, vcc
	v_cmp_ne_u32_e32 vcc, 0, v1
	v_xor_b32_e32 v1, vcc_hi, v4
	v_mov_b32_e32 v4, 30
	v_lshlrev_b32_sdwa v6, v4, v12 dst_sel:DWORD dst_unused:UNUSED_PAD src0_sel:DWORD src1_sel:WORD_1
	v_xor_b32_e32 v2, vcc_lo, v2
	v_cmp_gt_i64_e32 vcc, 0, v[5:6]
	v_not_b32_e32 v4, v6
	v_ashrrev_i32_e32 v4, 31, v4
	v_and_b32_e32 v2, exec_lo, v2
	v_xor_b32_e32 v6, vcc_hi, v4
	v_xor_b32_e32 v4, vcc_lo, v4
	v_and_b32_e32 v1, exec_hi, v1
	v_and_b32_e32 v2, v2, v4
	v_mov_b32_e32 v4, 29
	v_and_b32_e32 v1, v1, v6
	v_lshlrev_b32_sdwa v6, v4, v12 dst_sel:DWORD dst_unused:UNUSED_PAD src0_sel:DWORD src1_sel:WORD_1
	v_cmp_gt_i64_e32 vcc, 0, v[5:6]
	v_not_b32_e32 v4, v6
	v_ashrrev_i32_e32 v4, 31, v4
	v_xor_b32_e32 v6, vcc_hi, v4
	v_xor_b32_e32 v4, vcc_lo, v4
	v_and_b32_e32 v2, v2, v4
	v_mov_b32_e32 v4, 28
	v_and_b32_e32 v1, v1, v6
	v_lshlrev_b32_sdwa v6, v4, v12 dst_sel:DWORD dst_unused:UNUSED_PAD src0_sel:DWORD src1_sel:WORD_1
	v_cmp_gt_i64_e32 vcc, 0, v[5:6]
	v_not_b32_e32 v4, v6
	v_ashrrev_i32_e32 v4, 31, v4
	v_xor_b32_e32 v6, vcc_hi, v4
	v_xor_b32_e32 v4, vcc_lo, v4
	v_and_b32_e32 v1, v1, v6
	v_lshlrev_b32_sdwa v6, v16, v12 dst_sel:DWORD dst_unused:UNUSED_PAD src0_sel:DWORD src1_sel:WORD_1
	v_and_b32_e32 v2, v2, v4
	v_cmp_gt_i64_e32 vcc, 0, v[5:6]
	v_not_b32_e32 v4, v6
	v_ashrrev_i32_e32 v4, 31, v4
	v_xor_b32_e32 v6, vcc_hi, v4
	v_xor_b32_e32 v4, vcc_lo, v4
	v_and_b32_e32 v1, v1, v6
	v_lshlrev_b32_sdwa v6, v17, v12 dst_sel:DWORD dst_unused:UNUSED_PAD src0_sel:DWORD src1_sel:WORD_1
	v_and_b32_e32 v2, v2, v4
	;; [unrolled: 8-line block ×4, first 2 shown]
	v_cmp_gt_i64_e32 vcc, 0, v[5:6]
	v_not_b32_e32 v2, v6
	v_ashrrev_i32_e32 v2, 31, v2
	v_xor_b32_e32 v6, vcc_hi, v2
	v_xor_b32_e32 v28, vcc_lo, v2
	v_and_b32_e32 v2, v1, v6
	v_and_b32_e32 v1, v4, v28
	v_mbcnt_lo_u32_b32 v4, v1, 0
	v_mbcnt_hi_u32_b32 v6, v2, v4
	v_cmp_ne_u64_e32 vcc, 0, v[1:2]
	v_cmp_eq_u32_e64 s[26:27], 0, v6
	s_and_b64 s[40:41], s[26:27], vcc
	v_add_u32_e32 v28, v27, v3
	s_waitcnt lgkmcnt(0)
	s_barrier
	; wave barrier
	s_and_saveexec_b64 s[26:27], s[40:41]
; %bb.19:                               ;   in Loop: Header=BB361_2 Depth=1
	v_bcnt_u32_b32 v1, v1, 0
	v_bcnt_u32_b32 v1, v2, v1
	ds_write_b32 v28, v1 offset:16
; %bb.20:                               ;   in Loop: Header=BB361_2 Depth=1
	s_or_b64 exec, exec, s[26:27]
	; wave barrier
	s_waitcnt lgkmcnt(0)
	s_barrier
	ds_read2_b64 v[1:4], v20 offset0:2 offset1:3
	s_waitcnt lgkmcnt(0)
	v_add_u32_e32 v29, v2, v1
	v_add3_u32 v4, v29, v3, v4
	s_nop 1
	v_mov_b32_dpp v29, v4 row_shr:1 row_mask:0xf bank_mask:0xf
	v_cndmask_b32_e64 v29, v29, 0, s[10:11]
	v_add_u32_e32 v4, v29, v4
	s_nop 1
	v_mov_b32_dpp v29, v4 row_shr:2 row_mask:0xf bank_mask:0xf
	v_cndmask_b32_e64 v29, 0, v29, s[12:13]
	v_add_u32_e32 v4, v4, v29
	;; [unrolled: 4-line block ×4, first 2 shown]
	s_nop 1
	v_mov_b32_dpp v29, v4 row_bcast:15 row_mask:0xf bank_mask:0xf
	v_cndmask_b32_e64 v29, v29, 0, s[18:19]
	v_add_u32_e32 v4, v4, v29
	s_nop 1
	v_mov_b32_dpp v29, v4 row_bcast:31 row_mask:0xf bank_mask:0xf
	v_cndmask_b32_e64 v29, 0, v29, s[8:9]
	v_add_u32_e32 v4, v4, v29
	s_and_saveexec_b64 s[26:27], s[20:21]
; %bb.21:                               ;   in Loop: Header=BB361_2 Depth=1
	ds_write_b32 v21, v4
; %bb.22:                               ;   in Loop: Header=BB361_2 Depth=1
	s_or_b64 exec, exec, s[26:27]
	s_waitcnt lgkmcnt(0)
	s_barrier
	s_and_saveexec_b64 s[26:27], s[0:1]
	s_cbranch_execz .LBB361_24
; %bb.23:                               ;   in Loop: Header=BB361_2 Depth=1
	ds_read_b32 v29, v22
	s_waitcnt lgkmcnt(0)
	s_nop 0
	v_mov_b32_dpp v30, v29 row_shr:1 row_mask:0xf bank_mask:0xf
	v_cndmask_b32_e64 v30, v30, 0, s[22:23]
	v_add_u32_e32 v29, v30, v29
	s_nop 1
	v_mov_b32_dpp v30, v29 row_shr:2 row_mask:0xf bank_mask:0xf
	v_cndmask_b32_e64 v30, 0, v30, s[24:25]
	v_add_u32_e32 v29, v29, v30
	ds_write_b32 v22, v29
.LBB361_24:                             ;   in Loop: Header=BB361_2 Depth=1
	s_or_b64 exec, exec, s[26:27]
	v_mov_b32_e32 v29, 0
	s_waitcnt lgkmcnt(0)
	s_barrier
	s_and_saveexec_b64 s[26:27], s[2:3]
; %bb.25:                               ;   in Loop: Header=BB361_2 Depth=1
	ds_read_b32 v29, v25
; %bb.26:                               ;   in Loop: Header=BB361_2 Depth=1
	s_or_b64 exec, exec, s[26:27]
	s_waitcnt lgkmcnt(0)
	v_add_u32_e32 v4, v29, v4
	ds_bpermute_b32 v4, v26, v4
	s_mov_b32 s39, 24
	s_mov_b32 s40, 8
	s_waitcnt lgkmcnt(0)
	v_cndmask_b32_e64 v4, v4, v29, s[6:7]
	v_cndmask_b32_e64 v29, v4, 0, s[4:5]
	v_add_u32_e32 v30, v29, v1
	v_add_u32_e32 v1, v30, v2
	;; [unrolled: 1-line block ×3, first 2 shown]
	ds_write2_b64 v20, v[29:30], v[1:2] offset0:2 offset1:3
	s_waitcnt lgkmcnt(0)
	s_barrier
	ds_read_b32 v1, v28 offset:16
	v_lshlrev_b32_e32 v2, 3, v6
	s_waitcnt lgkmcnt(0)
	s_barrier
	v_lshl_add_u32 v1, v1, 3, v2
	ds_write_b64 v1, v[11:12]
	s_waitcnt lgkmcnt(0)
	s_barrier
	ds_read_b64 v[11:12], v23
	s_waitcnt lgkmcnt(0)
	s_barrier
	ds_write_b64 v1, v[13:14]
	s_waitcnt lgkmcnt(0)
	s_barrier
	ds_read_b64 v[13:14], v23
	s_waitcnt lgkmcnt(0)
	s_barrier
	s_branch .LBB361_28
.LBB361_27:                             ;   in Loop: Header=BB361_28 Depth=2
	s_barrier
	ds_write_b64 v6, v[3:4]
	s_waitcnt lgkmcnt(0)
	s_barrier
	ds_read_b64 v[11:12], v23
	s_waitcnt lgkmcnt(0)
	s_barrier
	ds_write_b64 v6, v[1:2]
	s_waitcnt lgkmcnt(0)
	s_barrier
	ds_read_b64 v[13:14], v23
	s_add_i32 s40, s40, -8
	s_add_i32 s39, s39, 8
	s_waitcnt lgkmcnt(0)
	s_barrier
	s_cbranch_execz .LBB361_1
.LBB361_28:                             ;   Parent Loop BB361_2 Depth=1
                                        ; =>  This Inner Loop Header: Depth=2
	s_cmp_lt_u32 s39, 32
	s_cselect_b64 vcc, -1, 0
	s_cmp_gt_u32 s39, 31
	s_cselect_b64 s[26:27], -1, 0
	s_max_i32 s41, s40, 0
	s_max_i32 s42, s39, 32
	s_sub_i32 s43, s42, 32
	s_sub_i32 s42, s42, s41
	;; [unrolled: 1-line block ×3, first 2 shown]
	s_min_i32 s42, s42, 32
	s_sub_i32 s42, s42, s43
	s_lshl_b32 s44, -1, s42
	v_mov_b32_e32 v1, s36
	v_mov_b32_e32 v3, s28
	s_not_b32 s44, s44
	v_mov_b32_e32 v2, s37
	v_mov_b32_e32 v4, s29
	s_cmp_lg_u32 s42, 32
	ds_write2_b64 v20, v[1:2], v[3:4] offset0:2 offset1:3
	s_cselect_b32 s42, s44, -1
	v_lshrrev_b32_e32 v2, s43, v11
	v_lshrrev_b32_e32 v1, s39, v12
	v_and_b32_e32 v2, s42, v2
	v_bfe_u32 v1, v1, 0, s40
	v_lshlrev_b32_e32 v2, s41, v2
	v_cndmask_b32_e32 v1, 0, v1, vcc
	v_cndmask_b32_e64 v2, 0, v2, s[26:27]
	v_or_b32_e32 v1, v1, v2
	v_and_b32_e32 v2, 1, v1
	v_add_co_u32_e32 v4, vcc, -1, v2
	v_addc_co_u32_e64 v6, s[26:27], 0, -1, vcc
	v_cmp_ne_u32_e32 vcc, 0, v2
	v_xor_b32_e32 v2, vcc_hi, v6
	v_lshlrev_b32_e32 v6, 30, v1
	v_xor_b32_e32 v4, vcc_lo, v4
	v_cmp_gt_i64_e32 vcc, 0, v[5:6]
	v_not_b32_e32 v6, v6
	v_ashrrev_i32_e32 v6, 31, v6
	v_and_b32_e32 v4, exec_lo, v4
	v_xor_b32_e32 v28, vcc_hi, v6
	v_xor_b32_e32 v6, vcc_lo, v6
	v_and_b32_e32 v4, v4, v6
	v_lshlrev_b32_e32 v6, 29, v1
	v_cmp_gt_i64_e32 vcc, 0, v[5:6]
	v_not_b32_e32 v6, v6
	v_and_b32_e32 v2, exec_hi, v2
	v_ashrrev_i32_e32 v6, 31, v6
	v_and_b32_e32 v2, v2, v28
	v_xor_b32_e32 v28, vcc_hi, v6
	v_xor_b32_e32 v6, vcc_lo, v6
	v_and_b32_e32 v4, v4, v6
	v_lshlrev_b32_e32 v6, 28, v1
	v_cmp_gt_i64_e32 vcc, 0, v[5:6]
	v_not_b32_e32 v6, v6
	v_ashrrev_i32_e32 v6, 31, v6
	v_and_b32_e32 v2, v2, v28
	v_xor_b32_e32 v28, vcc_hi, v6
	v_xor_b32_e32 v6, vcc_lo, v6
	v_and_b32_e32 v4, v4, v6
	v_lshlrev_b32_e32 v6, 27, v1
	v_cmp_gt_i64_e32 vcc, 0, v[5:6]
	v_not_b32_e32 v6, v6
	;; [unrolled: 8-line block ×4, first 2 shown]
	v_ashrrev_i32_e32 v6, 31, v6
	v_and_b32_e32 v2, v2, v28
	v_xor_b32_e32 v28, vcc_hi, v6
	v_xor_b32_e32 v6, vcc_lo, v6
	v_and_b32_e32 v4, v4, v6
	v_lshlrev_b32_e32 v6, 24, v1
	v_lshlrev_b32_e32 v3, 4, v1
	v_cmp_gt_i64_e32 vcc, 0, v[5:6]
	v_not_b32_e32 v1, v6
	v_ashrrev_i32_e32 v1, 31, v1
	v_xor_b32_e32 v6, vcc_hi, v1
	v_xor_b32_e32 v1, vcc_lo, v1
	v_and_b32_e32 v2, v2, v28
	v_and_b32_e32 v1, v4, v1
	v_and_b32_e32 v2, v2, v6
	v_mbcnt_lo_u32_b32 v4, v1, 0
	v_mbcnt_hi_u32_b32 v6, v2, v4
	v_cmp_ne_u64_e32 vcc, 0, v[1:2]
	v_cmp_eq_u32_e64 s[26:27], 0, v6
	s_and_b64 s[42:43], s[26:27], vcc
	v_add_u32_e32 v28, v27, v3
	s_waitcnt lgkmcnt(0)
	s_barrier
	; wave barrier
	s_and_saveexec_b64 s[26:27], s[42:43]
; %bb.29:                               ;   in Loop: Header=BB361_28 Depth=2
	v_bcnt_u32_b32 v1, v1, 0
	v_bcnt_u32_b32 v1, v2, v1
	ds_write_b32 v28, v1 offset:16
; %bb.30:                               ;   in Loop: Header=BB361_28 Depth=2
	s_or_b64 exec, exec, s[26:27]
	; wave barrier
	s_waitcnt lgkmcnt(0)
	s_barrier
	ds_read2_b64 v[1:4], v20 offset0:2 offset1:3
	s_waitcnt lgkmcnt(0)
	v_add_u32_e32 v29, v2, v1
	v_add3_u32 v4, v29, v3, v4
	s_nop 1
	v_mov_b32_dpp v29, v4 row_shr:1 row_mask:0xf bank_mask:0xf
	v_cndmask_b32_e64 v29, v29, 0, s[10:11]
	v_add_u32_e32 v4, v29, v4
	s_nop 1
	v_mov_b32_dpp v29, v4 row_shr:2 row_mask:0xf bank_mask:0xf
	v_cndmask_b32_e64 v29, 0, v29, s[12:13]
	v_add_u32_e32 v4, v4, v29
	;; [unrolled: 4-line block ×4, first 2 shown]
	s_nop 1
	v_mov_b32_dpp v29, v4 row_bcast:15 row_mask:0xf bank_mask:0xf
	v_cndmask_b32_e64 v29, v29, 0, s[18:19]
	v_add_u32_e32 v4, v4, v29
	s_nop 1
	v_mov_b32_dpp v29, v4 row_bcast:31 row_mask:0xf bank_mask:0xf
	v_cndmask_b32_e64 v29, 0, v29, s[8:9]
	v_add_u32_e32 v4, v4, v29
	s_and_saveexec_b64 s[26:27], s[20:21]
; %bb.31:                               ;   in Loop: Header=BB361_28 Depth=2
	ds_write_b32 v21, v4
; %bb.32:                               ;   in Loop: Header=BB361_28 Depth=2
	s_or_b64 exec, exec, s[26:27]
	s_waitcnt lgkmcnt(0)
	s_barrier
	s_and_saveexec_b64 s[26:27], s[0:1]
	s_cbranch_execz .LBB361_34
; %bb.33:                               ;   in Loop: Header=BB361_28 Depth=2
	ds_read_b32 v29, v22
	s_waitcnt lgkmcnt(0)
	s_nop 0
	v_mov_b32_dpp v30, v29 row_shr:1 row_mask:0xf bank_mask:0xf
	v_cndmask_b32_e64 v30, v30, 0, s[22:23]
	v_add_u32_e32 v29, v30, v29
	s_nop 1
	v_mov_b32_dpp v30, v29 row_shr:2 row_mask:0xf bank_mask:0xf
	v_cndmask_b32_e64 v30, 0, v30, s[24:25]
	v_add_u32_e32 v29, v29, v30
	ds_write_b32 v22, v29
.LBB361_34:                             ;   in Loop: Header=BB361_28 Depth=2
	s_or_b64 exec, exec, s[26:27]
	v_mov_b32_e32 v29, 0
	s_waitcnt lgkmcnt(0)
	s_barrier
	s_and_saveexec_b64 s[26:27], s[2:3]
; %bb.35:                               ;   in Loop: Header=BB361_28 Depth=2
	ds_read_b32 v29, v25
; %bb.36:                               ;   in Loop: Header=BB361_28 Depth=2
	s_or_b64 exec, exec, s[26:27]
	s_waitcnt lgkmcnt(0)
	v_add_u32_e32 v4, v29, v4
	ds_bpermute_b32 v4, v26, v4
	s_cmp_gt_u32 s39, 55
	s_waitcnt lgkmcnt(0)
	v_cndmask_b32_e64 v4, v4, v29, s[6:7]
	v_cndmask_b32_e64 v29, v4, 0, s[4:5]
	v_add_u32_e32 v30, v29, v1
	v_add_u32_e32 v1, v30, v2
	;; [unrolled: 1-line block ×3, first 2 shown]
	ds_write2_b64 v20, v[29:30], v[1:2] offset0:2 offset1:3
	s_waitcnt lgkmcnt(0)
	s_barrier
	ds_read_b32 v1, v28 offset:16
	v_lshlrev_b32_e32 v2, 3, v6
	v_mov_b32_e32 v3, v11
	v_mov_b32_e32 v4, v12
	s_waitcnt lgkmcnt(0)
	v_lshl_add_u32 v6, v1, 3, v2
	v_mov_b32_e32 v1, v13
	v_mov_b32_e32 v2, v14
	s_cbranch_scc0 .LBB361_27
; %bb.37:                               ;   in Loop: Header=BB361_2 Depth=1
                                        ; implicit-def: $sgpr39
                                        ; implicit-def: $vgpr13
                                        ; implicit-def: $vgpr11
                                        ; implicit-def: $sgpr40
	s_branch .LBB361_1
.LBB361_38:
	s_brev_b32 s0, 1
	s_waitcnt lgkmcnt(0)
	v_add3_u32 v1, v13, v11, s0
	v_add3_u32 v2, v14, v12, s0
	s_add_u32 s0, s30, s34
	s_addc_u32 s1, s31, s35
	v_lshlrev_b32_e32 v0, 3, v0
	global_store_dwordx2 v0, v[1:2], s[0:1]
	s_endpgm
	.section	.rodata,"a",@progbits
	.p2align	6, 0x0
	.amdhsa_kernel _Z17sort_pairs_kernelI22helper_blocked_stripedN15benchmark_utils11custom_typeIiiEELj256ELj1ELj10EEvPKT0_PS4_
		.amdhsa_group_segment_fixed_size 4112
		.amdhsa_private_segment_fixed_size 0
		.amdhsa_kernarg_size 272
		.amdhsa_user_sgpr_count 6
		.amdhsa_user_sgpr_private_segment_buffer 1
		.amdhsa_user_sgpr_dispatch_ptr 0
		.amdhsa_user_sgpr_queue_ptr 0
		.amdhsa_user_sgpr_kernarg_segment_ptr 1
		.amdhsa_user_sgpr_dispatch_id 0
		.amdhsa_user_sgpr_flat_scratch_init 0
		.amdhsa_user_sgpr_private_segment_size 0
		.amdhsa_uses_dynamic_stack 0
		.amdhsa_system_sgpr_private_segment_wavefront_offset 0
		.amdhsa_system_sgpr_workgroup_id_x 1
		.amdhsa_system_sgpr_workgroup_id_y 0
		.amdhsa_system_sgpr_workgroup_id_z 0
		.amdhsa_system_sgpr_workgroup_info 0
		.amdhsa_system_vgpr_workitem_id 2
		.amdhsa_next_free_vgpr 31
		.amdhsa_next_free_sgpr 45
		.amdhsa_reserve_vcc 1
		.amdhsa_reserve_flat_scratch 0
		.amdhsa_float_round_mode_32 0
		.amdhsa_float_round_mode_16_64 0
		.amdhsa_float_denorm_mode_32 3
		.amdhsa_float_denorm_mode_16_64 3
		.amdhsa_dx10_clamp 1
		.amdhsa_ieee_mode 1
		.amdhsa_fp16_overflow 0
		.amdhsa_exception_fp_ieee_invalid_op 0
		.amdhsa_exception_fp_denorm_src 0
		.amdhsa_exception_fp_ieee_div_zero 0
		.amdhsa_exception_fp_ieee_overflow 0
		.amdhsa_exception_fp_ieee_underflow 0
		.amdhsa_exception_fp_ieee_inexact 0
		.amdhsa_exception_int_div_zero 0
	.end_amdhsa_kernel
	.section	.text._Z17sort_pairs_kernelI22helper_blocked_stripedN15benchmark_utils11custom_typeIiiEELj256ELj1ELj10EEvPKT0_PS4_,"axG",@progbits,_Z17sort_pairs_kernelI22helper_blocked_stripedN15benchmark_utils11custom_typeIiiEELj256ELj1ELj10EEvPKT0_PS4_,comdat
.Lfunc_end361:
	.size	_Z17sort_pairs_kernelI22helper_blocked_stripedN15benchmark_utils11custom_typeIiiEELj256ELj1ELj10EEvPKT0_PS4_, .Lfunc_end361-_Z17sort_pairs_kernelI22helper_blocked_stripedN15benchmark_utils11custom_typeIiiEELj256ELj1ELj10EEvPKT0_PS4_
                                        ; -- End function
	.set _Z17sort_pairs_kernelI22helper_blocked_stripedN15benchmark_utils11custom_typeIiiEELj256ELj1ELj10EEvPKT0_PS4_.num_vgpr, 31
	.set _Z17sort_pairs_kernelI22helper_blocked_stripedN15benchmark_utils11custom_typeIiiEELj256ELj1ELj10EEvPKT0_PS4_.num_agpr, 0
	.set _Z17sort_pairs_kernelI22helper_blocked_stripedN15benchmark_utils11custom_typeIiiEELj256ELj1ELj10EEvPKT0_PS4_.numbered_sgpr, 45
	.set _Z17sort_pairs_kernelI22helper_blocked_stripedN15benchmark_utils11custom_typeIiiEELj256ELj1ELj10EEvPKT0_PS4_.num_named_barrier, 0
	.set _Z17sort_pairs_kernelI22helper_blocked_stripedN15benchmark_utils11custom_typeIiiEELj256ELj1ELj10EEvPKT0_PS4_.private_seg_size, 0
	.set _Z17sort_pairs_kernelI22helper_blocked_stripedN15benchmark_utils11custom_typeIiiEELj256ELj1ELj10EEvPKT0_PS4_.uses_vcc, 1
	.set _Z17sort_pairs_kernelI22helper_blocked_stripedN15benchmark_utils11custom_typeIiiEELj256ELj1ELj10EEvPKT0_PS4_.uses_flat_scratch, 0
	.set _Z17sort_pairs_kernelI22helper_blocked_stripedN15benchmark_utils11custom_typeIiiEELj256ELj1ELj10EEvPKT0_PS4_.has_dyn_sized_stack, 0
	.set _Z17sort_pairs_kernelI22helper_blocked_stripedN15benchmark_utils11custom_typeIiiEELj256ELj1ELj10EEvPKT0_PS4_.has_recursion, 0
	.set _Z17sort_pairs_kernelI22helper_blocked_stripedN15benchmark_utils11custom_typeIiiEELj256ELj1ELj10EEvPKT0_PS4_.has_indirect_call, 0
	.section	.AMDGPU.csdata,"",@progbits
; Kernel info:
; codeLenInByte = 4008
; TotalNumSgprs: 49
; NumVgprs: 31
; ScratchSize: 0
; MemoryBound: 0
; FloatMode: 240
; IeeeMode: 1
; LDSByteSize: 4112 bytes/workgroup (compile time only)
; SGPRBlocks: 6
; VGPRBlocks: 7
; NumSGPRsForWavesPerEU: 49
; NumVGPRsForWavesPerEU: 31
; Occupancy: 8
; WaveLimiterHint : 0
; COMPUTE_PGM_RSRC2:SCRATCH_EN: 0
; COMPUTE_PGM_RSRC2:USER_SGPR: 6
; COMPUTE_PGM_RSRC2:TRAP_HANDLER: 0
; COMPUTE_PGM_RSRC2:TGID_X_EN: 1
; COMPUTE_PGM_RSRC2:TGID_Y_EN: 0
; COMPUTE_PGM_RSRC2:TGID_Z_EN: 0
; COMPUTE_PGM_RSRC2:TIDIG_COMP_CNT: 2
	.section	.text._Z16sort_keys_kernelI22helper_blocked_stripedN15benchmark_utils11custom_typeIiiEELj256ELj3ELj10EEvPKT0_PS4_,"axG",@progbits,_Z16sort_keys_kernelI22helper_blocked_stripedN15benchmark_utils11custom_typeIiiEELj256ELj3ELj10EEvPKT0_PS4_,comdat
	.protected	_Z16sort_keys_kernelI22helper_blocked_stripedN15benchmark_utils11custom_typeIiiEELj256ELj3ELj10EEvPKT0_PS4_ ; -- Begin function _Z16sort_keys_kernelI22helper_blocked_stripedN15benchmark_utils11custom_typeIiiEELj256ELj3ELj10EEvPKT0_PS4_
	.globl	_Z16sort_keys_kernelI22helper_blocked_stripedN15benchmark_utils11custom_typeIiiEELj256ELj3ELj10EEvPKT0_PS4_
	.p2align	8
	.type	_Z16sort_keys_kernelI22helper_blocked_stripedN15benchmark_utils11custom_typeIiiEELj256ELj3ELj10EEvPKT0_PS4_,@function
_Z16sort_keys_kernelI22helper_blocked_stripedN15benchmark_utils11custom_typeIiiEELj256ELj3ELj10EEvPKT0_PS4_: ; @_Z16sort_keys_kernelI22helper_blocked_stripedN15benchmark_utils11custom_typeIiiEELj256ELj3ELj10EEvPKT0_PS4_
; %bb.0:
	s_load_dwordx4 s[36:39], s[4:5], 0x0
	s_load_dword s0, s[4:5], 0x1c
	s_mul_i32 s34, s6, 0x300
	s_mov_b32 s35, 0
	s_lshl_b64 s[40:41], s[34:35], 3
	s_waitcnt lgkmcnt(0)
	s_add_u32 s26, s36, s40
	s_addc_u32 s27, s37, s41
	v_mul_u32_u24_e32 v3, 3, v0
	s_lshr_b32 s1, s0, 16
	v_lshlrev_b32_e32 v14, 3, v3
	v_mbcnt_lo_u32_b32 v3, -1, 0
	s_and_b32 s0, s0, 0xffff
	v_mad_u32_u24 v1, v2, s1, v1
	v_mbcnt_hi_u32_b32 v3, -1, v3
	v_mad_u64_u32 v[1:2], s[0:1], v1, s0, v[0:1]
	v_lshrrev_b32_e32 v4, 6, v0
	v_and_b32_e32 v2, 15, v3
	v_mul_u32_u24_e32 v5, 0xc0, v4
	v_cmp_eq_u32_e64 s[0:1], 0, v2
	v_cmp_lt_u32_e64 s[2:3], 1, v2
	v_cmp_lt_u32_e64 s[4:5], 3, v2
	v_cmp_lt_u32_e64 s[6:7], 7, v2
	v_and_b32_e32 v2, 16, v3
	v_lshlrev_b32_e32 v5, 3, v5
	v_lshlrev_b32_e32 v9, 3, v3
	v_cmp_eq_u32_e64 s[8:9], 0, v2
	v_and_b32_e32 v2, 0xc0, v0
	v_mad_u32_u24 v19, v3, 24, v5
	v_add_u32_e32 v20, v9, v5
	v_or_b32_e32 v5, 63, v2
	v_cmp_eq_u32_e64 s[12:13], v0, v5
	v_subrev_co_u32_e64 v5, s[18:19], 1, v3
	v_and_b32_e32 v6, 64, v3
	v_lshlrev_b32_e32 v21, 4, v0
	v_cmp_lt_i32_e32 vcc, v5, v6
	v_lshrrev_b32_e32 v1, 4, v1
	v_cmp_lt_u32_e64 s[10:11], 31, v3
	v_cndmask_b32_e32 v5, v5, v3, vcc
	v_mad_i32_i24 v24, v0, -12, v21
	v_and_b32_e32 v3, 3, v3
	v_mul_u32_u24_e32 v2, 24, v2
	v_and_b32_e32 v25, 0xffffffc, v1
	v_lshlrev_b32_e32 v1, 2, v0
	global_load_dwordx2 v[10:11], v14, s[26:27] offset:16
	v_lshlrev_b32_e32 v23, 2, v4
	v_cmp_eq_u32_e64 s[22:23], 0, v3
	v_cmp_lt_u32_e64 s[24:25], 1, v3
	v_add_u32_e32 v26, v9, v2
	v_add_u32_e32 v27, v24, v1
	global_load_dwordx2 v[12:13], v14, s[26:27]
	global_load_dwordx4 v[1:4], v14, s[26:27]
	s_mov_b32 s34, s35
	s_mov_b32 s28, s35
	v_lshlrev_b32_e32 v22, 2, v5
	s_mov_b32 s29, s35
	v_mov_b32_e32 v5, s34
	v_mov_b32_e32 v7, s28
	v_cmp_gt_u32_e64 s[14:15], 4, v0
	v_cmp_lt_u32_e64 s[16:17], 63, v0
	v_cmp_eq_u32_e64 s[20:21], 0, v0
	v_mov_b32_e32 v6, s35
	v_mov_b32_e32 v8, s29
	;; [unrolled: 1-line block ×3, first 2 shown]
	s_branch .LBB362_2
.LBB362_1:                              ;   in Loop: Header=BB362_2 Depth=1
	s_barrier
	ds_write_b64 v29, v[15:16]
	ds_write_b64 v28, v[13:14]
	ds_write_b64 v10, v[11:12]
	s_waitcnt lgkmcnt(0)
	s_barrier
	ds_read2st64_b64 v[1:4], v27 offset1:4
	ds_read_b64 v[10:11], v27 offset:4096
	s_add_i32 s35, s35, 1
	s_cmp_eq_u32 s35, 10
	s_waitcnt lgkmcnt(1)
	v_xor_b32_e32 v12, 0x80000000, v1
	v_xor_b32_e32 v13, 0x80000000, v2
	;; [unrolled: 1-line block ×4, first 2 shown]
	s_waitcnt lgkmcnt(0)
	v_xor_b32_e32 v10, 0x80000000, v10
	v_xor_b32_e32 v11, 0x80000000, v11
	s_cbranch_scc1 .LBB362_18
.LBB362_2:                              ; =>This Loop Header: Depth=1
                                        ;     Child Loop BB362_4 Depth 2
	s_waitcnt vmcnt(0)
	v_xor_b32_e32 v2, 0x80000000, v13
	v_xor_b32_e32 v1, 0x80000000, v12
	;; [unrolled: 1-line block ×6, first 2 shown]
	ds_write2_b64 v19, v[1:2], v[3:4] offset1:1
	ds_write_b64 v19, v[10:11] offset:16
	; wave barrier
	ds_read2st64_b64 v[1:4], v20 offset1:1
	ds_read_b64 v[17:18], v20 offset:1024
	s_mov_b32 s33, 8
	s_mov_b32 s34, 32
	s_mov_b32 s36, 0
	s_waitcnt lgkmcnt(0)
	s_barrier
	; wave barrier
	s_barrier
	s_branch .LBB362_4
.LBB362_3:                              ;   in Loop: Header=BB362_4 Depth=2
	s_andn2_b64 vcc, exec, s[26:27]
	s_cbranch_vccz .LBB362_1
.LBB362_4:                              ;   Parent Loop BB362_2 Depth=1
                                        ; =>  This Inner Loop Header: Depth=2
	s_min_i32 s28, s33, 32
	s_cmp_lt_u32 s36, 32
	s_cselect_b64 s[26:27], -1, 0
	s_cmp_gt_u32 s36, 31
	s_cselect_b64 vcc, -1, 0
	s_sub_i32 s28, s28, 32
	s_add_i32 s29, s28, s34
	s_lshl_b32 s29, -1, s29
	s_not_b32 s29, s29
	s_cmp_lg_u32 s28, s36
	s_cselect_b32 s42, s29, -1
	s_max_i32 s37, s34, 0
	s_max_i32 s28, s36, 32
	s_sub_i32 s43, s28, 32
	s_sub_i32 s28, s28, s37
	;; [unrolled: 1-line block ×3, first 2 shown]
	s_min_i32 s28, s28, 32
	s_sub_i32 s28, s28, s43
	s_lshl_b32 s29, -1, s28
	v_mov_b32_e32 v16, v2
	s_not_b32 s29, s29
	v_mov_b32_e32 v15, v1
	s_cmp_lg_u32 s28, 32
	s_cselect_b32 s44, s29, -1
	v_lshrrev_b32_e32 v2, s43, v15
	v_lshrrev_b32_e32 v1, s36, v16
	v_and_b32_e32 v2, s44, v2
	v_and_b32_e32 v1, s42, v1
	v_lshlrev_b32_e32 v2, s37, v2
	v_cndmask_b32_e64 v1, 0, v1, s[26:27]
	v_cndmask_b32_e32 v2, 0, v2, vcc
	v_or_b32_e32 v1, v1, v2
	v_mov_b32_e32 v14, v4
	v_and_b32_e32 v2, 1, v1
	v_mov_b32_e32 v13, v3
	v_add_co_u32_e64 v4, s[28:29], -1, v2
	v_addc_co_u32_e64 v10, s[28:29], 0, -1, s[28:29]
	v_cmp_ne_u32_e64 s[28:29], 0, v2
	v_xor_b32_e32 v2, s29, v10
	v_lshlrev_b32_e32 v10, 30, v1
	v_xor_b32_e32 v4, s28, v4
	v_cmp_gt_i64_e64 s[28:29], 0, v[9:10]
	v_not_b32_e32 v10, v10
	v_mov_b32_e32 v11, v17
	v_ashrrev_i32_e32 v10, 31, v10
	v_mov_b32_e32 v12, v18
	v_and_b32_e32 v4, exec_lo, v4
	v_xor_b32_e32 v17, s29, v10
	v_xor_b32_e32 v10, s28, v10
	v_and_b32_e32 v4, v4, v10
	v_lshlrev_b32_e32 v10, 29, v1
	v_cmp_gt_i64_e64 s[28:29], 0, v[9:10]
	v_not_b32_e32 v10, v10
	v_and_b32_e32 v2, exec_hi, v2
	v_ashrrev_i32_e32 v10, 31, v10
	v_and_b32_e32 v2, v2, v17
	v_xor_b32_e32 v17, s29, v10
	v_xor_b32_e32 v10, s28, v10
	v_and_b32_e32 v4, v4, v10
	v_lshlrev_b32_e32 v10, 28, v1
	v_cmp_gt_i64_e64 s[28:29], 0, v[9:10]
	v_not_b32_e32 v10, v10
	v_ashrrev_i32_e32 v10, 31, v10
	v_and_b32_e32 v2, v2, v17
	v_xor_b32_e32 v17, s29, v10
	v_xor_b32_e32 v10, s28, v10
	v_and_b32_e32 v4, v4, v10
	v_lshlrev_b32_e32 v10, 27, v1
	v_cmp_gt_i64_e64 s[28:29], 0, v[9:10]
	v_not_b32_e32 v10, v10
	;; [unrolled: 8-line block ×4, first 2 shown]
	v_ashrrev_i32_e32 v10, 31, v10
	v_and_b32_e32 v2, v2, v17
	v_xor_b32_e32 v17, s29, v10
	v_xor_b32_e32 v10, s28, v10
	v_and_b32_e32 v4, v4, v10
	v_lshlrev_b32_e32 v10, 24, v1
	v_lshlrev_b32_e32 v3, 4, v1
	v_cmp_gt_i64_e64 s[28:29], 0, v[9:10]
	v_not_b32_e32 v1, v10
	v_ashrrev_i32_e32 v1, 31, v1
	v_xor_b32_e32 v10, s29, v1
	v_xor_b32_e32 v1, s28, v1
	v_and_b32_e32 v2, v2, v17
	v_and_b32_e32 v1, v4, v1
	;; [unrolled: 1-line block ×3, first 2 shown]
	v_mbcnt_lo_u32_b32 v4, v1, 0
	v_mbcnt_hi_u32_b32 v17, v2, v4
	v_cmp_ne_u64_e64 s[28:29], 0, v[1:2]
	v_cmp_eq_u32_e64 s[30:31], 0, v17
	s_and_b64 s[30:31], s[30:31], s[28:29]
	v_add_u32_e32 v18, v25, v3
	ds_write2_b64 v21, v[5:6], v[7:8] offset0:2 offset1:3
	s_waitcnt lgkmcnt(0)
	s_barrier
	; wave barrier
	s_and_saveexec_b64 s[28:29], s[30:31]
; %bb.5:                                ;   in Loop: Header=BB362_4 Depth=2
	v_bcnt_u32_b32 v1, v1, 0
	v_bcnt_u32_b32 v1, v2, v1
	ds_write_b32 v18, v1 offset:16
; %bb.6:                                ;   in Loop: Header=BB362_4 Depth=2
	s_or_b64 exec, exec, s[28:29]
	v_lshrrev_b32_e32 v2, s43, v13
	v_lshrrev_b32_e32 v1, s36, v14
	v_and_b32_e32 v2, s44, v2
	v_and_b32_e32 v1, s42, v1
	v_lshlrev_b32_e32 v2, s37, v2
	v_cndmask_b32_e64 v1, 0, v1, s[26:27]
	v_cndmask_b32_e32 v2, 0, v2, vcc
	v_or_b32_e32 v1, v1, v2
	v_lshlrev_b32_e32 v2, 4, v1
	v_add_u32_e32 v29, v25, v2
	v_and_b32_e32 v2, 1, v1
	v_add_co_u32_e64 v3, s[28:29], -1, v2
	v_addc_co_u32_e64 v4, s[28:29], 0, -1, s[28:29]
	v_cmp_ne_u32_e64 s[28:29], 0, v2
	v_lshlrev_b32_e32 v10, 30, v1
	v_xor_b32_e32 v2, s29, v4
	v_xor_b32_e32 v3, s28, v3
	v_cmp_gt_i64_e64 s[28:29], 0, v[9:10]
	v_not_b32_e32 v4, v10
	v_ashrrev_i32_e32 v4, 31, v4
	v_and_b32_e32 v2, exec_hi, v2
	v_xor_b32_e32 v10, s29, v4
	v_and_b32_e32 v3, exec_lo, v3
	v_xor_b32_e32 v4, s28, v4
	v_and_b32_e32 v2, v2, v10
	v_lshlrev_b32_e32 v10, 29, v1
	v_and_b32_e32 v3, v3, v4
	v_cmp_gt_i64_e64 s[28:29], 0, v[9:10]
	v_not_b32_e32 v4, v10
	v_ashrrev_i32_e32 v4, 31, v4
	v_xor_b32_e32 v10, s29, v4
	v_xor_b32_e32 v4, s28, v4
	v_and_b32_e32 v2, v2, v10
	v_lshlrev_b32_e32 v10, 28, v1
	v_and_b32_e32 v3, v3, v4
	v_cmp_gt_i64_e64 s[28:29], 0, v[9:10]
	v_not_b32_e32 v4, v10
	v_ashrrev_i32_e32 v4, 31, v4
	v_xor_b32_e32 v10, s29, v4
	;; [unrolled: 8-line block ×5, first 2 shown]
	v_and_b32_e32 v2, v2, v10
	v_lshlrev_b32_e32 v10, 24, v1
	v_xor_b32_e32 v4, s28, v4
	v_cmp_gt_i64_e64 s[28:29], 0, v[9:10]
	v_not_b32_e32 v1, v10
	v_ashrrev_i32_e32 v1, 31, v1
	v_and_b32_e32 v3, v3, v4
	v_xor_b32_e32 v4, s29, v1
	v_xor_b32_e32 v1, s28, v1
	; wave barrier
	ds_read_b32 v28, v29 offset:16
	v_and_b32_e32 v1, v3, v1
	v_and_b32_e32 v2, v2, v4
	v_mbcnt_lo_u32_b32 v3, v1, 0
	v_mbcnt_hi_u32_b32 v30, v2, v3
	v_cmp_ne_u64_e64 s[28:29], 0, v[1:2]
	v_cmp_eq_u32_e64 s[30:31], 0, v30
	s_and_b64 s[30:31], s[30:31], s[28:29]
	; wave barrier
	s_and_saveexec_b64 s[28:29], s[30:31]
	s_cbranch_execz .LBB362_8
; %bb.7:                                ;   in Loop: Header=BB362_4 Depth=2
	v_bcnt_u32_b32 v1, v1, 0
	v_bcnt_u32_b32 v1, v2, v1
	s_waitcnt lgkmcnt(0)
	v_add_u32_e32 v1, v28, v1
	ds_write_b32 v29, v1 offset:16
.LBB362_8:                              ;   in Loop: Header=BB362_4 Depth=2
	s_or_b64 exec, exec, s[28:29]
	v_lshrrev_b32_e32 v2, s43, v11
	v_lshrrev_b32_e32 v1, s36, v12
	v_and_b32_e32 v2, s44, v2
	v_and_b32_e32 v1, s42, v1
	v_lshlrev_b32_e32 v2, s37, v2
	v_cndmask_b32_e64 v1, 0, v1, s[26:27]
	v_cndmask_b32_e32 v2, 0, v2, vcc
	v_or_b32_e32 v1, v1, v2
	v_lshlrev_b32_e32 v2, 4, v1
	v_add_u32_e32 v32, v25, v2
	v_and_b32_e32 v2, 1, v1
	v_add_co_u32_e32 v3, vcc, -1, v2
	v_addc_co_u32_e64 v4, s[26:27], 0, -1, vcc
	v_cmp_ne_u32_e32 vcc, 0, v2
	v_lshlrev_b32_e32 v10, 30, v1
	v_xor_b32_e32 v2, vcc_hi, v4
	v_xor_b32_e32 v3, vcc_lo, v3
	v_cmp_gt_i64_e32 vcc, 0, v[9:10]
	v_not_b32_e32 v4, v10
	v_ashrrev_i32_e32 v4, 31, v4
	v_and_b32_e32 v2, exec_hi, v2
	v_xor_b32_e32 v10, vcc_hi, v4
	v_and_b32_e32 v3, exec_lo, v3
	v_xor_b32_e32 v4, vcc_lo, v4
	v_and_b32_e32 v2, v2, v10
	v_lshlrev_b32_e32 v10, 29, v1
	v_and_b32_e32 v3, v3, v4
	v_cmp_gt_i64_e32 vcc, 0, v[9:10]
	v_not_b32_e32 v4, v10
	v_ashrrev_i32_e32 v4, 31, v4
	v_xor_b32_e32 v10, vcc_hi, v4
	v_xor_b32_e32 v4, vcc_lo, v4
	v_and_b32_e32 v2, v2, v10
	v_lshlrev_b32_e32 v10, 28, v1
	v_and_b32_e32 v3, v3, v4
	v_cmp_gt_i64_e32 vcc, 0, v[9:10]
	v_not_b32_e32 v4, v10
	v_ashrrev_i32_e32 v4, 31, v4
	v_xor_b32_e32 v10, vcc_hi, v4
	;; [unrolled: 8-line block ×5, first 2 shown]
	v_and_b32_e32 v2, v2, v10
	v_lshlrev_b32_e32 v10, 24, v1
	v_xor_b32_e32 v4, vcc_lo, v4
	v_cmp_gt_i64_e32 vcc, 0, v[9:10]
	v_not_b32_e32 v1, v10
	v_ashrrev_i32_e32 v1, 31, v1
	v_and_b32_e32 v3, v3, v4
	v_xor_b32_e32 v4, vcc_hi, v1
	v_xor_b32_e32 v1, vcc_lo, v1
	; wave barrier
	ds_read_b32 v31, v32 offset:16
	v_and_b32_e32 v1, v3, v1
	v_and_b32_e32 v2, v2, v4
	v_mbcnt_lo_u32_b32 v3, v1, 0
	v_mbcnt_hi_u32_b32 v10, v2, v3
	v_cmp_ne_u64_e32 vcc, 0, v[1:2]
	v_cmp_eq_u32_e64 s[26:27], 0, v10
	s_and_b64 s[28:29], s[26:27], vcc
	; wave barrier
	s_and_saveexec_b64 s[26:27], s[28:29]
	s_cbranch_execz .LBB362_10
; %bb.9:                                ;   in Loop: Header=BB362_4 Depth=2
	v_bcnt_u32_b32 v1, v1, 0
	v_bcnt_u32_b32 v1, v2, v1
	s_waitcnt lgkmcnt(0)
	v_add_u32_e32 v1, v31, v1
	ds_write_b32 v32, v1 offset:16
.LBB362_10:                             ;   in Loop: Header=BB362_4 Depth=2
	s_or_b64 exec, exec, s[26:27]
	; wave barrier
	s_waitcnt lgkmcnt(0)
	s_barrier
	ds_read2_b64 v[1:4], v21 offset0:2 offset1:3
	s_waitcnt lgkmcnt(0)
	v_add_u32_e32 v33, v2, v1
	v_add3_u32 v4, v33, v3, v4
	s_nop 1
	v_mov_b32_dpp v33, v4 row_shr:1 row_mask:0xf bank_mask:0xf
	v_cndmask_b32_e64 v33, v33, 0, s[0:1]
	v_add_u32_e32 v4, v33, v4
	s_nop 1
	v_mov_b32_dpp v33, v4 row_shr:2 row_mask:0xf bank_mask:0xf
	v_cndmask_b32_e64 v33, 0, v33, s[2:3]
	v_add_u32_e32 v4, v4, v33
	;; [unrolled: 4-line block ×4, first 2 shown]
	s_nop 1
	v_mov_b32_dpp v33, v4 row_bcast:15 row_mask:0xf bank_mask:0xf
	v_cndmask_b32_e64 v33, v33, 0, s[8:9]
	v_add_u32_e32 v4, v4, v33
	s_nop 1
	v_mov_b32_dpp v33, v4 row_bcast:31 row_mask:0xf bank_mask:0xf
	v_cndmask_b32_e64 v33, 0, v33, s[10:11]
	v_add_u32_e32 v4, v4, v33
	s_and_saveexec_b64 s[26:27], s[12:13]
; %bb.11:                               ;   in Loop: Header=BB362_4 Depth=2
	ds_write_b32 v23, v4
; %bb.12:                               ;   in Loop: Header=BB362_4 Depth=2
	s_or_b64 exec, exec, s[26:27]
	s_waitcnt lgkmcnt(0)
	s_barrier
	s_and_saveexec_b64 s[26:27], s[14:15]
	s_cbranch_execz .LBB362_14
; %bb.13:                               ;   in Loop: Header=BB362_4 Depth=2
	ds_read_b32 v33, v24
	s_waitcnt lgkmcnt(0)
	s_nop 0
	v_mov_b32_dpp v34, v33 row_shr:1 row_mask:0xf bank_mask:0xf
	v_cndmask_b32_e64 v34, v34, 0, s[22:23]
	v_add_u32_e32 v33, v34, v33
	s_nop 1
	v_mov_b32_dpp v34, v33 row_shr:2 row_mask:0xf bank_mask:0xf
	v_cndmask_b32_e64 v34, 0, v34, s[24:25]
	v_add_u32_e32 v33, v33, v34
	ds_write_b32 v24, v33
.LBB362_14:                             ;   in Loop: Header=BB362_4 Depth=2
	s_or_b64 exec, exec, s[26:27]
	v_mov_b32_e32 v33, 0
	s_waitcnt lgkmcnt(0)
	s_barrier
	s_and_saveexec_b64 s[26:27], s[16:17]
; %bb.15:                               ;   in Loop: Header=BB362_4 Depth=2
	v_add_u32_e32 v33, -4, v23
	ds_read_b32 v33, v33
; %bb.16:                               ;   in Loop: Header=BB362_4 Depth=2
	s_or_b64 exec, exec, s[26:27]
	s_waitcnt lgkmcnt(0)
	v_add_u32_e32 v4, v33, v4
	ds_bpermute_b32 v4, v22, v4
	s_cmp_gt_u32 s36, 55
	s_mov_b64 s[26:27], -1
	s_waitcnt lgkmcnt(0)
	v_cndmask_b32_e64 v4, v4, v33, s[18:19]
	v_cndmask_b32_e64 v33, v4, 0, s[20:21]
	v_add_u32_e32 v34, v33, v1
	v_add_u32_e32 v1, v34, v2
	;; [unrolled: 1-line block ×3, first 2 shown]
	ds_write2_b64 v21, v[33:34], v[1:2] offset0:2 offset1:3
	s_waitcnt lgkmcnt(0)
	s_barrier
	ds_read_b32 v1, v18 offset:16
	ds_read_b32 v2, v29 offset:16
	ds_read_b32 v3, v32 offset:16
	v_lshlrev_b32_e32 v4, 3, v17
	s_waitcnt lgkmcnt(0)
	v_lshl_add_u32 v29, v1, 3, v4
	v_lshlrev_b32_e32 v1, 3, v30
	v_lshlrev_b32_e32 v4, 3, v28
	;; [unrolled: 1-line block ×3, first 2 shown]
	v_add3_u32 v28, v1, v4, v2
	v_lshlrev_b32_e32 v1, 3, v10
	v_lshlrev_b32_e32 v2, 3, v31
	;; [unrolled: 1-line block ×3, first 2 shown]
	v_add3_u32 v10, v1, v2, v3
                                        ; implicit-def: $vgpr1_vgpr2
                                        ; implicit-def: $vgpr17_vgpr18
	s_cbranch_scc1 .LBB362_3
; %bb.17:                               ;   in Loop: Header=BB362_4 Depth=2
	s_barrier
	ds_write_b64 v29, v[15:16]
	ds_write_b64 v28, v[13:14]
	;; [unrolled: 1-line block ×3, first 2 shown]
	s_waitcnt lgkmcnt(0)
	s_barrier
	ds_read2st64_b64 v[1:4], v26 offset1:1
	ds_read_b64 v[17:18], v26 offset:1024
	s_add_i32 s34, s34, -8
	s_add_i32 s33, s33, 8
	s_add_i32 s36, s36, 8
	s_mov_b64 s[26:27], 0
	s_waitcnt lgkmcnt(0)
	s_barrier
	s_branch .LBB362_3
.LBB362_18:
	s_add_u32 s0, s38, s40
	s_addc_u32 s1, s39, s41
	v_lshlrev_b32_e32 v0, 3, v0
	v_mov_b32_e32 v1, s1
	v_add_co_u32_e32 v2, vcc, s0, v0
	v_addc_co_u32_e32 v1, vcc, 0, v1, vcc
	global_store_dwordx2 v0, v[12:13], s[0:1]
	global_store_dwordx2 v0, v[3:4], s[0:1] offset:2048
	v_add_co_u32_e32 v0, vcc, 0x1000, v2
	v_addc_co_u32_e32 v1, vcc, 0, v1, vcc
	global_store_dwordx2 v[0:1], v[10:11], off
	s_endpgm
	.section	.rodata,"a",@progbits
	.p2align	6, 0x0
	.amdhsa_kernel _Z16sort_keys_kernelI22helper_blocked_stripedN15benchmark_utils11custom_typeIiiEELj256ELj3ELj10EEvPKT0_PS4_
		.amdhsa_group_segment_fixed_size 6144
		.amdhsa_private_segment_fixed_size 0
		.amdhsa_kernarg_size 272
		.amdhsa_user_sgpr_count 6
		.amdhsa_user_sgpr_private_segment_buffer 1
		.amdhsa_user_sgpr_dispatch_ptr 0
		.amdhsa_user_sgpr_queue_ptr 0
		.amdhsa_user_sgpr_kernarg_segment_ptr 1
		.amdhsa_user_sgpr_dispatch_id 0
		.amdhsa_user_sgpr_flat_scratch_init 0
		.amdhsa_user_sgpr_private_segment_size 0
		.amdhsa_uses_dynamic_stack 0
		.amdhsa_system_sgpr_private_segment_wavefront_offset 0
		.amdhsa_system_sgpr_workgroup_id_x 1
		.amdhsa_system_sgpr_workgroup_id_y 0
		.amdhsa_system_sgpr_workgroup_id_z 0
		.amdhsa_system_sgpr_workgroup_info 0
		.amdhsa_system_vgpr_workitem_id 2
		.amdhsa_next_free_vgpr 35
		.amdhsa_next_free_sgpr 45
		.amdhsa_reserve_vcc 1
		.amdhsa_reserve_flat_scratch 0
		.amdhsa_float_round_mode_32 0
		.amdhsa_float_round_mode_16_64 0
		.amdhsa_float_denorm_mode_32 3
		.amdhsa_float_denorm_mode_16_64 3
		.amdhsa_dx10_clamp 1
		.amdhsa_ieee_mode 1
		.amdhsa_fp16_overflow 0
		.amdhsa_exception_fp_ieee_invalid_op 0
		.amdhsa_exception_fp_denorm_src 0
		.amdhsa_exception_fp_ieee_div_zero 0
		.amdhsa_exception_fp_ieee_overflow 0
		.amdhsa_exception_fp_ieee_underflow 0
		.amdhsa_exception_fp_ieee_inexact 0
		.amdhsa_exception_int_div_zero 0
	.end_amdhsa_kernel
	.section	.text._Z16sort_keys_kernelI22helper_blocked_stripedN15benchmark_utils11custom_typeIiiEELj256ELj3ELj10EEvPKT0_PS4_,"axG",@progbits,_Z16sort_keys_kernelI22helper_blocked_stripedN15benchmark_utils11custom_typeIiiEELj256ELj3ELj10EEvPKT0_PS4_,comdat
.Lfunc_end362:
	.size	_Z16sort_keys_kernelI22helper_blocked_stripedN15benchmark_utils11custom_typeIiiEELj256ELj3ELj10EEvPKT0_PS4_, .Lfunc_end362-_Z16sort_keys_kernelI22helper_blocked_stripedN15benchmark_utils11custom_typeIiiEELj256ELj3ELj10EEvPKT0_PS4_
                                        ; -- End function
	.set _Z16sort_keys_kernelI22helper_blocked_stripedN15benchmark_utils11custom_typeIiiEELj256ELj3ELj10EEvPKT0_PS4_.num_vgpr, 35
	.set _Z16sort_keys_kernelI22helper_blocked_stripedN15benchmark_utils11custom_typeIiiEELj256ELj3ELj10EEvPKT0_PS4_.num_agpr, 0
	.set _Z16sort_keys_kernelI22helper_blocked_stripedN15benchmark_utils11custom_typeIiiEELj256ELj3ELj10EEvPKT0_PS4_.numbered_sgpr, 45
	.set _Z16sort_keys_kernelI22helper_blocked_stripedN15benchmark_utils11custom_typeIiiEELj256ELj3ELj10EEvPKT0_PS4_.num_named_barrier, 0
	.set _Z16sort_keys_kernelI22helper_blocked_stripedN15benchmark_utils11custom_typeIiiEELj256ELj3ELj10EEvPKT0_PS4_.private_seg_size, 0
	.set _Z16sort_keys_kernelI22helper_blocked_stripedN15benchmark_utils11custom_typeIiiEELj256ELj3ELj10EEvPKT0_PS4_.uses_vcc, 1
	.set _Z16sort_keys_kernelI22helper_blocked_stripedN15benchmark_utils11custom_typeIiiEELj256ELj3ELj10EEvPKT0_PS4_.uses_flat_scratch, 0
	.set _Z16sort_keys_kernelI22helper_blocked_stripedN15benchmark_utils11custom_typeIiiEELj256ELj3ELj10EEvPKT0_PS4_.has_dyn_sized_stack, 0
	.set _Z16sort_keys_kernelI22helper_blocked_stripedN15benchmark_utils11custom_typeIiiEELj256ELj3ELj10EEvPKT0_PS4_.has_recursion, 0
	.set _Z16sort_keys_kernelI22helper_blocked_stripedN15benchmark_utils11custom_typeIiiEELj256ELj3ELj10EEvPKT0_PS4_.has_indirect_call, 0
	.section	.AMDGPU.csdata,"",@progbits
; Kernel info:
; codeLenInByte = 2580
; TotalNumSgprs: 49
; NumVgprs: 35
; ScratchSize: 0
; MemoryBound: 0
; FloatMode: 240
; IeeeMode: 1
; LDSByteSize: 6144 bytes/workgroup (compile time only)
; SGPRBlocks: 6
; VGPRBlocks: 8
; NumSGPRsForWavesPerEU: 49
; NumVGPRsForWavesPerEU: 35
; Occupancy: 7
; WaveLimiterHint : 1
; COMPUTE_PGM_RSRC2:SCRATCH_EN: 0
; COMPUTE_PGM_RSRC2:USER_SGPR: 6
; COMPUTE_PGM_RSRC2:TRAP_HANDLER: 0
; COMPUTE_PGM_RSRC2:TGID_X_EN: 1
; COMPUTE_PGM_RSRC2:TGID_Y_EN: 0
; COMPUTE_PGM_RSRC2:TGID_Z_EN: 0
; COMPUTE_PGM_RSRC2:TIDIG_COMP_CNT: 2
	.section	.text._Z17sort_pairs_kernelI22helper_blocked_stripedN15benchmark_utils11custom_typeIiiEELj256ELj3ELj10EEvPKT0_PS4_,"axG",@progbits,_Z17sort_pairs_kernelI22helper_blocked_stripedN15benchmark_utils11custom_typeIiiEELj256ELj3ELj10EEvPKT0_PS4_,comdat
	.protected	_Z17sort_pairs_kernelI22helper_blocked_stripedN15benchmark_utils11custom_typeIiiEELj256ELj3ELj10EEvPKT0_PS4_ ; -- Begin function _Z17sort_pairs_kernelI22helper_blocked_stripedN15benchmark_utils11custom_typeIiiEELj256ELj3ELj10EEvPKT0_PS4_
	.globl	_Z17sort_pairs_kernelI22helper_blocked_stripedN15benchmark_utils11custom_typeIiiEELj256ELj3ELj10EEvPKT0_PS4_
	.p2align	8
	.type	_Z17sort_pairs_kernelI22helper_blocked_stripedN15benchmark_utils11custom_typeIiiEELj256ELj3ELj10EEvPKT0_PS4_,@function
_Z17sort_pairs_kernelI22helper_blocked_stripedN15benchmark_utils11custom_typeIiiEELj256ELj3ELj10EEvPKT0_PS4_: ; @_Z17sort_pairs_kernelI22helper_blocked_stripedN15benchmark_utils11custom_typeIiiEELj256ELj3ELj10EEvPKT0_PS4_
; %bb.0:
	s_load_dwordx4 s[36:39], s[4:5], 0x0
	s_load_dword s26, s[4:5], 0x1c
	s_mul_i32 s40, s6, 0x300
	s_mov_b32 s41, 0
	s_lshl_b64 s[34:35], s[40:41], 3
	s_waitcnt lgkmcnt(0)
	s_add_u32 s0, s36, s34
	v_mul_u32_u24_e32 v3, 3, v0
	s_addc_u32 s1, s37, s35
	v_lshlrev_b32_e32 v7, 3, v3
	global_load_dwordx4 v[3:6], v7, s[0:1]
	global_load_dwordx2 v[16:17], v7, s[0:1] offset:16
	s_lshr_b32 s27, s26, 16
	s_and_b32 s26, s26, 0xffff
	v_mad_u32_u24 v1, v2, s27, v1
	v_mbcnt_lo_u32_b32 v7, -1, 0
	v_mad_u64_u32 v[1:2], s[26:27], v1, s26, v[0:1]
	v_mbcnt_hi_u32_b32 v7, -1, v7
	v_lshrrev_b32_e32 v8, 6, v0
	v_and_b32_e32 v9, 0xc0, v0
	s_mov_b32 s11, s41
	v_subrev_co_u32_e64 v20, s[8:9], 1, v7
	v_and_b32_e32 v21, 64, v7
	v_lshlrev_b32_e32 v31, 4, v0
	s_mov_b32 s10, s41
	v_mul_u32_u24_e32 v13, 0xc0, v8
	v_and_b32_e32 v14, 15, v7
	v_and_b32_e32 v18, 16, v7
	v_or_b32_e32 v19, 63, v9
	s_mov_b32 s40, s41
	v_mov_b32_e32 v12, s11
	v_cmp_lt_i32_e32 vcc, v20, v21
	v_lshlrev_b32_e32 v10, 2, v0
	v_lshlrev_b32_e32 v15, 3, v7
	;; [unrolled: 1-line block ×3, first 2 shown]
	v_mad_i32_i24 v33, v0, -12, v31
	v_and_b32_e32 v8, 3, v7
	v_mul_u32_u24_e32 v9, 24, v9
	v_mov_b32_e32 v11, s10
	v_cmp_eq_u32_e64 s[10:11], 0, v14
	v_cmp_lt_u32_e64 s[12:13], 1, v14
	v_cmp_lt_u32_e64 s[14:15], 3, v14
	;; [unrolled: 1-line block ×3, first 2 shown]
	v_cmp_eq_u32_e64 s[18:19], 0, v18
	v_cmp_eq_u32_e64 s[20:21], v0, v19
	v_lshlrev_b32_e32 v18, 3, v13
	v_cndmask_b32_e32 v19, v20, v7, vcc
	v_mov_b32_e32 v13, s40
	v_lshrrev_b32_e32 v1, 4, v1
	v_cmp_gt_u32_e64 s[0:1], 4, v0
	v_cmp_lt_u32_e64 s[2:3], 63, v0
	v_cmp_eq_u32_e64 s[4:5], 0, v0
	v_cmp_lt_u32_e64 s[6:7], 31, v7
	v_cmp_eq_u32_e64 s[22:23], 0, v8
	v_cmp_lt_u32_e64 s[24:25], 1, v8
	v_add_u32_e32 v34, v15, v9
	v_add_u32_e32 v35, v33, v10
	v_add_u32_e32 v36, -4, v32
	v_mov_b32_e32 v14, s41
	v_mad_u32_u24 v37, v7, 24, v18
	v_add_u32_e32 v38, v15, v18
	v_lshlrev_b32_e32 v39, 2, v19
	v_and_b32_e32 v40, 0xffffffc, v1
	v_mov_b32_e32 v15, 0
	s_waitcnt vmcnt(1)
	v_add_u32_e32 v8, 1, v4
	v_add_u32_e32 v7, 1, v3
	;; [unrolled: 1-line block ×4, first 2 shown]
	s_waitcnt vmcnt(0)
	v_add_u32_e32 v19, 1, v17
	v_add_u32_e32 v18, 1, v16
	s_branch .LBB363_2
.LBB363_1:                              ;   in Loop: Header=BB363_2 Depth=1
	s_barrier
	ds_write_b64 v41, v[25:26]
	ds_write_b64 v42, v[23:24]
	ds_write_b64 v16, v[21:22]
	s_waitcnt lgkmcnt(0)
	s_barrier
	ds_read2st64_b64 v[3:6], v35 offset1:4
	ds_read_b64 v[1:2], v35 offset:4096
	s_waitcnt lgkmcnt(0)
	s_barrier
	ds_write_b64 v41, v[19:20]
	ds_write_b64 v42, v[17:18]
	;; [unrolled: 1-line block ×3, first 2 shown]
	s_waitcnt lgkmcnt(0)
	s_barrier
	ds_read2st64_b64 v[7:10], v35 offset1:4
	ds_read_b64 v[18:19], v35 offset:4096
	s_add_i32 s41, s41, 1
	v_xor_b32_e32 v3, 0x80000000, v3
	v_xor_b32_e32 v4, 0x80000000, v4
	;; [unrolled: 1-line block ×5, first 2 shown]
	s_cmp_lg_u32 s41, 10
	v_xor_b32_e32 v17, 0x80000000, v2
	s_cbranch_scc0 .LBB363_18
.LBB363_2:                              ; =>This Loop Header: Depth=1
                                        ;     Child Loop BB363_4 Depth 2
	v_xor_b32_e32 v2, 0x80000000, v4
	v_xor_b32_e32 v1, 0x80000000, v3
	;; [unrolled: 1-line block ×6, first 2 shown]
	ds_write2_b64 v37, v[1:2], v[3:4] offset1:1
	ds_write_b64 v37, v[5:6] offset:16
	; wave barrier
	ds_read2st64_b64 v[1:4], v38 offset1:1
	ds_read_b64 v[27:28], v38 offset:1024
	; wave barrier
	s_waitcnt lgkmcnt(5)
	ds_write2_b64 v37, v[7:8], v[9:10] offset1:1
	s_waitcnt lgkmcnt(5)
	ds_write_b64 v37, v[18:19] offset:16
	; wave barrier
	ds_read2st64_b64 v[5:8], v38 offset1:1
	ds_read_b64 v[29:30], v38 offset:1024
	s_mov_b32 s33, 8
	s_mov_b32 s36, 32
	;; [unrolled: 1-line block ×3, first 2 shown]
	s_waitcnt lgkmcnt(0)
	s_barrier
	s_branch .LBB363_4
.LBB363_3:                              ;   in Loop: Header=BB363_4 Depth=2
	s_andn2_b64 vcc, exec, s[26:27]
	s_cbranch_vccz .LBB363_1
.LBB363_4:                              ;   Parent Loop BB363_2 Depth=1
                                        ; =>  This Inner Loop Header: Depth=2
	s_min_i32 s28, s33, 32
	s_cmp_lt_u32 s37, 32
	s_cselect_b64 s[26:27], -1, 0
	s_cmp_gt_u32 s37, 31
	s_cselect_b64 vcc, -1, 0
	s_sub_i32 s28, s28, 32
	s_add_i32 s29, s28, s36
	s_lshl_b32 s29, -1, s29
	s_not_b32 s29, s29
	s_cmp_lg_u32 s28, s37
	s_cselect_b32 s42, s29, -1
	s_max_i32 s40, s36, 0
	s_max_i32 s28, s37, 32
	s_sub_i32 s43, s28, 32
	s_sub_i32 s28, s28, s40
	;; [unrolled: 1-line block ×3, first 2 shown]
	s_min_i32 s28, s28, 32
	s_sub_i32 s28, s28, s43
	s_lshl_b32 s29, -1, s28
	v_mov_b32_e32 v26, v2
	s_not_b32 s29, s29
	v_mov_b32_e32 v25, v1
	s_cmp_lg_u32 s28, 32
	s_cselect_b32 s44, s29, -1
	v_lshrrev_b32_e32 v2, s43, v25
	v_lshrrev_b32_e32 v1, s37, v26
	v_and_b32_e32 v2, s44, v2
	v_and_b32_e32 v1, s42, v1
	v_lshlrev_b32_e32 v2, s40, v2
	v_cndmask_b32_e64 v1, 0, v1, s[26:27]
	v_cndmask_b32_e32 v2, 0, v2, vcc
	v_or_b32_e32 v1, v1, v2
	v_mov_b32_e32 v24, v4
	v_and_b32_e32 v2, 1, v1
	v_mov_b32_e32 v20, v6
	v_mov_b32_e32 v23, v3
	v_add_co_u32_e64 v4, s[28:29], -1, v2
	v_mov_b32_e32 v19, v5
	v_addc_co_u32_e64 v5, s[28:29], 0, -1, s[28:29]
	v_cmp_ne_u32_e64 s[28:29], 0, v2
	v_lshlrev_b32_e32 v16, 30, v1
	v_xor_b32_e32 v2, s29, v5
	v_xor_b32_e32 v4, s28, v4
	v_cmp_gt_i64_e64 s[28:29], 0, v[15:16]
	v_not_b32_e32 v5, v16
	v_ashrrev_i32_e32 v5, 31, v5
	v_and_b32_e32 v4, exec_lo, v4
	v_xor_b32_e32 v6, s29, v5
	v_xor_b32_e32 v5, s28, v5
	v_lshlrev_b32_e32 v16, 29, v1
	v_and_b32_e32 v4, v4, v5
	v_cmp_gt_i64_e64 s[28:29], 0, v[15:16]
	v_not_b32_e32 v5, v16
	v_and_b32_e32 v2, exec_hi, v2
	v_ashrrev_i32_e32 v5, 31, v5
	v_and_b32_e32 v2, v2, v6
	v_xor_b32_e32 v6, s29, v5
	v_xor_b32_e32 v5, s28, v5
	v_lshlrev_b32_e32 v16, 28, v1
	v_and_b32_e32 v4, v4, v5
	v_cmp_gt_i64_e64 s[28:29], 0, v[15:16]
	v_not_b32_e32 v5, v16
	v_ashrrev_i32_e32 v5, 31, v5
	v_and_b32_e32 v2, v2, v6
	v_xor_b32_e32 v6, s29, v5
	v_xor_b32_e32 v5, s28, v5
	v_lshlrev_b32_e32 v16, 27, v1
	v_and_b32_e32 v4, v4, v5
	v_cmp_gt_i64_e64 s[28:29], 0, v[15:16]
	v_not_b32_e32 v5, v16
	v_ashrrev_i32_e32 v5, 31, v5
	v_and_b32_e32 v2, v2, v6
	v_xor_b32_e32 v6, s29, v5
	v_xor_b32_e32 v5, s28, v5
	v_lshlrev_b32_e32 v16, 26, v1
	v_and_b32_e32 v4, v4, v5
	v_cmp_gt_i64_e64 s[28:29], 0, v[15:16]
	v_not_b32_e32 v5, v16
	v_ashrrev_i32_e32 v5, 31, v5
	v_and_b32_e32 v2, v2, v6
	v_xor_b32_e32 v6, s29, v5
	v_xor_b32_e32 v5, s28, v5
	v_lshlrev_b32_e32 v16, 25, v1
	v_and_b32_e32 v4, v4, v5
	v_cmp_gt_i64_e64 s[28:29], 0, v[15:16]
	v_not_b32_e32 v5, v16
	v_ashrrev_i32_e32 v5, 31, v5
	v_lshlrev_b32_e32 v16, 24, v1
	v_lshlrev_b32_e32 v3, 4, v1
	v_and_b32_e32 v2, v2, v6
	v_xor_b32_e32 v6, s29, v5
	v_xor_b32_e32 v5, s28, v5
	v_cmp_gt_i64_e64 s[28:29], 0, v[15:16]
	v_not_b32_e32 v1, v16
	v_ashrrev_i32_e32 v1, 31, v1
	v_and_b32_e32 v4, v4, v5
	v_xor_b32_e32 v5, s29, v1
	v_xor_b32_e32 v1, s28, v1
	v_and_b32_e32 v2, v2, v6
	v_and_b32_e32 v1, v4, v1
	;; [unrolled: 1-line block ×3, first 2 shown]
	v_mbcnt_lo_u32_b32 v4, v1, 0
	v_mbcnt_hi_u32_b32 v5, v2, v4
	v_cmp_ne_u64_e64 s[28:29], 0, v[1:2]
	v_mov_b32_e32 v18, v8
	v_mov_b32_e32 v9, v29
	;; [unrolled: 1-line block ×3, first 2 shown]
	v_cmp_eq_u32_e64 s[30:31], 0, v5
	v_mov_b32_e32 v17, v7
	v_mov_b32_e32 v10, v30
	v_mov_b32_e32 v22, v28
	s_and_b64 s[30:31], s[30:31], s[28:29]
	v_add_u32_e32 v6, v40, v3
	ds_write2_b64 v31, v[13:14], v[11:12] offset0:2 offset1:3
	s_waitcnt lgkmcnt(0)
	s_barrier
	; wave barrier
	s_and_saveexec_b64 s[28:29], s[30:31]
; %bb.5:                                ;   in Loop: Header=BB363_4 Depth=2
	v_bcnt_u32_b32 v1, v1, 0
	v_bcnt_u32_b32 v1, v2, v1
	ds_write_b32 v6, v1 offset:16
; %bb.6:                                ;   in Loop: Header=BB363_4 Depth=2
	s_or_b64 exec, exec, s[28:29]
	v_lshrrev_b32_e32 v2, s43, v23
	v_lshrrev_b32_e32 v1, s37, v24
	v_and_b32_e32 v2, s44, v2
	v_and_b32_e32 v1, s42, v1
	v_lshlrev_b32_e32 v2, s40, v2
	v_cndmask_b32_e64 v1, 0, v1, s[26:27]
	v_cndmask_b32_e32 v2, 0, v2, vcc
	v_or_b32_e32 v1, v1, v2
	v_lshlrev_b32_e32 v2, 4, v1
	v_add_u32_e32 v8, v40, v2
	v_and_b32_e32 v2, 1, v1
	v_add_co_u32_e64 v3, s[28:29], -1, v2
	v_addc_co_u32_e64 v4, s[28:29], 0, -1, s[28:29]
	v_cmp_ne_u32_e64 s[28:29], 0, v2
	v_lshlrev_b32_e32 v16, 30, v1
	v_xor_b32_e32 v2, s29, v4
	v_xor_b32_e32 v3, s28, v3
	v_cmp_gt_i64_e64 s[28:29], 0, v[15:16]
	v_not_b32_e32 v4, v16
	v_ashrrev_i32_e32 v4, 31, v4
	v_and_b32_e32 v2, exec_hi, v2
	v_xor_b32_e32 v16, s29, v4
	v_and_b32_e32 v3, exec_lo, v3
	v_xor_b32_e32 v4, s28, v4
	v_and_b32_e32 v2, v2, v16
	v_lshlrev_b32_e32 v16, 29, v1
	v_and_b32_e32 v3, v3, v4
	v_cmp_gt_i64_e64 s[28:29], 0, v[15:16]
	v_not_b32_e32 v4, v16
	v_ashrrev_i32_e32 v4, 31, v4
	v_xor_b32_e32 v16, s29, v4
	v_xor_b32_e32 v4, s28, v4
	v_and_b32_e32 v2, v2, v16
	v_lshlrev_b32_e32 v16, 28, v1
	v_and_b32_e32 v3, v3, v4
	v_cmp_gt_i64_e64 s[28:29], 0, v[15:16]
	v_not_b32_e32 v4, v16
	v_ashrrev_i32_e32 v4, 31, v4
	v_xor_b32_e32 v16, s29, v4
	;; [unrolled: 8-line block ×5, first 2 shown]
	v_and_b32_e32 v2, v2, v16
	v_lshlrev_b32_e32 v16, 24, v1
	v_xor_b32_e32 v4, s28, v4
	v_cmp_gt_i64_e64 s[28:29], 0, v[15:16]
	v_not_b32_e32 v1, v16
	v_ashrrev_i32_e32 v1, 31, v1
	v_and_b32_e32 v3, v3, v4
	v_xor_b32_e32 v4, s29, v1
	v_xor_b32_e32 v1, s28, v1
	; wave barrier
	ds_read_b32 v7, v8 offset:16
	v_and_b32_e32 v1, v3, v1
	v_and_b32_e32 v2, v2, v4
	v_mbcnt_lo_u32_b32 v3, v1, 0
	v_mbcnt_hi_u32_b32 v27, v2, v3
	v_cmp_ne_u64_e64 s[28:29], 0, v[1:2]
	v_cmp_eq_u32_e64 s[30:31], 0, v27
	s_and_b64 s[30:31], s[30:31], s[28:29]
	; wave barrier
	s_and_saveexec_b64 s[28:29], s[30:31]
	s_cbranch_execz .LBB363_8
; %bb.7:                                ;   in Loop: Header=BB363_4 Depth=2
	v_bcnt_u32_b32 v1, v1, 0
	v_bcnt_u32_b32 v1, v2, v1
	s_waitcnt lgkmcnt(0)
	v_add_u32_e32 v1, v7, v1
	ds_write_b32 v8, v1 offset:16
.LBB363_8:                              ;   in Loop: Header=BB363_4 Depth=2
	s_or_b64 exec, exec, s[28:29]
	v_lshrrev_b32_e32 v2, s43, v21
	v_lshrrev_b32_e32 v1, s37, v22
	v_and_b32_e32 v2, s44, v2
	v_and_b32_e32 v1, s42, v1
	v_lshlrev_b32_e32 v2, s40, v2
	v_cndmask_b32_e64 v1, 0, v1, s[26:27]
	v_cndmask_b32_e32 v2, 0, v2, vcc
	v_or_b32_e32 v1, v1, v2
	v_lshlrev_b32_e32 v2, 4, v1
	v_add_u32_e32 v29, v40, v2
	v_and_b32_e32 v2, 1, v1
	v_add_co_u32_e32 v3, vcc, -1, v2
	v_addc_co_u32_e64 v4, s[26:27], 0, -1, vcc
	v_cmp_ne_u32_e32 vcc, 0, v2
	v_lshlrev_b32_e32 v16, 30, v1
	v_xor_b32_e32 v2, vcc_hi, v4
	v_xor_b32_e32 v3, vcc_lo, v3
	v_cmp_gt_i64_e32 vcc, 0, v[15:16]
	v_not_b32_e32 v4, v16
	v_ashrrev_i32_e32 v4, 31, v4
	v_and_b32_e32 v2, exec_hi, v2
	v_xor_b32_e32 v16, vcc_hi, v4
	v_and_b32_e32 v3, exec_lo, v3
	v_xor_b32_e32 v4, vcc_lo, v4
	v_and_b32_e32 v2, v2, v16
	v_lshlrev_b32_e32 v16, 29, v1
	v_and_b32_e32 v3, v3, v4
	v_cmp_gt_i64_e32 vcc, 0, v[15:16]
	v_not_b32_e32 v4, v16
	v_ashrrev_i32_e32 v4, 31, v4
	v_xor_b32_e32 v16, vcc_hi, v4
	v_xor_b32_e32 v4, vcc_lo, v4
	v_and_b32_e32 v2, v2, v16
	v_lshlrev_b32_e32 v16, 28, v1
	v_and_b32_e32 v3, v3, v4
	v_cmp_gt_i64_e32 vcc, 0, v[15:16]
	v_not_b32_e32 v4, v16
	v_ashrrev_i32_e32 v4, 31, v4
	v_xor_b32_e32 v16, vcc_hi, v4
	v_xor_b32_e32 v4, vcc_lo, v4
	v_and_b32_e32 v2, v2, v16
	v_lshlrev_b32_e32 v16, 27, v1
	v_and_b32_e32 v3, v3, v4
	v_cmp_gt_i64_e32 vcc, 0, v[15:16]
	v_not_b32_e32 v4, v16
	v_ashrrev_i32_e32 v4, 31, v4
	v_xor_b32_e32 v16, vcc_hi, v4
	v_xor_b32_e32 v4, vcc_lo, v4
	v_and_b32_e32 v2, v2, v16
	v_lshlrev_b32_e32 v16, 26, v1
	v_and_b32_e32 v3, v3, v4
	v_cmp_gt_i64_e32 vcc, 0, v[15:16]
	v_not_b32_e32 v4, v16
	v_ashrrev_i32_e32 v4, 31, v4
	v_xor_b32_e32 v16, vcc_hi, v4
	v_xor_b32_e32 v4, vcc_lo, v4
	v_and_b32_e32 v2, v2, v16
	v_lshlrev_b32_e32 v16, 25, v1
	v_and_b32_e32 v3, v3, v4
	v_cmp_gt_i64_e32 vcc, 0, v[15:16]
	v_not_b32_e32 v4, v16
	v_ashrrev_i32_e32 v4, 31, v4
	v_xor_b32_e32 v16, vcc_hi, v4
	v_and_b32_e32 v2, v2, v16
	v_lshlrev_b32_e32 v16, 24, v1
	v_xor_b32_e32 v4, vcc_lo, v4
	v_cmp_gt_i64_e32 vcc, 0, v[15:16]
	v_not_b32_e32 v1, v16
	v_ashrrev_i32_e32 v1, 31, v1
	v_and_b32_e32 v3, v3, v4
	v_xor_b32_e32 v4, vcc_hi, v1
	v_xor_b32_e32 v1, vcc_lo, v1
	; wave barrier
	ds_read_b32 v28, v29 offset:16
	v_and_b32_e32 v1, v3, v1
	v_and_b32_e32 v2, v2, v4
	v_mbcnt_lo_u32_b32 v3, v1, 0
	v_mbcnt_hi_u32_b32 v16, v2, v3
	v_cmp_ne_u64_e32 vcc, 0, v[1:2]
	v_cmp_eq_u32_e64 s[26:27], 0, v16
	s_and_b64 s[28:29], s[26:27], vcc
	; wave barrier
	s_and_saveexec_b64 s[26:27], s[28:29]
	s_cbranch_execz .LBB363_10
; %bb.9:                                ;   in Loop: Header=BB363_4 Depth=2
	v_bcnt_u32_b32 v1, v1, 0
	v_bcnt_u32_b32 v1, v2, v1
	s_waitcnt lgkmcnt(0)
	v_add_u32_e32 v1, v28, v1
	ds_write_b32 v29, v1 offset:16
.LBB363_10:                             ;   in Loop: Header=BB363_4 Depth=2
	s_or_b64 exec, exec, s[26:27]
	; wave barrier
	s_waitcnt lgkmcnt(0)
	s_barrier
	ds_read2_b64 v[1:4], v31 offset0:2 offset1:3
	s_waitcnt lgkmcnt(0)
	v_add_u32_e32 v30, v2, v1
	v_add3_u32 v4, v30, v3, v4
	s_nop 1
	v_mov_b32_dpp v30, v4 row_shr:1 row_mask:0xf bank_mask:0xf
	v_cndmask_b32_e64 v30, v30, 0, s[10:11]
	v_add_u32_e32 v4, v30, v4
	s_nop 1
	v_mov_b32_dpp v30, v4 row_shr:2 row_mask:0xf bank_mask:0xf
	v_cndmask_b32_e64 v30, 0, v30, s[12:13]
	v_add_u32_e32 v4, v4, v30
	;; [unrolled: 4-line block ×4, first 2 shown]
	s_nop 1
	v_mov_b32_dpp v30, v4 row_bcast:15 row_mask:0xf bank_mask:0xf
	v_cndmask_b32_e64 v30, v30, 0, s[18:19]
	v_add_u32_e32 v4, v4, v30
	s_nop 1
	v_mov_b32_dpp v30, v4 row_bcast:31 row_mask:0xf bank_mask:0xf
	v_cndmask_b32_e64 v30, 0, v30, s[6:7]
	v_add_u32_e32 v4, v4, v30
	s_and_saveexec_b64 s[26:27], s[20:21]
; %bb.11:                               ;   in Loop: Header=BB363_4 Depth=2
	ds_write_b32 v32, v4
; %bb.12:                               ;   in Loop: Header=BB363_4 Depth=2
	s_or_b64 exec, exec, s[26:27]
	s_waitcnt lgkmcnt(0)
	s_barrier
	s_and_saveexec_b64 s[26:27], s[0:1]
	s_cbranch_execz .LBB363_14
; %bb.13:                               ;   in Loop: Header=BB363_4 Depth=2
	ds_read_b32 v30, v33
	s_waitcnt lgkmcnt(0)
	s_nop 0
	v_mov_b32_dpp v41, v30 row_shr:1 row_mask:0xf bank_mask:0xf
	v_cndmask_b32_e64 v41, v41, 0, s[22:23]
	v_add_u32_e32 v30, v41, v30
	s_nop 1
	v_mov_b32_dpp v41, v30 row_shr:2 row_mask:0xf bank_mask:0xf
	v_cndmask_b32_e64 v41, 0, v41, s[24:25]
	v_add_u32_e32 v30, v30, v41
	ds_write_b32 v33, v30
.LBB363_14:                             ;   in Loop: Header=BB363_4 Depth=2
	s_or_b64 exec, exec, s[26:27]
	v_mov_b32_e32 v30, 0
	s_waitcnt lgkmcnt(0)
	s_barrier
	s_and_saveexec_b64 s[26:27], s[2:3]
; %bb.15:                               ;   in Loop: Header=BB363_4 Depth=2
	ds_read_b32 v30, v36
; %bb.16:                               ;   in Loop: Header=BB363_4 Depth=2
	s_or_b64 exec, exec, s[26:27]
	s_waitcnt lgkmcnt(0)
	v_add_u32_e32 v4, v30, v4
	ds_bpermute_b32 v4, v39, v4
	s_cmp_gt_u32 s37, 55
	s_mov_b64 s[26:27], -1
	s_waitcnt lgkmcnt(0)
	v_cndmask_b32_e64 v4, v4, v30, s[8:9]
	v_cndmask_b32_e64 v41, v4, 0, s[4:5]
	v_add_u32_e32 v42, v41, v1
	v_add_u32_e32 v1, v42, v2
	v_add_u32_e32 v2, v1, v3
	ds_write2_b64 v31, v[41:42], v[1:2] offset0:2 offset1:3
	s_waitcnt lgkmcnt(0)
	s_barrier
	ds_read_b32 v1, v6 offset:16
	ds_read_b32 v2, v8 offset:16
	;; [unrolled: 1-line block ×3, first 2 shown]
	v_lshlrev_b32_e32 v4, 3, v5
	s_waitcnt lgkmcnt(0)
	v_lshl_add_u32 v41, v1, 3, v4
	v_lshlrev_b32_e32 v1, 3, v27
	v_lshlrev_b32_e32 v4, 3, v7
	;; [unrolled: 1-line block ×3, first 2 shown]
	v_add3_u32 v42, v1, v4, v2
	v_lshlrev_b32_e32 v1, 3, v16
	v_lshlrev_b32_e32 v2, 3, v28
	v_lshlrev_b32_e32 v3, 3, v3
	v_add3_u32 v16, v1, v2, v3
                                        ; implicit-def: $vgpr5_vgpr6
                                        ; implicit-def: $vgpr29_vgpr30
                                        ; implicit-def: $vgpr1_vgpr2
                                        ; implicit-def: $vgpr27_vgpr28
	s_cbranch_scc1 .LBB363_3
; %bb.17:                               ;   in Loop: Header=BB363_4 Depth=2
	s_barrier
	ds_write_b64 v41, v[25:26]
	ds_write_b64 v42, v[23:24]
	ds_write_b64 v16, v[21:22]
	s_waitcnt lgkmcnt(0)
	s_barrier
	ds_read2st64_b64 v[1:4], v34 offset1:1
	ds_read_b64 v[27:28], v34 offset:1024
	s_waitcnt lgkmcnt(0)
	s_barrier
	ds_write_b64 v41, v[19:20]
	ds_write_b64 v42, v[17:18]
	;; [unrolled: 1-line block ×3, first 2 shown]
	s_waitcnt lgkmcnt(0)
	s_barrier
	ds_read2st64_b64 v[5:8], v34 offset1:1
	ds_read_b64 v[29:30], v34 offset:1024
	s_add_i32 s36, s36, -8
	s_add_i32 s33, s33, 8
	s_add_i32 s37, s37, 8
	s_mov_b64 s[26:27], 0
	s_waitcnt lgkmcnt(0)
	s_barrier
	s_branch .LBB363_3
.LBB363_18:
	s_add_u32 s0, s38, s34
	s_addc_u32 s1, s39, s35
	v_lshlrev_b32_e32 v0, 3, v0
	s_waitcnt lgkmcnt(1)
	v_add_u32_e32 v1, v3, v7
	v_add_u32_e32 v2, v4, v8
	v_mov_b32_e32 v7, s1
	v_add_co_u32_e32 v8, vcc, s0, v0
	v_addc_co_u32_e32 v7, vcc, 0, v7, vcc
	v_add_u32_e32 v3, v5, v9
	v_add_u32_e32 v4, v6, v10
	global_store_dwordx2 v0, v[1:2], s[0:1]
	global_store_dwordx2 v0, v[3:4], s[0:1] offset:2048
	v_add_co_u32_e32 v0, vcc, 0x1000, v8
	s_waitcnt lgkmcnt(0)
	v_add_u32_e32 v5, v16, v18
	v_add_u32_e32 v6, v17, v19
	v_addc_co_u32_e32 v1, vcc, 0, v7, vcc
	global_store_dwordx2 v[0:1], v[5:6], off
	s_endpgm
	.section	.rodata,"a",@progbits
	.p2align	6, 0x0
	.amdhsa_kernel _Z17sort_pairs_kernelI22helper_blocked_stripedN15benchmark_utils11custom_typeIiiEELj256ELj3ELj10EEvPKT0_PS4_
		.amdhsa_group_segment_fixed_size 6144
		.amdhsa_private_segment_fixed_size 0
		.amdhsa_kernarg_size 272
		.amdhsa_user_sgpr_count 6
		.amdhsa_user_sgpr_private_segment_buffer 1
		.amdhsa_user_sgpr_dispatch_ptr 0
		.amdhsa_user_sgpr_queue_ptr 0
		.amdhsa_user_sgpr_kernarg_segment_ptr 1
		.amdhsa_user_sgpr_dispatch_id 0
		.amdhsa_user_sgpr_flat_scratch_init 0
		.amdhsa_user_sgpr_private_segment_size 0
		.amdhsa_uses_dynamic_stack 0
		.amdhsa_system_sgpr_private_segment_wavefront_offset 0
		.amdhsa_system_sgpr_workgroup_id_x 1
		.amdhsa_system_sgpr_workgroup_id_y 0
		.amdhsa_system_sgpr_workgroup_id_z 0
		.amdhsa_system_sgpr_workgroup_info 0
		.amdhsa_system_vgpr_workitem_id 2
		.amdhsa_next_free_vgpr 43
		.amdhsa_next_free_sgpr 45
		.amdhsa_reserve_vcc 1
		.amdhsa_reserve_flat_scratch 0
		.amdhsa_float_round_mode_32 0
		.amdhsa_float_round_mode_16_64 0
		.amdhsa_float_denorm_mode_32 3
		.amdhsa_float_denorm_mode_16_64 3
		.amdhsa_dx10_clamp 1
		.amdhsa_ieee_mode 1
		.amdhsa_fp16_overflow 0
		.amdhsa_exception_fp_ieee_invalid_op 0
		.amdhsa_exception_fp_denorm_src 0
		.amdhsa_exception_fp_ieee_div_zero 0
		.amdhsa_exception_fp_ieee_overflow 0
		.amdhsa_exception_fp_ieee_underflow 0
		.amdhsa_exception_fp_ieee_inexact 0
		.amdhsa_exception_int_div_zero 0
	.end_amdhsa_kernel
	.section	.text._Z17sort_pairs_kernelI22helper_blocked_stripedN15benchmark_utils11custom_typeIiiEELj256ELj3ELj10EEvPKT0_PS4_,"axG",@progbits,_Z17sort_pairs_kernelI22helper_blocked_stripedN15benchmark_utils11custom_typeIiiEELj256ELj3ELj10EEvPKT0_PS4_,comdat
.Lfunc_end363:
	.size	_Z17sort_pairs_kernelI22helper_blocked_stripedN15benchmark_utils11custom_typeIiiEELj256ELj3ELj10EEvPKT0_PS4_, .Lfunc_end363-_Z17sort_pairs_kernelI22helper_blocked_stripedN15benchmark_utils11custom_typeIiiEELj256ELj3ELj10EEvPKT0_PS4_
                                        ; -- End function
	.set _Z17sort_pairs_kernelI22helper_blocked_stripedN15benchmark_utils11custom_typeIiiEELj256ELj3ELj10EEvPKT0_PS4_.num_vgpr, 43
	.set _Z17sort_pairs_kernelI22helper_blocked_stripedN15benchmark_utils11custom_typeIiiEELj256ELj3ELj10EEvPKT0_PS4_.num_agpr, 0
	.set _Z17sort_pairs_kernelI22helper_blocked_stripedN15benchmark_utils11custom_typeIiiEELj256ELj3ELj10EEvPKT0_PS4_.numbered_sgpr, 45
	.set _Z17sort_pairs_kernelI22helper_blocked_stripedN15benchmark_utils11custom_typeIiiEELj256ELj3ELj10EEvPKT0_PS4_.num_named_barrier, 0
	.set _Z17sort_pairs_kernelI22helper_blocked_stripedN15benchmark_utils11custom_typeIiiEELj256ELj3ELj10EEvPKT0_PS4_.private_seg_size, 0
	.set _Z17sort_pairs_kernelI22helper_blocked_stripedN15benchmark_utils11custom_typeIiiEELj256ELj3ELj10EEvPKT0_PS4_.uses_vcc, 1
	.set _Z17sort_pairs_kernelI22helper_blocked_stripedN15benchmark_utils11custom_typeIiiEELj256ELj3ELj10EEvPKT0_PS4_.uses_flat_scratch, 0
	.set _Z17sort_pairs_kernelI22helper_blocked_stripedN15benchmark_utils11custom_typeIiiEELj256ELj3ELj10EEvPKT0_PS4_.has_dyn_sized_stack, 0
	.set _Z17sort_pairs_kernelI22helper_blocked_stripedN15benchmark_utils11custom_typeIiiEELj256ELj3ELj10EEvPKT0_PS4_.has_recursion, 0
	.set _Z17sort_pairs_kernelI22helper_blocked_stripedN15benchmark_utils11custom_typeIiiEELj256ELj3ELj10EEvPKT0_PS4_.has_indirect_call, 0
	.section	.AMDGPU.csdata,"",@progbits
; Kernel info:
; codeLenInByte = 2796
; TotalNumSgprs: 49
; NumVgprs: 43
; ScratchSize: 0
; MemoryBound: 0
; FloatMode: 240
; IeeeMode: 1
; LDSByteSize: 6144 bytes/workgroup (compile time only)
; SGPRBlocks: 6
; VGPRBlocks: 10
; NumSGPRsForWavesPerEU: 49
; NumVGPRsForWavesPerEU: 43
; Occupancy: 5
; WaveLimiterHint : 1
; COMPUTE_PGM_RSRC2:SCRATCH_EN: 0
; COMPUTE_PGM_RSRC2:USER_SGPR: 6
; COMPUTE_PGM_RSRC2:TRAP_HANDLER: 0
; COMPUTE_PGM_RSRC2:TGID_X_EN: 1
; COMPUTE_PGM_RSRC2:TGID_Y_EN: 0
; COMPUTE_PGM_RSRC2:TGID_Z_EN: 0
; COMPUTE_PGM_RSRC2:TIDIG_COMP_CNT: 2
	.section	.text._Z16sort_keys_kernelI22helper_blocked_stripedN15benchmark_utils11custom_typeIiiEELj256ELj4ELj10EEvPKT0_PS4_,"axG",@progbits,_Z16sort_keys_kernelI22helper_blocked_stripedN15benchmark_utils11custom_typeIiiEELj256ELj4ELj10EEvPKT0_PS4_,comdat
	.protected	_Z16sort_keys_kernelI22helper_blocked_stripedN15benchmark_utils11custom_typeIiiEELj256ELj4ELj10EEvPKT0_PS4_ ; -- Begin function _Z16sort_keys_kernelI22helper_blocked_stripedN15benchmark_utils11custom_typeIiiEELj256ELj4ELj10EEvPKT0_PS4_
	.globl	_Z16sort_keys_kernelI22helper_blocked_stripedN15benchmark_utils11custom_typeIiiEELj256ELj4ELj10EEvPKT0_PS4_
	.p2align	8
	.type	_Z16sort_keys_kernelI22helper_blocked_stripedN15benchmark_utils11custom_typeIiiEELj256ELj4ELj10EEvPKT0_PS4_,@function
_Z16sort_keys_kernelI22helper_blocked_stripedN15benchmark_utils11custom_typeIiiEELj256ELj4ELj10EEvPKT0_PS4_: ; @_Z16sort_keys_kernelI22helper_blocked_stripedN15benchmark_utils11custom_typeIiiEELj256ELj4ELj10EEvPKT0_PS4_
; %bb.0:
	s_load_dwordx4 s[40:43], s[4:5], 0x0
	s_load_dword s8, s[4:5], 0x1c
	s_lshl_b32 s44, s6, 10
	s_mov_b32 s45, 0
	s_lshl_b64 s[46:47], s[44:45], 3
	s_waitcnt lgkmcnt(0)
	s_add_u32 s0, s40, s46
	s_addc_u32 s1, s41, s47
	v_lshlrev_b32_e32 v11, 5, v0
	global_load_dwordx4 v[3:6], v11, s[0:1] offset:16
	global_load_dwordx4 v[7:10], v11, s[0:1]
	global_load_dwordx2 v[7:8], v11, s[0:1]
	s_lshr_b32 s9, s8, 16
	v_mbcnt_lo_u32_b32 v12, -1, 0
	s_and_b32 s8, s8, 0xffff
	v_mad_u32_u24 v1, v2, s9, v1
	v_mbcnt_hi_u32_b32 v12, -1, v12
	v_mad_u64_u32 v[1:2], s[8:9], v1, s8, v[0:1]
	v_and_b32_e32 v2, 15, v12
	v_cmp_eq_u32_e64 s[8:9], 0, v2
	v_cmp_lt_u32_e64 s[10:11], 1, v2
	v_cmp_lt_u32_e64 s[12:13], 3, v2
	;; [unrolled: 1-line block ×3, first 2 shown]
	v_and_b32_e32 v2, 16, v12
	v_cmp_eq_u32_e64 s[16:17], 0, v2
	v_or_b32_e32 v2, 63, v0
	v_and_b32_e32 v16, 64, v12
	v_cmp_eq_u32_e64 s[20:21], v0, v2
	v_subrev_co_u32_e64 v2, s[26:27], 1, v12
	v_cmp_lt_i32_e32 vcc, v2, v16
	v_lshrrev_b32_e32 v13, 2, v12
	v_cndmask_b32_e32 v2, v2, v12, vcc
	v_or_b32_e32 v17, v13, v16
	v_add_u32_e32 v13, 48, v13
	v_lshlrev_b32_e32 v28, 2, v2
	v_lshrrev_b32_e32 v2, 4, v0
	v_and_b32_e32 v14, 3, v12
	v_and_or_b32 v13, v13, 63, v16
	v_lshlrev_b32_e32 v27, 4, v0
	v_and_b32_e32 v29, 12, v2
	v_and_b32_e32 v2, 0x1800, v11
	s_mov_b32 s44, s45
	s_mov_b32 s34, s45
                                        ; kill: killed $sgpr0 killed $sgpr1
	v_lshlrev_b32_e32 v15, 2, v0
	v_lshlrev_b32_e32 v23, 2, v17
	v_cmp_eq_u32_e64 s[0:1], 0, v14
	v_cmp_eq_u32_e64 s[2:3], 1, v14
	;; [unrolled: 1-line block ×4, first 2 shown]
	v_lshlrev_b32_e32 v26, 2, v13
	v_cmp_lt_u32_e64 s[18:19], 31, v12
	v_mad_i32_i24 v30, v0, -12, v27
	v_cmp_lt_u32_e64 s[30:31], 1, v14
	v_lshl_or_b32 v32, v12, 3, v2
	v_lshrrev_b32_e32 v1, 4, v1
	s_mov_b32 s35, s45
	v_mov_b32_e32 v11, s44
	v_mov_b32_e32 v13, s34
	v_add_u32_e32 v24, 64, v23
	v_or_b32_e32 v25, 0x80, v23
	v_cmp_gt_u32_e64 s[22:23], 4, v0
	v_cmp_lt_u32_e64 s[24:25], 63, v0
	v_cmp_eq_u32_e64 s[28:29], 0, v0
	v_add_u32_e32 v31, -4, v29
	v_and_b32_e32 v33, 0xffffffc, v1
	v_mov_b32_e32 v12, s45
	v_mov_b32_e32 v14, s35
	v_add_u32_e32 v34, v30, v15
	v_mov_b32_e32 v15, 0
	s_branch .LBB364_2
.LBB364_1:                              ;   in Loop: Header=BB364_2 Depth=1
	s_barrier
	ds_write_b64 v37, v[21:22]
	ds_write_b64 v35, v[19:20]
	;; [unrolled: 1-line block ×4, first 2 shown]
	s_waitcnt lgkmcnt(0)
	s_barrier
	ds_read2st64_b64 v[1:4], v34 offset1:4
	ds_read2st64_b64 v[16:19], v34 offset0:8 offset1:12
	s_add_i32 s45, s45, 1
	s_cmp_eq_u32 s45, 10
	s_waitcnt lgkmcnt(1)
	v_xor_b32_e32 v7, 0x80000000, v1
	v_xor_b32_e32 v8, 0x80000000, v2
	;; [unrolled: 1-line block ×4, first 2 shown]
	s_waitcnt lgkmcnt(0)
	v_xor_b32_e32 v3, 0x80000000, v16
	v_xor_b32_e32 v4, 0x80000000, v17
	;; [unrolled: 1-line block ×4, first 2 shown]
	s_cbranch_scc1 .LBB364_20
.LBB364_2:                              ; =>This Loop Header: Depth=1
                                        ;     Child Loop BB364_4 Depth 2
	s_waitcnt vmcnt(0)
	v_xor_b32_e32 v8, 0x80000000, v8
	v_xor_b32_e32 v10, 0x80000000, v10
	ds_bpermute_b32 v1, v23, v8
	v_xor_b32_e32 v16, 0x80000000, v3
	v_xor_b32_e32 v17, 0x80000000, v4
	ds_bpermute_b32 v3, v23, v10
	v_xor_b32_e32 v18, 0x80000000, v5
	ds_bpermute_b32 v5, v23, v17
	v_xor_b32_e32 v7, 0x80000000, v7
	v_xor_b32_e32 v9, 0x80000000, v9
	ds_bpermute_b32 v2, v23, v7
	s_waitcnt lgkmcnt(3)
	v_cndmask_b32_e64 v1, 0, v1, s[0:1]
	ds_bpermute_b32 v4, v23, v9
	v_xor_b32_e32 v19, 0x80000000, v6
	ds_bpermute_b32 v6, v23, v16
	s_waitcnt lgkmcnt(4)
	v_cndmask_b32_e64 v1, v1, v3, s[2:3]
	ds_bpermute_b32 v3, v23, v19
	s_waitcnt lgkmcnt(4)
	v_cndmask_b32_e64 v1, v1, v5, s[4:5]
	;; [unrolled: 3-line block ×3, first 2 shown]
	s_waitcnt lgkmcnt(3)
	v_cndmask_b32_e64 v2, v2, v4, s[2:3]
	s_waitcnt lgkmcnt(2)
	v_cndmask_b32_e64 v4, v2, v6, s[4:5]
	ds_bpermute_b32 v6, v24, v7
	s_waitcnt lgkmcnt(2)
	v_cndmask_b32_e64 v2, v1, v3, s[6:7]
	ds_bpermute_b32 v3, v24, v8
	;; [unrolled: 3-line block ×3, first 2 shown]
	ds_bpermute_b32 v20, v24, v10
	s_waitcnt lgkmcnt(3)
	v_cndmask_b32_e64 v5, 0, v6, s[0:1]
	s_waitcnt lgkmcnt(2)
	v_cndmask_b32_e64 v3, 0, v3, s[0:1]
	ds_bpermute_b32 v6, v24, v17
	s_waitcnt lgkmcnt(2)
	v_cndmask_b32_e64 v4, v5, v4, s[2:3]
	ds_bpermute_b32 v5, v24, v16
	;; [unrolled: 3-line block ×3, first 2 shown]
	ds_bpermute_b32 v21, v24, v18
	s_waitcnt lgkmcnt(3)
	v_cndmask_b32_e64 v3, v3, v6, s[4:5]
	ds_bpermute_b32 v6, v25, v8
	s_waitcnt lgkmcnt(3)
	v_cndmask_b32_e64 v5, v4, v5, s[4:5]
	;; [unrolled: 3-line block ×3, first 2 shown]
	s_waitcnt lgkmcnt(2)
	v_cndmask_b32_e64 v3, v5, v21, s[6:7]
	ds_bpermute_b32 v5, v25, v7
	ds_bpermute_b32 v20, v25, v10
	;; [unrolled: 1-line block ×5, first 2 shown]
	s_waitcnt lgkmcnt(5)
	v_cndmask_b32_e64 v8, 0, v8, s[0:1]
	ds_bpermute_b32 v9, v26, v9
	v_cndmask_b32_e64 v6, 0, v6, s[0:1]
	ds_bpermute_b32 v22, v25, v17
	s_waitcnt lgkmcnt(6)
	v_cndmask_b32_e64 v5, 0, v5, s[0:1]
	ds_bpermute_b32 v35, v25, v16
	s_waitcnt lgkmcnt(5)
	v_cndmask_b32_e64 v8, v8, v10, s[2:3]
	ds_bpermute_b32 v10, v26, v17
	ds_bpermute_b32 v16, v26, v16
	v_cndmask_b32_e64 v6, v6, v20, s[2:3]
	s_waitcnt lgkmcnt(6)
	v_cndmask_b32_e64 v5, v5, v21, s[2:3]
	ds_bpermute_b32 v20, v25, v19
	ds_bpermute_b32 v21, v25, v18
	;; [unrolled: 1-line block ×4, first 2 shown]
	s_waitcnt lgkmcnt(9)
	v_cndmask_b32_e64 v7, 0, v7, s[0:1]
	s_waitcnt lgkmcnt(8)
	v_cndmask_b32_e64 v7, v7, v9, s[2:3]
	;; [unrolled: 2-line block ×10, first 2 shown]
	s_mov_b32 s33, 8
	s_mov_b32 s40, 32
	;; [unrolled: 1-line block ×3, first 2 shown]
	s_barrier
	s_branch .LBB364_4
.LBB364_3:                              ;   in Loop: Header=BB364_4 Depth=2
	s_andn2_b64 vcc, exec, s[34:35]
	s_cbranch_vccz .LBB364_1
.LBB364_4:                              ;   Parent Loop BB364_2 Depth=1
                                        ; =>  This Inner Loop Header: Depth=2
	s_min_i32 s36, s33, 32
	s_cmp_lt_u32 s41, 32
	s_cselect_b64 s[34:35], -1, 0
	s_cmp_gt_u32 s41, 31
	s_cselect_b64 vcc, -1, 0
	s_sub_i32 s36, s36, 32
	s_add_i32 s37, s36, s40
	s_lshl_b32 s37, -1, s37
	s_not_b32 s37, s37
	s_cmp_lg_u32 s36, s41
	s_cselect_b32 s48, s37, -1
	s_max_i32 s44, s40, 0
	s_max_i32 s36, s41, 32
	s_sub_i32 s49, s36, 32
	s_sub_i32 s36, s36, s44
	;; [unrolled: 1-line block ×3, first 2 shown]
	s_min_i32 s36, s36, 32
	s_sub_i32 s36, s36, s49
	s_lshl_b32 s37, -1, s36
	v_mov_b32_e32 v22, v2
	s_not_b32 s37, s37
	v_mov_b32_e32 v21, v1
	s_cmp_lg_u32 s36, 32
	s_cselect_b32 s50, s37, -1
	v_lshrrev_b32_e32 v2, s49, v21
	v_lshrrev_b32_e32 v1, s41, v22
	v_and_b32_e32 v2, s50, v2
	v_and_b32_e32 v1, s48, v1
	v_lshlrev_b32_e32 v2, s44, v2
	v_cndmask_b32_e64 v1, 0, v1, s[34:35]
	v_cndmask_b32_e32 v2, 0, v2, vcc
	v_or_b32_e32 v1, v1, v2
	v_mov_b32_e32 v20, v4
	v_and_b32_e32 v2, 1, v1
	v_mov_b32_e32 v19, v3
	v_mov_b32_e32 v18, v6
	v_add_co_u32_e64 v4, s[36:37], -1, v2
	v_mov_b32_e32 v17, v5
	v_addc_co_u32_e64 v5, s[36:37], 0, -1, s[36:37]
	v_cmp_ne_u32_e64 s[36:37], 0, v2
	v_lshlrev_b32_e32 v16, 30, v1
	v_xor_b32_e32 v2, s37, v5
	v_xor_b32_e32 v4, s36, v4
	v_cmp_gt_i64_e64 s[36:37], 0, v[15:16]
	v_not_b32_e32 v5, v16
	v_ashrrev_i32_e32 v5, 31, v5
	v_and_b32_e32 v4, exec_lo, v4
	v_xor_b32_e32 v6, s37, v5
	v_xor_b32_e32 v5, s36, v5
	v_lshlrev_b32_e32 v16, 29, v1
	v_and_b32_e32 v4, v4, v5
	v_cmp_gt_i64_e64 s[36:37], 0, v[15:16]
	v_not_b32_e32 v5, v16
	v_and_b32_e32 v2, exec_hi, v2
	v_ashrrev_i32_e32 v5, 31, v5
	v_and_b32_e32 v2, v2, v6
	v_xor_b32_e32 v6, s37, v5
	v_xor_b32_e32 v5, s36, v5
	v_lshlrev_b32_e32 v16, 28, v1
	v_and_b32_e32 v4, v4, v5
	v_cmp_gt_i64_e64 s[36:37], 0, v[15:16]
	v_not_b32_e32 v5, v16
	v_ashrrev_i32_e32 v5, 31, v5
	v_and_b32_e32 v2, v2, v6
	v_xor_b32_e32 v6, s37, v5
	v_xor_b32_e32 v5, s36, v5
	v_lshlrev_b32_e32 v16, 27, v1
	v_and_b32_e32 v4, v4, v5
	v_cmp_gt_i64_e64 s[36:37], 0, v[15:16]
	v_not_b32_e32 v5, v16
	;; [unrolled: 8-line block ×4, first 2 shown]
	v_ashrrev_i32_e32 v5, 31, v5
	v_lshlrev_b32_e32 v16, 24, v1
	v_lshlrev_b32_e32 v3, 4, v1
	v_and_b32_e32 v2, v2, v6
	v_xor_b32_e32 v6, s37, v5
	v_xor_b32_e32 v5, s36, v5
	v_cmp_gt_i64_e64 s[36:37], 0, v[15:16]
	v_not_b32_e32 v1, v16
	v_ashrrev_i32_e32 v1, 31, v1
	v_and_b32_e32 v4, v4, v5
	v_xor_b32_e32 v5, s37, v1
	v_xor_b32_e32 v1, s36, v1
	v_and_b32_e32 v2, v2, v6
	v_and_b32_e32 v1, v4, v1
	;; [unrolled: 1-line block ×3, first 2 shown]
	v_mbcnt_lo_u32_b32 v4, v1, 0
	v_mbcnt_hi_u32_b32 v5, v2, v4
	v_cmp_ne_u64_e64 s[36:37], 0, v[1:2]
	v_mov_b32_e32 v10, v8
	v_cmp_eq_u32_e64 s[38:39], 0, v5
	v_mov_b32_e32 v9, v7
	s_and_b64 s[38:39], s[38:39], s[36:37]
	v_add_u32_e32 v6, v33, v3
	ds_write2_b64 v27, v[11:12], v[13:14] offset0:2 offset1:3
	s_waitcnt lgkmcnt(0)
	s_barrier
	; wave barrier
	s_and_saveexec_b64 s[36:37], s[38:39]
; %bb.5:                                ;   in Loop: Header=BB364_4 Depth=2
	v_bcnt_u32_b32 v1, v1, 0
	v_bcnt_u32_b32 v1, v2, v1
	ds_write_b32 v6, v1 offset:16
; %bb.6:                                ;   in Loop: Header=BB364_4 Depth=2
	s_or_b64 exec, exec, s[36:37]
	v_lshrrev_b32_e32 v2, s49, v19
	v_lshrrev_b32_e32 v1, s41, v20
	v_and_b32_e32 v2, s50, v2
	v_and_b32_e32 v1, s48, v1
	v_lshlrev_b32_e32 v2, s44, v2
	v_cndmask_b32_e64 v1, 0, v1, s[34:35]
	v_cndmask_b32_e32 v2, 0, v2, vcc
	v_or_b32_e32 v1, v1, v2
	v_lshlrev_b32_e32 v2, 4, v1
	v_add_u32_e32 v8, v33, v2
	v_and_b32_e32 v2, 1, v1
	v_add_co_u32_e64 v3, s[36:37], -1, v2
	v_addc_co_u32_e64 v4, s[36:37], 0, -1, s[36:37]
	v_cmp_ne_u32_e64 s[36:37], 0, v2
	v_lshlrev_b32_e32 v16, 30, v1
	v_xor_b32_e32 v2, s37, v4
	v_xor_b32_e32 v3, s36, v3
	v_cmp_gt_i64_e64 s[36:37], 0, v[15:16]
	v_not_b32_e32 v4, v16
	v_ashrrev_i32_e32 v4, 31, v4
	v_and_b32_e32 v2, exec_hi, v2
	v_xor_b32_e32 v16, s37, v4
	v_and_b32_e32 v3, exec_lo, v3
	v_xor_b32_e32 v4, s36, v4
	v_and_b32_e32 v2, v2, v16
	v_lshlrev_b32_e32 v16, 29, v1
	v_and_b32_e32 v3, v3, v4
	v_cmp_gt_i64_e64 s[36:37], 0, v[15:16]
	v_not_b32_e32 v4, v16
	v_ashrrev_i32_e32 v4, 31, v4
	v_xor_b32_e32 v16, s37, v4
	v_xor_b32_e32 v4, s36, v4
	v_and_b32_e32 v2, v2, v16
	v_lshlrev_b32_e32 v16, 28, v1
	v_and_b32_e32 v3, v3, v4
	v_cmp_gt_i64_e64 s[36:37], 0, v[15:16]
	v_not_b32_e32 v4, v16
	v_ashrrev_i32_e32 v4, 31, v4
	v_xor_b32_e32 v16, s37, v4
	;; [unrolled: 8-line block ×5, first 2 shown]
	v_and_b32_e32 v2, v2, v16
	v_lshlrev_b32_e32 v16, 24, v1
	v_xor_b32_e32 v4, s36, v4
	v_cmp_gt_i64_e64 s[36:37], 0, v[15:16]
	v_not_b32_e32 v1, v16
	v_ashrrev_i32_e32 v1, 31, v1
	v_and_b32_e32 v3, v3, v4
	v_xor_b32_e32 v4, s37, v1
	v_xor_b32_e32 v1, s36, v1
	; wave barrier
	ds_read_b32 v7, v8 offset:16
	v_and_b32_e32 v1, v3, v1
	v_and_b32_e32 v2, v2, v4
	v_mbcnt_lo_u32_b32 v3, v1, 0
	v_mbcnt_hi_u32_b32 v35, v2, v3
	v_cmp_ne_u64_e64 s[36:37], 0, v[1:2]
	v_cmp_eq_u32_e64 s[38:39], 0, v35
	s_and_b64 s[38:39], s[38:39], s[36:37]
	; wave barrier
	s_and_saveexec_b64 s[36:37], s[38:39]
	s_cbranch_execz .LBB364_8
; %bb.7:                                ;   in Loop: Header=BB364_4 Depth=2
	v_bcnt_u32_b32 v1, v1, 0
	v_bcnt_u32_b32 v1, v2, v1
	s_waitcnt lgkmcnt(0)
	v_add_u32_e32 v1, v7, v1
	ds_write_b32 v8, v1 offset:16
.LBB364_8:                              ;   in Loop: Header=BB364_4 Depth=2
	s_or_b64 exec, exec, s[36:37]
	v_lshrrev_b32_e32 v2, s49, v17
	v_lshrrev_b32_e32 v1, s41, v18
	v_and_b32_e32 v2, s50, v2
	v_and_b32_e32 v1, s48, v1
	v_lshlrev_b32_e32 v2, s44, v2
	v_cndmask_b32_e64 v1, 0, v1, s[34:35]
	v_cndmask_b32_e32 v2, 0, v2, vcc
	v_or_b32_e32 v1, v1, v2
	v_lshlrev_b32_e32 v2, 4, v1
	v_add_u32_e32 v37, v33, v2
	v_and_b32_e32 v2, 1, v1
	v_add_co_u32_e64 v3, s[36:37], -1, v2
	v_addc_co_u32_e64 v4, s[36:37], 0, -1, s[36:37]
	v_cmp_ne_u32_e64 s[36:37], 0, v2
	v_lshlrev_b32_e32 v16, 30, v1
	v_xor_b32_e32 v2, s37, v4
	v_xor_b32_e32 v3, s36, v3
	v_cmp_gt_i64_e64 s[36:37], 0, v[15:16]
	v_not_b32_e32 v4, v16
	v_ashrrev_i32_e32 v4, 31, v4
	v_and_b32_e32 v2, exec_hi, v2
	v_xor_b32_e32 v16, s37, v4
	v_and_b32_e32 v3, exec_lo, v3
	v_xor_b32_e32 v4, s36, v4
	v_and_b32_e32 v2, v2, v16
	v_lshlrev_b32_e32 v16, 29, v1
	v_and_b32_e32 v3, v3, v4
	v_cmp_gt_i64_e64 s[36:37], 0, v[15:16]
	v_not_b32_e32 v4, v16
	v_ashrrev_i32_e32 v4, 31, v4
	v_xor_b32_e32 v16, s37, v4
	v_xor_b32_e32 v4, s36, v4
	v_and_b32_e32 v2, v2, v16
	v_lshlrev_b32_e32 v16, 28, v1
	v_and_b32_e32 v3, v3, v4
	v_cmp_gt_i64_e64 s[36:37], 0, v[15:16]
	v_not_b32_e32 v4, v16
	v_ashrrev_i32_e32 v4, 31, v4
	v_xor_b32_e32 v16, s37, v4
	;; [unrolled: 8-line block ×5, first 2 shown]
	v_and_b32_e32 v2, v2, v16
	v_lshlrev_b32_e32 v16, 24, v1
	v_xor_b32_e32 v4, s36, v4
	v_cmp_gt_i64_e64 s[36:37], 0, v[15:16]
	v_not_b32_e32 v1, v16
	v_ashrrev_i32_e32 v1, 31, v1
	v_and_b32_e32 v3, v3, v4
	v_xor_b32_e32 v4, s37, v1
	v_xor_b32_e32 v1, s36, v1
	; wave barrier
	ds_read_b32 v36, v37 offset:16
	v_and_b32_e32 v1, v3, v1
	v_and_b32_e32 v2, v2, v4
	v_mbcnt_lo_u32_b32 v3, v1, 0
	v_mbcnt_hi_u32_b32 v38, v2, v3
	v_cmp_ne_u64_e64 s[36:37], 0, v[1:2]
	v_cmp_eq_u32_e64 s[38:39], 0, v38
	s_and_b64 s[38:39], s[38:39], s[36:37]
	; wave barrier
	s_and_saveexec_b64 s[36:37], s[38:39]
	s_cbranch_execz .LBB364_10
; %bb.9:                                ;   in Loop: Header=BB364_4 Depth=2
	v_bcnt_u32_b32 v1, v1, 0
	v_bcnt_u32_b32 v1, v2, v1
	s_waitcnt lgkmcnt(0)
	v_add_u32_e32 v1, v36, v1
	ds_write_b32 v37, v1 offset:16
.LBB364_10:                             ;   in Loop: Header=BB364_4 Depth=2
	s_or_b64 exec, exec, s[36:37]
	v_lshrrev_b32_e32 v2, s49, v9
	v_lshrrev_b32_e32 v1, s41, v10
	v_and_b32_e32 v2, s50, v2
	v_and_b32_e32 v1, s48, v1
	v_lshlrev_b32_e32 v2, s44, v2
	v_cndmask_b32_e64 v1, 0, v1, s[34:35]
	v_cndmask_b32_e32 v2, 0, v2, vcc
	v_or_b32_e32 v1, v1, v2
	v_lshlrev_b32_e32 v2, 4, v1
	v_add_u32_e32 v40, v33, v2
	v_and_b32_e32 v2, 1, v1
	v_add_co_u32_e32 v3, vcc, -1, v2
	v_addc_co_u32_e64 v4, s[34:35], 0, -1, vcc
	v_cmp_ne_u32_e32 vcc, 0, v2
	v_lshlrev_b32_e32 v16, 30, v1
	v_xor_b32_e32 v2, vcc_hi, v4
	v_xor_b32_e32 v3, vcc_lo, v3
	v_cmp_gt_i64_e32 vcc, 0, v[15:16]
	v_not_b32_e32 v4, v16
	v_ashrrev_i32_e32 v4, 31, v4
	v_and_b32_e32 v2, exec_hi, v2
	v_xor_b32_e32 v16, vcc_hi, v4
	v_and_b32_e32 v3, exec_lo, v3
	v_xor_b32_e32 v4, vcc_lo, v4
	v_and_b32_e32 v2, v2, v16
	v_lshlrev_b32_e32 v16, 29, v1
	v_and_b32_e32 v3, v3, v4
	v_cmp_gt_i64_e32 vcc, 0, v[15:16]
	v_not_b32_e32 v4, v16
	v_ashrrev_i32_e32 v4, 31, v4
	v_xor_b32_e32 v16, vcc_hi, v4
	v_xor_b32_e32 v4, vcc_lo, v4
	v_and_b32_e32 v2, v2, v16
	v_lshlrev_b32_e32 v16, 28, v1
	v_and_b32_e32 v3, v3, v4
	v_cmp_gt_i64_e32 vcc, 0, v[15:16]
	v_not_b32_e32 v4, v16
	v_ashrrev_i32_e32 v4, 31, v4
	v_xor_b32_e32 v16, vcc_hi, v4
	;; [unrolled: 8-line block ×5, first 2 shown]
	v_and_b32_e32 v2, v2, v16
	v_lshlrev_b32_e32 v16, 24, v1
	v_xor_b32_e32 v4, vcc_lo, v4
	v_cmp_gt_i64_e32 vcc, 0, v[15:16]
	v_not_b32_e32 v1, v16
	v_ashrrev_i32_e32 v1, 31, v1
	v_and_b32_e32 v3, v3, v4
	v_xor_b32_e32 v4, vcc_hi, v1
	v_xor_b32_e32 v1, vcc_lo, v1
	; wave barrier
	ds_read_b32 v39, v40 offset:16
	v_and_b32_e32 v1, v3, v1
	v_and_b32_e32 v2, v2, v4
	v_mbcnt_lo_u32_b32 v3, v1, 0
	v_mbcnt_hi_u32_b32 v16, v2, v3
	v_cmp_ne_u64_e32 vcc, 0, v[1:2]
	v_cmp_eq_u32_e64 s[34:35], 0, v16
	s_and_b64 s[36:37], s[34:35], vcc
	; wave barrier
	s_and_saveexec_b64 s[34:35], s[36:37]
	s_cbranch_execz .LBB364_12
; %bb.11:                               ;   in Loop: Header=BB364_4 Depth=2
	v_bcnt_u32_b32 v1, v1, 0
	v_bcnt_u32_b32 v1, v2, v1
	s_waitcnt lgkmcnt(0)
	v_add_u32_e32 v1, v39, v1
	ds_write_b32 v40, v1 offset:16
.LBB364_12:                             ;   in Loop: Header=BB364_4 Depth=2
	s_or_b64 exec, exec, s[34:35]
	; wave barrier
	s_waitcnt lgkmcnt(0)
	s_barrier
	ds_read2_b64 v[1:4], v27 offset0:2 offset1:3
	s_waitcnt lgkmcnt(0)
	v_add_u32_e32 v41, v2, v1
	v_add3_u32 v4, v41, v3, v4
	s_nop 1
	v_mov_b32_dpp v41, v4 row_shr:1 row_mask:0xf bank_mask:0xf
	v_cndmask_b32_e64 v41, v41, 0, s[8:9]
	v_add_u32_e32 v4, v41, v4
	s_nop 1
	v_mov_b32_dpp v41, v4 row_shr:2 row_mask:0xf bank_mask:0xf
	v_cndmask_b32_e64 v41, 0, v41, s[10:11]
	v_add_u32_e32 v4, v4, v41
	;; [unrolled: 4-line block ×4, first 2 shown]
	s_nop 1
	v_mov_b32_dpp v41, v4 row_bcast:15 row_mask:0xf bank_mask:0xf
	v_cndmask_b32_e64 v41, v41, 0, s[16:17]
	v_add_u32_e32 v4, v4, v41
	s_nop 1
	v_mov_b32_dpp v41, v4 row_bcast:31 row_mask:0xf bank_mask:0xf
	v_cndmask_b32_e64 v41, 0, v41, s[18:19]
	v_add_u32_e32 v4, v4, v41
	s_and_saveexec_b64 s[34:35], s[20:21]
; %bb.13:                               ;   in Loop: Header=BB364_4 Depth=2
	ds_write_b32 v29, v4
; %bb.14:                               ;   in Loop: Header=BB364_4 Depth=2
	s_or_b64 exec, exec, s[34:35]
	s_waitcnt lgkmcnt(0)
	s_barrier
	s_and_saveexec_b64 s[34:35], s[22:23]
	s_cbranch_execz .LBB364_16
; %bb.15:                               ;   in Loop: Header=BB364_4 Depth=2
	ds_read_b32 v41, v30
	s_waitcnt lgkmcnt(0)
	s_nop 0
	v_mov_b32_dpp v42, v41 row_shr:1 row_mask:0xf bank_mask:0xf
	v_cndmask_b32_e64 v42, v42, 0, s[0:1]
	v_add_u32_e32 v41, v42, v41
	s_nop 1
	v_mov_b32_dpp v42, v41 row_shr:2 row_mask:0xf bank_mask:0xf
	v_cndmask_b32_e64 v42, 0, v42, s[30:31]
	v_add_u32_e32 v41, v41, v42
	ds_write_b32 v30, v41
.LBB364_16:                             ;   in Loop: Header=BB364_4 Depth=2
	s_or_b64 exec, exec, s[34:35]
	v_mov_b32_e32 v41, 0
	s_waitcnt lgkmcnt(0)
	s_barrier
	s_and_saveexec_b64 s[34:35], s[24:25]
; %bb.17:                               ;   in Loop: Header=BB364_4 Depth=2
	ds_read_b32 v41, v31
; %bb.18:                               ;   in Loop: Header=BB364_4 Depth=2
	s_or_b64 exec, exec, s[34:35]
	s_waitcnt lgkmcnt(0)
	v_add_u32_e32 v4, v41, v4
	ds_bpermute_b32 v4, v28, v4
	v_lshlrev_b32_e32 v5, 3, v5
	s_cmp_gt_u32 s41, 55
	s_mov_b64 s[34:35], -1
	s_waitcnt lgkmcnt(0)
	v_cndmask_b32_e64 v4, v4, v41, s[26:27]
	v_cndmask_b32_e64 v41, v4, 0, s[28:29]
	v_add_u32_e32 v42, v41, v1
	v_add_u32_e32 v1, v42, v2
	v_add_u32_e32 v2, v1, v3
	ds_write2_b64 v27, v[41:42], v[1:2] offset0:2 offset1:3
	s_waitcnt lgkmcnt(0)
	s_barrier
	ds_read_b32 v1, v6 offset:16
	ds_read_b32 v2, v8 offset:16
	;; [unrolled: 1-line block ×4, first 2 shown]
	s_waitcnt lgkmcnt(0)
	v_lshl_add_u32 v37, v1, 3, v5
	v_lshlrev_b32_e32 v1, 3, v35
	v_lshlrev_b32_e32 v5, 3, v7
	v_lshlrev_b32_e32 v2, 3, v2
	v_add3_u32 v35, v1, v5, v2
	v_lshlrev_b32_e32 v1, 3, v38
	v_lshlrev_b32_e32 v2, 3, v36
	v_lshlrev_b32_e32 v3, 3, v3
	v_add3_u32 v36, v1, v2, v3
	;; [unrolled: 4-line block ×3, first 2 shown]
                                        ; implicit-def: $vgpr1_vgpr2
                                        ; implicit-def: $vgpr5_vgpr6
	s_cbranch_scc1 .LBB364_3
; %bb.19:                               ;   in Loop: Header=BB364_4 Depth=2
	s_barrier
	ds_write_b64 v37, v[21:22]
	ds_write_b64 v35, v[19:20]
	ds_write_b64 v36, v[17:18]
	ds_write_b64 v16, v[9:10]
	s_waitcnt lgkmcnt(0)
	s_barrier
	ds_read2st64_b64 v[1:4], v32 offset1:1
	ds_read2st64_b64 v[5:8], v32 offset0:2 offset1:3
	s_add_i32 s40, s40, -8
	s_add_i32 s33, s33, 8
	s_add_i32 s41, s41, 8
	s_mov_b64 s[34:35], 0
	s_waitcnt lgkmcnt(0)
	s_barrier
	s_branch .LBB364_3
.LBB364_20:
	s_add_u32 s0, s42, s46
	s_addc_u32 s1, s43, s47
	v_lshlrev_b32_e32 v0, 3, v0
	v_mov_b32_e32 v1, s1
	v_add_co_u32_e32 v2, vcc, s0, v0
	v_addc_co_u32_e32 v1, vcc, 0, v1, vcc
	global_store_dwordx2 v0, v[7:8], s[0:1]
	global_store_dwordx2 v0, v[9:10], s[0:1] offset:2048
	v_add_co_u32_e32 v0, vcc, 0x1000, v2
	v_addc_co_u32_e32 v1, vcc, 0, v1, vcc
	global_store_dwordx2 v[0:1], v[3:4], off
	global_store_dwordx2 v[0:1], v[5:6], off offset:2048
	s_endpgm
	.section	.rodata,"a",@progbits
	.p2align	6, 0x0
	.amdhsa_kernel _Z16sort_keys_kernelI22helper_blocked_stripedN15benchmark_utils11custom_typeIiiEELj256ELj4ELj10EEvPKT0_PS4_
		.amdhsa_group_segment_fixed_size 8192
		.amdhsa_private_segment_fixed_size 0
		.amdhsa_kernarg_size 272
		.amdhsa_user_sgpr_count 6
		.amdhsa_user_sgpr_private_segment_buffer 1
		.amdhsa_user_sgpr_dispatch_ptr 0
		.amdhsa_user_sgpr_queue_ptr 0
		.amdhsa_user_sgpr_kernarg_segment_ptr 1
		.amdhsa_user_sgpr_dispatch_id 0
		.amdhsa_user_sgpr_flat_scratch_init 0
		.amdhsa_user_sgpr_private_segment_size 0
		.amdhsa_uses_dynamic_stack 0
		.amdhsa_system_sgpr_private_segment_wavefront_offset 0
		.amdhsa_system_sgpr_workgroup_id_x 1
		.amdhsa_system_sgpr_workgroup_id_y 0
		.amdhsa_system_sgpr_workgroup_id_z 0
		.amdhsa_system_sgpr_workgroup_info 0
		.amdhsa_system_vgpr_workitem_id 2
		.amdhsa_next_free_vgpr 43
		.amdhsa_next_free_sgpr 61
		.amdhsa_reserve_vcc 1
		.amdhsa_reserve_flat_scratch 0
		.amdhsa_float_round_mode_32 0
		.amdhsa_float_round_mode_16_64 0
		.amdhsa_float_denorm_mode_32 3
		.amdhsa_float_denorm_mode_16_64 3
		.amdhsa_dx10_clamp 1
		.amdhsa_ieee_mode 1
		.amdhsa_fp16_overflow 0
		.amdhsa_exception_fp_ieee_invalid_op 0
		.amdhsa_exception_fp_denorm_src 0
		.amdhsa_exception_fp_ieee_div_zero 0
		.amdhsa_exception_fp_ieee_overflow 0
		.amdhsa_exception_fp_ieee_underflow 0
		.amdhsa_exception_fp_ieee_inexact 0
		.amdhsa_exception_int_div_zero 0
	.end_amdhsa_kernel
	.section	.text._Z16sort_keys_kernelI22helper_blocked_stripedN15benchmark_utils11custom_typeIiiEELj256ELj4ELj10EEvPKT0_PS4_,"axG",@progbits,_Z16sort_keys_kernelI22helper_blocked_stripedN15benchmark_utils11custom_typeIiiEELj256ELj4ELj10EEvPKT0_PS4_,comdat
.Lfunc_end364:
	.size	_Z16sort_keys_kernelI22helper_blocked_stripedN15benchmark_utils11custom_typeIiiEELj256ELj4ELj10EEvPKT0_PS4_, .Lfunc_end364-_Z16sort_keys_kernelI22helper_blocked_stripedN15benchmark_utils11custom_typeIiiEELj256ELj4ELj10EEvPKT0_PS4_
                                        ; -- End function
	.set _Z16sort_keys_kernelI22helper_blocked_stripedN15benchmark_utils11custom_typeIiiEELj256ELj4ELj10EEvPKT0_PS4_.num_vgpr, 43
	.set _Z16sort_keys_kernelI22helper_blocked_stripedN15benchmark_utils11custom_typeIiiEELj256ELj4ELj10EEvPKT0_PS4_.num_agpr, 0
	.set _Z16sort_keys_kernelI22helper_blocked_stripedN15benchmark_utils11custom_typeIiiEELj256ELj4ELj10EEvPKT0_PS4_.numbered_sgpr, 51
	.set _Z16sort_keys_kernelI22helper_blocked_stripedN15benchmark_utils11custom_typeIiiEELj256ELj4ELj10EEvPKT0_PS4_.num_named_barrier, 0
	.set _Z16sort_keys_kernelI22helper_blocked_stripedN15benchmark_utils11custom_typeIiiEELj256ELj4ELj10EEvPKT0_PS4_.private_seg_size, 0
	.set _Z16sort_keys_kernelI22helper_blocked_stripedN15benchmark_utils11custom_typeIiiEELj256ELj4ELj10EEvPKT0_PS4_.uses_vcc, 1
	.set _Z16sort_keys_kernelI22helper_blocked_stripedN15benchmark_utils11custom_typeIiiEELj256ELj4ELj10EEvPKT0_PS4_.uses_flat_scratch, 0
	.set _Z16sort_keys_kernelI22helper_blocked_stripedN15benchmark_utils11custom_typeIiiEELj256ELj4ELj10EEvPKT0_PS4_.has_dyn_sized_stack, 0
	.set _Z16sort_keys_kernelI22helper_blocked_stripedN15benchmark_utils11custom_typeIiiEELj256ELj4ELj10EEvPKT0_PS4_.has_recursion, 0
	.set _Z16sort_keys_kernelI22helper_blocked_stripedN15benchmark_utils11custom_typeIiiEELj256ELj4ELj10EEvPKT0_PS4_.has_indirect_call, 0
	.section	.AMDGPU.csdata,"",@progbits
; Kernel info:
; codeLenInByte = 3720
; TotalNumSgprs: 55
; NumVgprs: 43
; ScratchSize: 0
; MemoryBound: 0
; FloatMode: 240
; IeeeMode: 1
; LDSByteSize: 8192 bytes/workgroup (compile time only)
; SGPRBlocks: 8
; VGPRBlocks: 10
; NumSGPRsForWavesPerEU: 65
; NumVGPRsForWavesPerEU: 43
; Occupancy: 5
; WaveLimiterHint : 1
; COMPUTE_PGM_RSRC2:SCRATCH_EN: 0
; COMPUTE_PGM_RSRC2:USER_SGPR: 6
; COMPUTE_PGM_RSRC2:TRAP_HANDLER: 0
; COMPUTE_PGM_RSRC2:TGID_X_EN: 1
; COMPUTE_PGM_RSRC2:TGID_Y_EN: 0
; COMPUTE_PGM_RSRC2:TGID_Z_EN: 0
; COMPUTE_PGM_RSRC2:TIDIG_COMP_CNT: 2
	.section	.text._Z17sort_pairs_kernelI22helper_blocked_stripedN15benchmark_utils11custom_typeIiiEELj256ELj4ELj10EEvPKT0_PS4_,"axG",@progbits,_Z17sort_pairs_kernelI22helper_blocked_stripedN15benchmark_utils11custom_typeIiiEELj256ELj4ELj10EEvPKT0_PS4_,comdat
	.protected	_Z17sort_pairs_kernelI22helper_blocked_stripedN15benchmark_utils11custom_typeIiiEELj256ELj4ELj10EEvPKT0_PS4_ ; -- Begin function _Z17sort_pairs_kernelI22helper_blocked_stripedN15benchmark_utils11custom_typeIiiEELj256ELj4ELj10EEvPKT0_PS4_
	.globl	_Z17sort_pairs_kernelI22helper_blocked_stripedN15benchmark_utils11custom_typeIiiEELj256ELj4ELj10EEvPKT0_PS4_
	.p2align	8
	.type	_Z17sort_pairs_kernelI22helper_blocked_stripedN15benchmark_utils11custom_typeIiiEELj256ELj4ELj10EEvPKT0_PS4_,@function
_Z17sort_pairs_kernelI22helper_blocked_stripedN15benchmark_utils11custom_typeIiiEELj256ELj4ELj10EEvPKT0_PS4_: ; @_Z17sort_pairs_kernelI22helper_blocked_stripedN15benchmark_utils11custom_typeIiiEELj256ELj4ELj10EEvPKT0_PS4_
; %bb.0:
	s_load_dwordx4 s[40:43], s[4:5], 0x0
	s_load_dword s33, s[4:5], 0x1c
	s_lshl_b32 s46, s6, 10
	s_mov_b32 s47, 0
	s_lshl_b64 s[44:45], s[46:47], 3
	s_waitcnt lgkmcnt(0)
	s_add_u32 s0, s40, s44
	s_addc_u32 s1, s41, s45
	v_lshlrev_b32_e32 v3, 5, v0
	global_load_dwordx4 v[17:20], v3, s[0:1]
	global_load_dwordx4 v[13:16], v3, s[0:1] offset:16
	s_lshr_b32 s34, s33, 16
	s_and_b32 s33, s33, 0xffff
	v_mad_u32_u24 v1, v2, s34, v1
	v_mbcnt_lo_u32_b32 v4, -1, 0
	v_mad_u64_u32 v[1:2], s[34:35], v1, s33, v[0:1]
	v_mbcnt_hi_u32_b32 v4, -1, v4
	v_or_b32_e32 v6, 63, v0
	v_lshrrev_b32_e32 v7, 4, v0
	v_lshrrev_b32_e32 v8, 2, v4
	v_and_b32_e32 v10, 64, v4
	v_cmp_eq_u32_e64 s[8:9], v0, v6
	v_subrev_co_u32_e64 v6, s[10:11], 1, v4
	v_lshlrev_b32_e32 v39, 4, v0
	s_mov_b32 s13, s47
	v_and_b32_e32 v40, 12, v7
	v_and_b32_e32 v3, 0x1800, v3
	s_mov_b32 s46, s47
	v_or_b32_e32 v7, v8, v10
	v_add_u32_e32 v8, 48, v8
	v_cmp_lt_i32_e32 vcc, v6, v10
	v_lshlrev_b32_e32 v5, 2, v0
	s_mov_b32 s12, s47
	v_and_b32_e32 v9, 3, v4
	v_and_b32_e32 v11, 15, v4
	;; [unrolled: 1-line block ×3, first 2 shown]
	v_mad_i32_i24 v41, v0, -12, v39
	v_mov_b32_e32 v22, s13
	v_cndmask_b32_e32 v6, v6, v4, vcc
	v_lshl_or_b32 v43, v4, 3, v3
	v_mov_b32_e32 v23, s46
	v_lshlrev_b32_e32 v45, 2, v7
	v_and_or_b32 v3, v8, 63, v10
	v_lshrrev_b32_e32 v1, 4, v1
	v_cmp_gt_u32_e64 s[0:1], 4, v0
	v_cmp_lt_u32_e64 s[2:3], 63, v0
	v_cmp_eq_u32_e64 s[4:5], 0, v0
	v_cmp_lt_u32_e64 s[6:7], 31, v4
	v_mov_b32_e32 v21, s12
	v_cmp_eq_u32_e64 s[12:13], 0, v9
	v_cmp_eq_u32_e64 s[14:15], 1, v9
	;; [unrolled: 1-line block ×5, first 2 shown]
	v_cmp_lt_u32_e64 s[22:23], 1, v11
	v_cmp_lt_u32_e64 s[24:25], 3, v11
	;; [unrolled: 1-line block ×3, first 2 shown]
	v_cmp_eq_u32_e64 s[28:29], 0, v12
	v_cmp_lt_u32_e64 s[30:31], 1, v9
	v_add_u32_e32 v42, -4, v40
	v_add_u32_e32 v44, v41, v5
	v_mov_b32_e32 v24, s47
	v_lshlrev_b32_e32 v46, 2, v6
	v_lshlrev_b32_e32 v47, 2, v3
	v_add_u32_e32 v48, 64, v45
	v_or_b32_e32 v49, 0x80, v45
	v_and_b32_e32 v50, 0xffffffc, v1
	v_mov_b32_e32 v25, 0
	s_waitcnt vmcnt(1)
	v_add_u32_e32 v10, 1, v18
	v_add_u32_e32 v9, 1, v17
	;; [unrolled: 1-line block ×4, first 2 shown]
	s_waitcnt vmcnt(0)
	v_add_u32_e32 v6, 1, v14
	v_add_u32_e32 v5, 1, v13
	;; [unrolled: 1-line block ×4, first 2 shown]
	s_branch .LBB365_2
.LBB365_1:                              ;   in Loop: Header=BB365_2 Depth=1
	s_barrier
	ds_write_b64 v26, v[37:38]
	ds_write_b64 v51, v[35:36]
	ds_write_b64 v52, v[33:34]
	ds_write_b64 v53, v[31:32]
	s_waitcnt lgkmcnt(0)
	s_barrier
	ds_read2st64_b64 v[1:4], v44 offset1:4
	ds_read2st64_b64 v[13:16], v44 offset0:8 offset1:12
	s_waitcnt lgkmcnt(0)
	s_barrier
	ds_write_b64 v26, v[29:30]
	ds_write_b64 v51, v[27:28]
	;; [unrolled: 1-line block ×4, first 2 shown]
	s_waitcnt lgkmcnt(0)
	s_barrier
	ds_read2st64_b64 v[9:12], v44 offset1:4
	ds_read2st64_b64 v[5:8], v44 offset0:8 offset1:12
	s_add_i32 s47, s47, 1
	v_xor_b32_e32 v17, 0x80000000, v1
	v_xor_b32_e32 v18, 0x80000000, v2
	;; [unrolled: 1-line block ×7, first 2 shown]
	s_cmp_lg_u32 s47, 10
	v_xor_b32_e32 v16, 0x80000000, v16
	s_cbranch_scc0 .LBB365_20
.LBB365_2:                              ; =>This Loop Header: Depth=1
                                        ;     Child Loop BB365_4 Depth 2
	v_xor_b32_e32 v18, 0x80000000, v18
	v_xor_b32_e32 v17, 0x80000000, v17
	v_xor_b32_e32 v20, 0x80000000, v20
	ds_bpermute_b32 v1, v45, v18
	v_xor_b32_e32 v19, 0x80000000, v19
	v_xor_b32_e32 v27, 0x80000000, v14
	ds_bpermute_b32 v2, v45, v17
	ds_bpermute_b32 v3, v45, v20
	v_xor_b32_e32 v26, 0x80000000, v13
	ds_bpermute_b32 v4, v45, v19
	ds_bpermute_b32 v13, v45, v27
	s_waitcnt lgkmcnt(4)
	v_cndmask_b32_e64 v1, 0, v1, s[12:13]
	v_xor_b32_e32 v15, 0x80000000, v15
	v_xor_b32_e32 v16, 0x80000000, v16
	s_waitcnt lgkmcnt(3)
	v_cndmask_b32_e64 v2, 0, v2, s[12:13]
	s_waitcnt lgkmcnt(2)
	v_cndmask_b32_e64 v1, v1, v3, s[14:15]
	ds_bpermute_b32 v3, v45, v26
	s_waitcnt lgkmcnt(2)
	v_cndmask_b32_e64 v2, v2, v4, s[14:15]
	s_waitcnt lgkmcnt(1)
	v_cndmask_b32_e64 v1, v1, v13, s[16:17]
	ds_bpermute_b32 v4, v45, v16
	ds_bpermute_b32 v13, v45, v15
	;; [unrolled: 1-line block ×3, first 2 shown]
	s_waitcnt lgkmcnt(3)
	v_cndmask_b32_e64 v3, v2, v3, s[16:17]
	ds_bpermute_b32 v28, v48, v17
	s_waitcnt lgkmcnt(3)
	v_cndmask_b32_e64 v2, v1, v4, s[18:19]
	s_waitcnt lgkmcnt(2)
	v_cndmask_b32_e64 v1, v3, v13, s[18:19]
	ds_bpermute_b32 v3, v48, v20
	s_waitcnt lgkmcnt(2)
	v_cndmask_b32_e64 v4, 0, v14, s[12:13]
	ds_bpermute_b32 v14, v48, v19
	;; [unrolled: 3-line block ×4, first 2 shown]
	ds_bpermute_b32 v29, v48, v16
	s_waitcnt lgkmcnt(3)
	v_cndmask_b32_e64 v13, v13, v14, s[14:15]
	ds_bpermute_b32 v14, v48, v15
	s_waitcnt lgkmcnt(3)
	v_cndmask_b32_e64 v3, v3, v28, s[16:17]
	s_waitcnt lgkmcnt(2)
	v_cndmask_b32_e64 v13, v13, v4, s[16:17]
	;; [unrolled: 2-line block ×3, first 2 shown]
	ds_bpermute_b32 v28, v49, v18
	ds_bpermute_b32 v29, v49, v17
	s_waitcnt lgkmcnt(2)
	v_cndmask_b32_e64 v3, v13, v14, s[18:19]
	ds_bpermute_b32 v13, v49, v20
	ds_bpermute_b32 v14, v49, v19
	;; [unrolled: 1-line block ×7, first 2 shown]
	s_waitcnt lgkmcnt(8)
	v_cndmask_b32_e64 v28, 0, v28, s[12:13]
	s_waitcnt lgkmcnt(7)
	v_cndmask_b32_e64 v29, 0, v29, s[12:13]
	ds_bpermute_b32 v27, v47, v27
	s_waitcnt lgkmcnt(7)
	v_cndmask_b32_e64 v13, v28, v13, s[14:15]
	s_waitcnt lgkmcnt(6)
	v_cndmask_b32_e64 v14, v29, v14, s[14:15]
	ds_bpermute_b32 v28, v49, v26
	ds_bpermute_b32 v29, v49, v16
	s_waitcnt lgkmcnt(7)
	v_cndmask_b32_e64 v17, 0, v17, s[12:13]
	ds_bpermute_b32 v26, v47, v26
	ds_bpermute_b32 v16, v47, v16
	s_waitcnt lgkmcnt(8)
	v_cndmask_b32_e64 v13, v13, v30, s[16:17]
	ds_bpermute_b32 v30, v49, v15
	s_waitcnt lgkmcnt(8)
	v_cndmask_b32_e64 v17, v17, v19, s[14:15]
	ds_bpermute_b32 v15, v47, v15
	ds_bpermute_b32 v19, v45, v10
	s_waitcnt lgkmcnt(9)
	v_cndmask_b32_e64 v18, 0, v18, s[12:13]
	s_waitcnt lgkmcnt(8)
	v_cndmask_b32_e64 v18, v18, v20, s[14:15]
	;; [unrolled: 2-line block ×5, first 2 shown]
	ds_bpermute_b32 v18, v45, v9
	ds_bpermute_b32 v20, v45, v12
	s_waitcnt lgkmcnt(3)
	v_cndmask_b32_e64 v15, v17, v15, s[18:19]
	s_waitcnt lgkmcnt(2)
	v_cndmask_b32_e64 v17, 0, v19, s[12:13]
	ds_bpermute_b32 v19, v45, v11
	s_waitcnt lgkmcnt(2)
	v_cndmask_b32_e64 v18, 0, v18, s[12:13]
	s_waitcnt lgkmcnt(1)
	v_cndmask_b32_e64 v17, v17, v20, s[14:15]
	ds_bpermute_b32 v20, v45, v6
	ds_bpermute_b32 v26, v45, v5
	s_waitcnt lgkmcnt(2)
	v_cndmask_b32_e64 v18, v18, v19, s[14:15]
	ds_bpermute_b32 v19, v45, v8
	ds_bpermute_b32 v27, v45, v7
	s_waitcnt lgkmcnt(3)
	v_cndmask_b32_e64 v17, v17, v20, s[16:17]
	s_waitcnt lgkmcnt(2)
	v_cndmask_b32_e64 v20, v18, v26, s[16:17]
	ds_bpermute_b32 v26, v48, v10
	s_waitcnt lgkmcnt(2)
	v_cndmask_b32_e64 v18, v17, v19, s[18:19]
	s_waitcnt lgkmcnt(1)
	v_cndmask_b32_e64 v17, v20, v27, s[18:19]
	ds_bpermute_b32 v19, v48, v9
	ds_bpermute_b32 v20, v48, v12
	;; [unrolled: 1-line block ×3, first 2 shown]
	v_cndmask_b32_e64 v28, v14, v28, s[16:17]
	s_waitcnt lgkmcnt(3)
	v_cndmask_b32_e64 v26, 0, v26, s[12:13]
	v_cndmask_b32_e64 v14, v13, v29, s[18:19]
	;; [unrolled: 1-line block ×3, first 2 shown]
	ds_bpermute_b32 v28, v48, v6
	s_waitcnt lgkmcnt(3)
	v_cndmask_b32_e64 v19, 0, v19, s[12:13]
	s_waitcnt lgkmcnt(2)
	v_cndmask_b32_e64 v20, v26, v20, s[14:15]
	ds_bpermute_b32 v26, v48, v5
	s_waitcnt lgkmcnt(2)
	v_cndmask_b32_e64 v19, v19, v27, s[14:15]
	ds_bpermute_b32 v27, v48, v8
	;; [unrolled: 3-line block ×4, first 2 shown]
	ds_bpermute_b32 v29, v49, v9
	s_waitcnt lgkmcnt(3)
	v_cndmask_b32_e64 v20, v20, v27, s[18:19]
	ds_bpermute_b32 v27, v49, v12
	s_waitcnt lgkmcnt(3)
	v_cndmask_b32_e64 v19, v19, v28, s[18:19]
	s_waitcnt lgkmcnt(2)
	v_cndmask_b32_e64 v26, 0, v26, s[12:13]
	;; [unrolled: 2-line block ×3, first 2 shown]
	ds_bpermute_b32 v29, v49, v11
	ds_bpermute_b32 v30, v49, v6
	s_waitcnt lgkmcnt(2)
	v_cndmask_b32_e64 v26, v26, v27, s[14:15]
	ds_bpermute_b32 v27, v49, v5
	ds_bpermute_b32 v31, v49, v8
	s_waitcnt lgkmcnt(3)
	v_cndmask_b32_e64 v28, v28, v29, s[14:15]
	s_waitcnt lgkmcnt(2)
	v_cndmask_b32_e64 v26, v26, v30, s[16:17]
	ds_bpermute_b32 v29, v49, v7
	s_waitcnt lgkmcnt(2)
	v_cndmask_b32_e64 v27, v28, v27, s[16:17]
	ds_bpermute_b32 v28, v47, v10
	ds_bpermute_b32 v30, v47, v9
	;; [unrolled: 1-line block ×8, first 2 shown]
	s_waitcnt lgkmcnt(9)
	v_cndmask_b32_e64 v10, v26, v31, s[18:19]
	s_waitcnt lgkmcnt(8)
	v_cndmask_b32_e64 v9, v27, v29, s[18:19]
	;; [unrolled: 2-line block ×10, first 2 shown]
	s_mov_b32 s33, 8
	s_mov_b32 s40, 32
	;; [unrolled: 1-line block ×3, first 2 shown]
	s_barrier
	s_branch .LBB365_4
.LBB365_3:                              ;   in Loop: Header=BB365_4 Depth=2
	s_andn2_b64 vcc, exec, s[34:35]
	s_cbranch_vccz .LBB365_1
.LBB365_4:                              ;   Parent Loop BB365_2 Depth=1
                                        ; =>  This Inner Loop Header: Depth=2
	s_min_i32 s36, s33, 32
	s_cmp_lt_u32 s41, 32
	s_cselect_b64 s[34:35], -1, 0
	s_cmp_gt_u32 s41, 31
	s_cselect_b64 vcc, -1, 0
	s_sub_i32 s36, s36, 32
	s_add_i32 s37, s36, s40
	s_lshl_b32 s37, -1, s37
	s_not_b32 s37, s37
	s_cmp_lg_u32 s36, s41
	s_cselect_b32 s48, s37, -1
	s_max_i32 s46, s40, 0
	s_max_i32 s36, s41, 32
	s_sub_i32 s49, s36, 32
	s_sub_i32 s36, s36, s46
	;; [unrolled: 1-line block ×3, first 2 shown]
	s_min_i32 s36, s36, 32
	s_sub_i32 s36, s36, s49
	s_lshl_b32 s37, -1, s36
	v_mov_b32_e32 v38, v2
	s_not_b32 s37, s37
	v_mov_b32_e32 v37, v1
	s_cmp_lg_u32 s36, 32
	s_cselect_b32 s50, s37, -1
	v_lshrrev_b32_e32 v2, s49, v37
	v_lshrrev_b32_e32 v1, s41, v38
	v_and_b32_e32 v2, s50, v2
	v_and_b32_e32 v1, s48, v1
	v_lshlrev_b32_e32 v2, s46, v2
	v_cndmask_b32_e64 v1, 0, v1, s[34:35]
	v_cndmask_b32_e32 v2, 0, v2, vcc
	v_or_b32_e32 v1, v1, v2
	v_mov_b32_e32 v36, v4
	v_and_b32_e32 v2, 1, v1
	v_mov_b32_e32 v7, v9
	v_mov_b32_e32 v35, v3
	v_add_co_u32_e64 v4, s[36:37], -1, v2
	v_mov_b32_e32 v8, v10
	v_addc_co_u32_e64 v9, s[36:37], 0, -1, s[36:37]
	v_cmp_ne_u32_e64 s[36:37], 0, v2
	v_lshlrev_b32_e32 v26, 30, v1
	v_xor_b32_e32 v2, s37, v9
	v_xor_b32_e32 v4, s36, v4
	v_cmp_gt_i64_e64 s[36:37], 0, v[25:26]
	v_not_b32_e32 v9, v26
	v_ashrrev_i32_e32 v9, 31, v9
	v_and_b32_e32 v4, exec_lo, v4
	v_xor_b32_e32 v10, s37, v9
	v_xor_b32_e32 v9, s36, v9
	v_lshlrev_b32_e32 v26, 29, v1
	v_and_b32_e32 v4, v4, v9
	v_cmp_gt_i64_e64 s[36:37], 0, v[25:26]
	v_not_b32_e32 v9, v26
	v_and_b32_e32 v2, exec_hi, v2
	v_ashrrev_i32_e32 v9, 31, v9
	v_and_b32_e32 v2, v2, v10
	v_xor_b32_e32 v10, s37, v9
	v_xor_b32_e32 v9, s36, v9
	v_lshlrev_b32_e32 v26, 28, v1
	v_and_b32_e32 v4, v4, v9
	v_cmp_gt_i64_e64 s[36:37], 0, v[25:26]
	v_not_b32_e32 v9, v26
	v_ashrrev_i32_e32 v9, 31, v9
	v_and_b32_e32 v2, v2, v10
	v_xor_b32_e32 v10, s37, v9
	v_xor_b32_e32 v9, s36, v9
	v_lshlrev_b32_e32 v26, 27, v1
	v_and_b32_e32 v4, v4, v9
	v_cmp_gt_i64_e64 s[36:37], 0, v[25:26]
	v_not_b32_e32 v9, v26
	;; [unrolled: 8-line block ×4, first 2 shown]
	v_ashrrev_i32_e32 v9, 31, v9
	v_lshlrev_b32_e32 v26, 24, v1
	v_lshlrev_b32_e32 v3, 4, v1
	v_and_b32_e32 v2, v2, v10
	v_xor_b32_e32 v10, s37, v9
	v_xor_b32_e32 v9, s36, v9
	v_cmp_gt_i64_e64 s[36:37], 0, v[25:26]
	v_not_b32_e32 v1, v26
	v_ashrrev_i32_e32 v1, 31, v1
	v_and_b32_e32 v4, v4, v9
	v_xor_b32_e32 v9, s37, v1
	v_xor_b32_e32 v1, s36, v1
	v_and_b32_e32 v2, v2, v10
	v_and_b32_e32 v1, v4, v1
	;; [unrolled: 1-line block ×3, first 2 shown]
	v_mbcnt_lo_u32_b32 v4, v1, 0
	v_mbcnt_hi_u32_b32 v9, v2, v4
	v_cmp_ne_u64_e64 s[36:37], 0, v[1:2]
	v_mov_b32_e32 v30, v18
	v_mov_b32_e32 v28, v20
	;; [unrolled: 1-line block ×5, first 2 shown]
	v_cmp_eq_u32_e64 s[38:39], 0, v9
	v_mov_b32_e32 v29, v17
	v_mov_b32_e32 v27, v19
	;; [unrolled: 1-line block ×5, first 2 shown]
	s_and_b64 s[38:39], s[38:39], s[36:37]
	v_add_u32_e32 v10, v50, v3
	ds_write2_b64 v39, v[23:24], v[21:22] offset0:2 offset1:3
	s_waitcnt lgkmcnt(0)
	s_barrier
	; wave barrier
	s_and_saveexec_b64 s[36:37], s[38:39]
; %bb.5:                                ;   in Loop: Header=BB365_4 Depth=2
	v_bcnt_u32_b32 v1, v1, 0
	v_bcnt_u32_b32 v1, v2, v1
	ds_write_b32 v10, v1 offset:16
; %bb.6:                                ;   in Loop: Header=BB365_4 Depth=2
	s_or_b64 exec, exec, s[36:37]
	v_lshrrev_b32_e32 v2, s49, v35
	v_lshrrev_b32_e32 v1, s41, v36
	v_and_b32_e32 v2, s50, v2
	v_and_b32_e32 v1, s48, v1
	v_lshlrev_b32_e32 v2, s46, v2
	v_cndmask_b32_e64 v1, 0, v1, s[34:35]
	v_cndmask_b32_e32 v2, 0, v2, vcc
	v_or_b32_e32 v1, v1, v2
	v_lshlrev_b32_e32 v2, 4, v1
	v_add_u32_e32 v12, v50, v2
	v_and_b32_e32 v2, 1, v1
	v_add_co_u32_e64 v3, s[36:37], -1, v2
	v_addc_co_u32_e64 v4, s[36:37], 0, -1, s[36:37]
	v_cmp_ne_u32_e64 s[36:37], 0, v2
	v_lshlrev_b32_e32 v26, 30, v1
	v_xor_b32_e32 v2, s37, v4
	v_xor_b32_e32 v3, s36, v3
	v_cmp_gt_i64_e64 s[36:37], 0, v[25:26]
	v_not_b32_e32 v4, v26
	v_ashrrev_i32_e32 v4, 31, v4
	v_and_b32_e32 v3, exec_lo, v3
	v_xor_b32_e32 v13, s37, v4
	v_xor_b32_e32 v4, s36, v4
	v_lshlrev_b32_e32 v26, 29, v1
	v_and_b32_e32 v3, v3, v4
	v_cmp_gt_i64_e64 s[36:37], 0, v[25:26]
	v_not_b32_e32 v4, v26
	v_and_b32_e32 v2, exec_hi, v2
	v_ashrrev_i32_e32 v4, 31, v4
	v_and_b32_e32 v2, v2, v13
	v_xor_b32_e32 v13, s37, v4
	v_xor_b32_e32 v4, s36, v4
	v_lshlrev_b32_e32 v26, 28, v1
	v_and_b32_e32 v3, v3, v4
	v_cmp_gt_i64_e64 s[36:37], 0, v[25:26]
	v_not_b32_e32 v4, v26
	v_ashrrev_i32_e32 v4, 31, v4
	v_and_b32_e32 v2, v2, v13
	v_xor_b32_e32 v13, s37, v4
	v_xor_b32_e32 v4, s36, v4
	v_lshlrev_b32_e32 v26, 27, v1
	v_and_b32_e32 v3, v3, v4
	v_cmp_gt_i64_e64 s[36:37], 0, v[25:26]
	v_not_b32_e32 v4, v26
	;; [unrolled: 8-line block ×4, first 2 shown]
	v_ashrrev_i32_e32 v4, 31, v4
	v_lshlrev_b32_e32 v26, 24, v1
	v_and_b32_e32 v2, v2, v13
	v_xor_b32_e32 v13, s37, v4
	v_xor_b32_e32 v4, s36, v4
	v_cmp_gt_i64_e64 s[36:37], 0, v[25:26]
	v_not_b32_e32 v1, v26
	v_ashrrev_i32_e32 v1, 31, v1
	v_and_b32_e32 v3, v3, v4
	v_xor_b32_e32 v4, s37, v1
	v_xor_b32_e32 v1, s36, v1
	; wave barrier
	ds_read_b32 v11, v12 offset:16
	v_and_b32_e32 v2, v2, v13
	v_and_b32_e32 v1, v3, v1
	;; [unrolled: 1-line block ×3, first 2 shown]
	v_mbcnt_lo_u32_b32 v3, v1, 0
	v_mbcnt_hi_u32_b32 v13, v2, v3
	v_cmp_ne_u64_e64 s[36:37], 0, v[1:2]
	v_cmp_eq_u32_e64 s[38:39], 0, v13
	s_and_b64 s[38:39], s[38:39], s[36:37]
	; wave barrier
	s_and_saveexec_b64 s[36:37], s[38:39]
	s_cbranch_execz .LBB365_8
; %bb.7:                                ;   in Loop: Header=BB365_4 Depth=2
	v_bcnt_u32_b32 v1, v1, 0
	v_bcnt_u32_b32 v1, v2, v1
	s_waitcnt lgkmcnt(0)
	v_add_u32_e32 v1, v11, v1
	ds_write_b32 v12, v1 offset:16
.LBB365_8:                              ;   in Loop: Header=BB365_4 Depth=2
	s_or_b64 exec, exec, s[36:37]
	v_lshrrev_b32_e32 v2, s49, v33
	v_lshrrev_b32_e32 v1, s41, v34
	v_and_b32_e32 v2, s50, v2
	v_and_b32_e32 v1, s48, v1
	v_lshlrev_b32_e32 v2, s46, v2
	v_cndmask_b32_e64 v1, 0, v1, s[34:35]
	v_cndmask_b32_e32 v2, 0, v2, vcc
	v_or_b32_e32 v1, v1, v2
	v_lshlrev_b32_e32 v2, 4, v1
	v_add_u32_e32 v15, v50, v2
	v_and_b32_e32 v2, 1, v1
	v_add_co_u32_e64 v3, s[36:37], -1, v2
	v_addc_co_u32_e64 v4, s[36:37], 0, -1, s[36:37]
	v_cmp_ne_u32_e64 s[36:37], 0, v2
	v_lshlrev_b32_e32 v26, 30, v1
	v_xor_b32_e32 v2, s37, v4
	v_xor_b32_e32 v3, s36, v3
	v_cmp_gt_i64_e64 s[36:37], 0, v[25:26]
	v_not_b32_e32 v4, v26
	v_ashrrev_i32_e32 v4, 31, v4
	v_and_b32_e32 v3, exec_lo, v3
	v_xor_b32_e32 v16, s37, v4
	v_xor_b32_e32 v4, s36, v4
	v_lshlrev_b32_e32 v26, 29, v1
	v_and_b32_e32 v3, v3, v4
	v_cmp_gt_i64_e64 s[36:37], 0, v[25:26]
	v_not_b32_e32 v4, v26
	v_and_b32_e32 v2, exec_hi, v2
	v_ashrrev_i32_e32 v4, 31, v4
	v_and_b32_e32 v2, v2, v16
	v_xor_b32_e32 v16, s37, v4
	v_xor_b32_e32 v4, s36, v4
	v_lshlrev_b32_e32 v26, 28, v1
	v_and_b32_e32 v3, v3, v4
	v_cmp_gt_i64_e64 s[36:37], 0, v[25:26]
	v_not_b32_e32 v4, v26
	v_ashrrev_i32_e32 v4, 31, v4
	v_and_b32_e32 v2, v2, v16
	v_xor_b32_e32 v16, s37, v4
	v_xor_b32_e32 v4, s36, v4
	v_lshlrev_b32_e32 v26, 27, v1
	v_and_b32_e32 v3, v3, v4
	v_cmp_gt_i64_e64 s[36:37], 0, v[25:26]
	v_not_b32_e32 v4, v26
	;; [unrolled: 8-line block ×4, first 2 shown]
	v_ashrrev_i32_e32 v4, 31, v4
	v_lshlrev_b32_e32 v26, 24, v1
	v_and_b32_e32 v2, v2, v16
	v_xor_b32_e32 v16, s37, v4
	v_xor_b32_e32 v4, s36, v4
	v_cmp_gt_i64_e64 s[36:37], 0, v[25:26]
	v_not_b32_e32 v1, v26
	v_ashrrev_i32_e32 v1, 31, v1
	v_and_b32_e32 v3, v3, v4
	v_xor_b32_e32 v4, s37, v1
	v_xor_b32_e32 v1, s36, v1
	; wave barrier
	ds_read_b32 v14, v15 offset:16
	v_and_b32_e32 v2, v2, v16
	v_and_b32_e32 v1, v3, v1
	;; [unrolled: 1-line block ×3, first 2 shown]
	v_mbcnt_lo_u32_b32 v3, v1, 0
	v_mbcnt_hi_u32_b32 v16, v2, v3
	v_cmp_ne_u64_e64 s[36:37], 0, v[1:2]
	v_cmp_eq_u32_e64 s[38:39], 0, v16
	s_and_b64 s[38:39], s[38:39], s[36:37]
	; wave barrier
	s_and_saveexec_b64 s[36:37], s[38:39]
	s_cbranch_execz .LBB365_10
; %bb.9:                                ;   in Loop: Header=BB365_4 Depth=2
	v_bcnt_u32_b32 v1, v1, 0
	v_bcnt_u32_b32 v1, v2, v1
	s_waitcnt lgkmcnt(0)
	v_add_u32_e32 v1, v14, v1
	ds_write_b32 v15, v1 offset:16
.LBB365_10:                             ;   in Loop: Header=BB365_4 Depth=2
	s_or_b64 exec, exec, s[36:37]
	v_lshrrev_b32_e32 v2, s49, v31
	v_lshrrev_b32_e32 v1, s41, v32
	v_and_b32_e32 v2, s50, v2
	v_and_b32_e32 v1, s48, v1
	v_lshlrev_b32_e32 v2, s46, v2
	v_cndmask_b32_e64 v1, 0, v1, s[34:35]
	v_cndmask_b32_e32 v2, 0, v2, vcc
	v_or_b32_e32 v1, v1, v2
	v_lshlrev_b32_e32 v2, 4, v1
	v_add_u32_e32 v18, v50, v2
	v_and_b32_e32 v2, 1, v1
	v_add_co_u32_e32 v3, vcc, -1, v2
	v_addc_co_u32_e64 v4, s[34:35], 0, -1, vcc
	v_cmp_ne_u32_e32 vcc, 0, v2
	v_lshlrev_b32_e32 v26, 30, v1
	v_xor_b32_e32 v2, vcc_hi, v4
	v_xor_b32_e32 v3, vcc_lo, v3
	v_cmp_gt_i64_e32 vcc, 0, v[25:26]
	v_not_b32_e32 v4, v26
	v_ashrrev_i32_e32 v4, 31, v4
	v_and_b32_e32 v3, exec_lo, v3
	v_xor_b32_e32 v19, vcc_hi, v4
	v_xor_b32_e32 v4, vcc_lo, v4
	v_lshlrev_b32_e32 v26, 29, v1
	v_and_b32_e32 v3, v3, v4
	v_cmp_gt_i64_e32 vcc, 0, v[25:26]
	v_not_b32_e32 v4, v26
	v_and_b32_e32 v2, exec_hi, v2
	v_ashrrev_i32_e32 v4, 31, v4
	v_and_b32_e32 v2, v2, v19
	v_xor_b32_e32 v19, vcc_hi, v4
	v_xor_b32_e32 v4, vcc_lo, v4
	v_lshlrev_b32_e32 v26, 28, v1
	v_and_b32_e32 v3, v3, v4
	v_cmp_gt_i64_e32 vcc, 0, v[25:26]
	v_not_b32_e32 v4, v26
	v_ashrrev_i32_e32 v4, 31, v4
	v_and_b32_e32 v2, v2, v19
	v_xor_b32_e32 v19, vcc_hi, v4
	v_xor_b32_e32 v4, vcc_lo, v4
	v_lshlrev_b32_e32 v26, 27, v1
	v_and_b32_e32 v3, v3, v4
	v_cmp_gt_i64_e32 vcc, 0, v[25:26]
	v_not_b32_e32 v4, v26
	;; [unrolled: 8-line block ×4, first 2 shown]
	v_ashrrev_i32_e32 v4, 31, v4
	v_lshlrev_b32_e32 v26, 24, v1
	v_and_b32_e32 v2, v2, v19
	v_xor_b32_e32 v19, vcc_hi, v4
	v_xor_b32_e32 v4, vcc_lo, v4
	v_cmp_gt_i64_e32 vcc, 0, v[25:26]
	v_not_b32_e32 v1, v26
	v_ashrrev_i32_e32 v1, 31, v1
	v_and_b32_e32 v3, v3, v4
	v_xor_b32_e32 v4, vcc_hi, v1
	v_xor_b32_e32 v1, vcc_lo, v1
	; wave barrier
	ds_read_b32 v17, v18 offset:16
	v_and_b32_e32 v2, v2, v19
	v_and_b32_e32 v1, v3, v1
	;; [unrolled: 1-line block ×3, first 2 shown]
	v_mbcnt_lo_u32_b32 v3, v1, 0
	v_mbcnt_hi_u32_b32 v19, v2, v3
	v_cmp_ne_u64_e32 vcc, 0, v[1:2]
	v_cmp_eq_u32_e64 s[34:35], 0, v19
	s_and_b64 s[36:37], s[34:35], vcc
	; wave barrier
	s_and_saveexec_b64 s[34:35], s[36:37]
	s_cbranch_execz .LBB365_12
; %bb.11:                               ;   in Loop: Header=BB365_4 Depth=2
	v_bcnt_u32_b32 v1, v1, 0
	v_bcnt_u32_b32 v1, v2, v1
	s_waitcnt lgkmcnt(0)
	v_add_u32_e32 v1, v17, v1
	ds_write_b32 v18, v1 offset:16
.LBB365_12:                             ;   in Loop: Header=BB365_4 Depth=2
	s_or_b64 exec, exec, s[34:35]
	; wave barrier
	s_waitcnt lgkmcnt(0)
	s_barrier
	ds_read2_b64 v[1:4], v39 offset0:2 offset1:3
	s_waitcnt lgkmcnt(0)
	v_add_u32_e32 v20, v2, v1
	v_add3_u32 v4, v20, v3, v4
	s_nop 1
	v_mov_b32_dpp v20, v4 row_shr:1 row_mask:0xf bank_mask:0xf
	v_cndmask_b32_e64 v20, v20, 0, s[20:21]
	v_add_u32_e32 v4, v20, v4
	s_nop 1
	v_mov_b32_dpp v20, v4 row_shr:2 row_mask:0xf bank_mask:0xf
	v_cndmask_b32_e64 v20, 0, v20, s[22:23]
	v_add_u32_e32 v4, v4, v20
	;; [unrolled: 4-line block ×4, first 2 shown]
	s_nop 1
	v_mov_b32_dpp v20, v4 row_bcast:15 row_mask:0xf bank_mask:0xf
	v_cndmask_b32_e64 v20, v20, 0, s[28:29]
	v_add_u32_e32 v4, v4, v20
	s_nop 1
	v_mov_b32_dpp v20, v4 row_bcast:31 row_mask:0xf bank_mask:0xf
	v_cndmask_b32_e64 v20, 0, v20, s[6:7]
	v_add_u32_e32 v4, v4, v20
	s_and_saveexec_b64 s[34:35], s[8:9]
; %bb.13:                               ;   in Loop: Header=BB365_4 Depth=2
	ds_write_b32 v40, v4
; %bb.14:                               ;   in Loop: Header=BB365_4 Depth=2
	s_or_b64 exec, exec, s[34:35]
	s_waitcnt lgkmcnt(0)
	s_barrier
	s_and_saveexec_b64 s[34:35], s[0:1]
	s_cbranch_execz .LBB365_16
; %bb.15:                               ;   in Loop: Header=BB365_4 Depth=2
	ds_read_b32 v20, v41
	s_waitcnt lgkmcnt(0)
	s_nop 0
	v_mov_b32_dpp v26, v20 row_shr:1 row_mask:0xf bank_mask:0xf
	v_cndmask_b32_e64 v26, v26, 0, s[12:13]
	v_add_u32_e32 v20, v26, v20
	s_nop 1
	v_mov_b32_dpp v26, v20 row_shr:2 row_mask:0xf bank_mask:0xf
	v_cndmask_b32_e64 v26, 0, v26, s[30:31]
	v_add_u32_e32 v20, v20, v26
	ds_write_b32 v41, v20
.LBB365_16:                             ;   in Loop: Header=BB365_4 Depth=2
	s_or_b64 exec, exec, s[34:35]
	v_mov_b32_e32 v20, 0
	s_waitcnt lgkmcnt(0)
	s_barrier
	s_and_saveexec_b64 s[34:35], s[2:3]
; %bb.17:                               ;   in Loop: Header=BB365_4 Depth=2
	ds_read_b32 v20, v42
; %bb.18:                               ;   in Loop: Header=BB365_4 Depth=2
	s_or_b64 exec, exec, s[34:35]
	s_waitcnt lgkmcnt(0)
	v_add_u32_e32 v4, v20, v4
	ds_bpermute_b32 v4, v46, v4
	v_lshlrev_b32_e32 v9, 3, v9
	s_cmp_gt_u32 s41, 55
	s_mov_b64 s[34:35], -1
	s_waitcnt lgkmcnt(0)
	v_cndmask_b32_e64 v4, v4, v20, s[10:11]
	v_cndmask_b32_e64 v51, v4, 0, s[4:5]
	v_add_u32_e32 v52, v51, v1
	v_add_u32_e32 v1, v52, v2
	;; [unrolled: 1-line block ×3, first 2 shown]
	ds_write2_b64 v39, v[51:52], v[1:2] offset0:2 offset1:3
	s_waitcnt lgkmcnt(0)
	s_barrier
	ds_read_b32 v1, v10 offset:16
	ds_read_b32 v2, v12 offset:16
	;; [unrolled: 1-line block ×4, first 2 shown]
	s_waitcnt lgkmcnt(0)
	v_lshl_add_u32 v26, v1, 3, v9
	v_lshlrev_b32_e32 v1, 3, v13
	v_lshlrev_b32_e32 v9, 3, v11
	v_lshlrev_b32_e32 v2, 3, v2
	v_add3_u32 v51, v1, v9, v2
	v_lshlrev_b32_e32 v1, 3, v16
	v_lshlrev_b32_e32 v2, 3, v14
	v_lshlrev_b32_e32 v3, 3, v3
	v_add3_u32 v52, v1, v2, v3
	;; [unrolled: 4-line block ×3, first 2 shown]
                                        ; implicit-def: $vgpr17_vgpr18
                                        ; implicit-def: $vgpr9_vgpr10
                                        ; implicit-def: $vgpr1_vgpr2
                                        ; implicit-def: $vgpr13_vgpr14
	s_cbranch_scc1 .LBB365_3
; %bb.19:                               ;   in Loop: Header=BB365_4 Depth=2
	s_barrier
	ds_write_b64 v26, v[37:38]
	ds_write_b64 v51, v[35:36]
	ds_write_b64 v52, v[33:34]
	ds_write_b64 v53, v[31:32]
	s_waitcnt lgkmcnt(0)
	s_barrier
	ds_read2st64_b64 v[1:4], v43 offset1:1
	ds_read2st64_b64 v[13:16], v43 offset0:2 offset1:3
	s_waitcnt lgkmcnt(0)
	s_barrier
	ds_write_b64 v26, v[29:30]
	ds_write_b64 v51, v[27:28]
	;; [unrolled: 1-line block ×4, first 2 shown]
	s_waitcnt lgkmcnt(0)
	s_barrier
	ds_read2st64_b64 v[17:20], v43 offset1:1
	ds_read2st64_b64 v[9:12], v43 offset0:2 offset1:3
	s_add_i32 s40, s40, -8
	s_add_i32 s33, s33, 8
	s_add_i32 s41, s41, 8
	s_mov_b64 s[34:35], 0
	s_waitcnt lgkmcnt(0)
	s_barrier
	s_branch .LBB365_3
.LBB365_20:
	s_add_u32 s0, s42, s44
	s_addc_u32 s1, s43, s45
	v_lshlrev_b32_e32 v0, 3, v0
	s_waitcnt lgkmcnt(1)
	v_add_u32_e32 v1, v17, v9
	v_add_u32_e32 v2, v18, v10
	v_mov_b32_e32 v9, s1
	v_add_co_u32_e32 v10, vcc, s0, v0
	v_addc_co_u32_e32 v9, vcc, 0, v9, vcc
	v_add_u32_e32 v3, v19, v11
	v_add_u32_e32 v4, v20, v12
	global_store_dwordx2 v0, v[1:2], s[0:1]
	global_store_dwordx2 v0, v[3:4], s[0:1] offset:2048
	v_add_co_u32_e32 v0, vcc, 0x1000, v10
	s_waitcnt lgkmcnt(0)
	v_add_u32_e32 v5, v13, v5
	v_add_u32_e32 v6, v14, v6
	v_addc_co_u32_e32 v1, vcc, 0, v9, vcc
	v_add_u32_e32 v7, v15, v7
	v_add_u32_e32 v8, v16, v8
	global_store_dwordx2 v[0:1], v[5:6], off
	global_store_dwordx2 v[0:1], v[7:8], off offset:2048
	s_endpgm
	.section	.rodata,"a",@progbits
	.p2align	6, 0x0
	.amdhsa_kernel _Z17sort_pairs_kernelI22helper_blocked_stripedN15benchmark_utils11custom_typeIiiEELj256ELj4ELj10EEvPKT0_PS4_
		.amdhsa_group_segment_fixed_size 8192
		.amdhsa_private_segment_fixed_size 0
		.amdhsa_kernarg_size 272
		.amdhsa_user_sgpr_count 6
		.amdhsa_user_sgpr_private_segment_buffer 1
		.amdhsa_user_sgpr_dispatch_ptr 0
		.amdhsa_user_sgpr_queue_ptr 0
		.amdhsa_user_sgpr_kernarg_segment_ptr 1
		.amdhsa_user_sgpr_dispatch_id 0
		.amdhsa_user_sgpr_flat_scratch_init 0
		.amdhsa_user_sgpr_private_segment_size 0
		.amdhsa_uses_dynamic_stack 0
		.amdhsa_system_sgpr_private_segment_wavefront_offset 0
		.amdhsa_system_sgpr_workgroup_id_x 1
		.amdhsa_system_sgpr_workgroup_id_y 0
		.amdhsa_system_sgpr_workgroup_id_z 0
		.amdhsa_system_sgpr_workgroup_info 0
		.amdhsa_system_vgpr_workitem_id 2
		.amdhsa_next_free_vgpr 54
		.amdhsa_next_free_sgpr 61
		.amdhsa_reserve_vcc 1
		.amdhsa_reserve_flat_scratch 0
		.amdhsa_float_round_mode_32 0
		.amdhsa_float_round_mode_16_64 0
		.amdhsa_float_denorm_mode_32 3
		.amdhsa_float_denorm_mode_16_64 3
		.amdhsa_dx10_clamp 1
		.amdhsa_ieee_mode 1
		.amdhsa_fp16_overflow 0
		.amdhsa_exception_fp_ieee_invalid_op 0
		.amdhsa_exception_fp_denorm_src 0
		.amdhsa_exception_fp_ieee_div_zero 0
		.amdhsa_exception_fp_ieee_overflow 0
		.amdhsa_exception_fp_ieee_underflow 0
		.amdhsa_exception_fp_ieee_inexact 0
		.amdhsa_exception_int_div_zero 0
	.end_amdhsa_kernel
	.section	.text._Z17sort_pairs_kernelI22helper_blocked_stripedN15benchmark_utils11custom_typeIiiEELj256ELj4ELj10EEvPKT0_PS4_,"axG",@progbits,_Z17sort_pairs_kernelI22helper_blocked_stripedN15benchmark_utils11custom_typeIiiEELj256ELj4ELj10EEvPKT0_PS4_,comdat
.Lfunc_end365:
	.size	_Z17sort_pairs_kernelI22helper_blocked_stripedN15benchmark_utils11custom_typeIiiEELj256ELj4ELj10EEvPKT0_PS4_, .Lfunc_end365-_Z17sort_pairs_kernelI22helper_blocked_stripedN15benchmark_utils11custom_typeIiiEELj256ELj4ELj10EEvPKT0_PS4_
                                        ; -- End function
	.set _Z17sort_pairs_kernelI22helper_blocked_stripedN15benchmark_utils11custom_typeIiiEELj256ELj4ELj10EEvPKT0_PS4_.num_vgpr, 54
	.set _Z17sort_pairs_kernelI22helper_blocked_stripedN15benchmark_utils11custom_typeIiiEELj256ELj4ELj10EEvPKT0_PS4_.num_agpr, 0
	.set _Z17sort_pairs_kernelI22helper_blocked_stripedN15benchmark_utils11custom_typeIiiEELj256ELj4ELj10EEvPKT0_PS4_.numbered_sgpr, 51
	.set _Z17sort_pairs_kernelI22helper_blocked_stripedN15benchmark_utils11custom_typeIiiEELj256ELj4ELj10EEvPKT0_PS4_.num_named_barrier, 0
	.set _Z17sort_pairs_kernelI22helper_blocked_stripedN15benchmark_utils11custom_typeIiiEELj256ELj4ELj10EEvPKT0_PS4_.private_seg_size, 0
	.set _Z17sort_pairs_kernelI22helper_blocked_stripedN15benchmark_utils11custom_typeIiiEELj256ELj4ELj10EEvPKT0_PS4_.uses_vcc, 1
	.set _Z17sort_pairs_kernelI22helper_blocked_stripedN15benchmark_utils11custom_typeIiiEELj256ELj4ELj10EEvPKT0_PS4_.uses_flat_scratch, 0
	.set _Z17sort_pairs_kernelI22helper_blocked_stripedN15benchmark_utils11custom_typeIiiEELj256ELj4ELj10EEvPKT0_PS4_.has_dyn_sized_stack, 0
	.set _Z17sort_pairs_kernelI22helper_blocked_stripedN15benchmark_utils11custom_typeIiiEELj256ELj4ELj10EEvPKT0_PS4_.has_recursion, 0
	.set _Z17sort_pairs_kernelI22helper_blocked_stripedN15benchmark_utils11custom_typeIiiEELj256ELj4ELj10EEvPKT0_PS4_.has_indirect_call, 0
	.section	.AMDGPU.csdata,"",@progbits
; Kernel info:
; codeLenInByte = 4576
; TotalNumSgprs: 55
; NumVgprs: 54
; ScratchSize: 0
; MemoryBound: 0
; FloatMode: 240
; IeeeMode: 1
; LDSByteSize: 8192 bytes/workgroup (compile time only)
; SGPRBlocks: 8
; VGPRBlocks: 13
; NumSGPRsForWavesPerEU: 65
; NumVGPRsForWavesPerEU: 54
; Occupancy: 4
; WaveLimiterHint : 1
; COMPUTE_PGM_RSRC2:SCRATCH_EN: 0
; COMPUTE_PGM_RSRC2:USER_SGPR: 6
; COMPUTE_PGM_RSRC2:TRAP_HANDLER: 0
; COMPUTE_PGM_RSRC2:TGID_X_EN: 1
; COMPUTE_PGM_RSRC2:TGID_Y_EN: 0
; COMPUTE_PGM_RSRC2:TGID_Z_EN: 0
; COMPUTE_PGM_RSRC2:TIDIG_COMP_CNT: 2
	.section	.text._Z16sort_keys_kernelI22helper_blocked_stripedN15benchmark_utils11custom_typeIiiEELj256ELj8ELj10EEvPKT0_PS4_,"axG",@progbits,_Z16sort_keys_kernelI22helper_blocked_stripedN15benchmark_utils11custom_typeIiiEELj256ELj8ELj10EEvPKT0_PS4_,comdat
	.protected	_Z16sort_keys_kernelI22helper_blocked_stripedN15benchmark_utils11custom_typeIiiEELj256ELj8ELj10EEvPKT0_PS4_ ; -- Begin function _Z16sort_keys_kernelI22helper_blocked_stripedN15benchmark_utils11custom_typeIiiEELj256ELj8ELj10EEvPKT0_PS4_
	.globl	_Z16sort_keys_kernelI22helper_blocked_stripedN15benchmark_utils11custom_typeIiiEELj256ELj8ELj10EEvPKT0_PS4_
	.p2align	8
	.type	_Z16sort_keys_kernelI22helper_blocked_stripedN15benchmark_utils11custom_typeIiiEELj256ELj8ELj10EEvPKT0_PS4_,@function
_Z16sort_keys_kernelI22helper_blocked_stripedN15benchmark_utils11custom_typeIiiEELj256ELj8ELj10EEvPKT0_PS4_: ; @_Z16sort_keys_kernelI22helper_blocked_stripedN15benchmark_utils11custom_typeIiiEELj256ELj8ELj10EEvPKT0_PS4_
; %bb.0:
	s_load_dwordx4 s[36:39], s[4:5], 0x0
	s_load_dword s2, s[4:5], 0x1c
	s_lshl_b32 s34, s6, 11
	s_mov_b32 s35, 0
	s_lshl_b64 s[40:41], s[34:35], 3
	s_waitcnt lgkmcnt(0)
	s_add_u32 s0, s36, s40
	s_addc_u32 s1, s37, s41
	v_lshlrev_b32_e32 v19, 6, v0
	global_load_dwordx4 v[3:6], v19, s[0:1] offset:48
	global_load_dwordx4 v[7:10], v19, s[0:1] offset:32
	global_load_dwordx4 v[11:14], v19, s[0:1] offset:16
	global_load_dwordx4 v[15:18], v19, s[0:1]
	global_load_dwordx2 v[15:16], v19, s[0:1]
                                        ; kill: killed $sgpr0 killed $sgpr1
	s_lshr_b32 s0, s2, 16
	v_mbcnt_lo_u32_b32 v20, -1, 0
	s_and_b32 s1, s2, 0xffff
	v_mad_u32_u24 v1, v2, s0, v1
	v_mbcnt_hi_u32_b32 v20, -1, v20
	v_mad_u64_u32 v[1:2], s[0:1], v1, s1, v[0:1]
	v_and_b32_e32 v2, 15, v20
	v_and_b32_e32 v21, 0xc0, v0
	v_cmp_eq_u32_e64 s[0:1], 0, v2
	v_cmp_lt_u32_e64 s[2:3], 1, v2
	v_cmp_lt_u32_e64 s[4:5], 3, v2
	;; [unrolled: 1-line block ×3, first 2 shown]
	v_and_b32_e32 v2, 16, v20
	v_and_b32_e32 v19, 0x3000, v19
	v_cmp_eq_u32_e64 s[8:9], 0, v2
	v_or_b32_e32 v2, 63, v21
	v_lshl_or_b32 v40, v20, 3, v19
	v_cmp_eq_u32_e64 s[12:13], v0, v2
	v_subrev_co_u32_e64 v2, s[18:19], 1, v20
	v_and_b32_e32 v19, 64, v20
	v_cmp_lt_i32_e32 vcc, v2, v19
	v_cndmask_b32_e32 v2, v2, v20, vcc
	v_lshlrev_b32_e32 v41, 4, v0
	v_lshlrev_b32_e32 v42, 2, v2
	v_lshrrev_b32_e32 v2, 4, v0
	v_lshrrev_b32_e32 v1, 4, v1
	s_mov_b32 s34, s35
	s_mov_b32 s26, s35
	v_add_lshl_u32 v39, v20, v21, 6
	v_cmp_lt_u32_e64 s[10:11], 31, v20
	v_and_b32_e32 v43, 12, v2
	v_mad_i32_i24 v44, v0, -12, v41
	v_and_b32_e32 v2, 3, v20
	v_and_b32_e32 v46, 0xffffffc, v1
	v_lshlrev_b32_e32 v1, 2, v0
	s_mov_b32 s27, s35
	v_mov_b32_e32 v19, s34
	v_mov_b32_e32 v21, s26
	v_cmp_gt_u32_e64 s[14:15], 4, v0
	v_cmp_lt_u32_e64 s[16:17], 63, v0
	v_cmp_eq_u32_e64 s[20:21], 0, v0
	v_cmp_eq_u32_e64 s[22:23], 0, v2
	v_cmp_lt_u32_e64 s[24:25], 1, v2
	v_add_u32_e32 v45, -4, v43
	v_mov_b32_e32 v20, s35
	v_mov_b32_e32 v22, s27
	;; [unrolled: 1-line block ×3, first 2 shown]
	v_add_u32_e32 v47, v44, v1
	s_branch .LBB366_2
.LBB366_1:                              ;   in Loop: Header=BB366_2 Depth=1
	s_barrier
	ds_write_b64 v48, v[37:38]
	ds_write_b64 v51, v[35:36]
	;; [unrolled: 1-line block ×8, first 2 shown]
	s_waitcnt lgkmcnt(0)
	s_barrier
	ds_read2st64_b64 v[1:4], v47 offset1:4
	ds_read2st64_b64 v[5:8], v47 offset0:8 offset1:12
	ds_read2st64_b64 v[24:27], v47 offset0:16 offset1:20
	;; [unrolled: 1-line block ×3, first 2 shown]
	s_add_i32 s35, s35, 1
	s_waitcnt lgkmcnt(3)
	v_xor_b32_e32 v15, 0x80000000, v1
	v_xor_b32_e32 v16, 0x80000000, v2
	v_xor_b32_e32 v17, 0x80000000, v3
	v_xor_b32_e32 v18, 0x80000000, v4
	s_waitcnt lgkmcnt(2)
	v_xor_b32_e32 v11, 0x80000000, v5
	v_xor_b32_e32 v12, 0x80000000, v6
	v_xor_b32_e32 v13, 0x80000000, v7
	v_xor_b32_e32 v14, 0x80000000, v8
	;; [unrolled: 5-line block ×3, first 2 shown]
	s_waitcnt lgkmcnt(0)
	v_xor_b32_e32 v3, 0x80000000, v28
	v_xor_b32_e32 v4, 0x80000000, v29
	;; [unrolled: 1-line block ×3, first 2 shown]
	s_cmp_eq_u32 s35, 10
	v_xor_b32_e32 v6, 0x80000000, v31
	s_cbranch_scc1 .LBB366_28
.LBB366_2:                              ; =>This Loop Header: Depth=1
                                        ;     Child Loop BB366_4 Depth 2
	s_waitcnt vmcnt(0)
	v_xor_b32_e32 v2, 0x80000000, v16
	v_xor_b32_e32 v1, 0x80000000, v15
	;; [unrolled: 1-line block ×16, first 2 shown]
	ds_write2_b64 v39, v[1:2], v[15:16] offset1:1
	ds_write2_b64 v39, v[11:12], v[13:14] offset0:2 offset1:3
	ds_write2_b64 v39, v[7:8], v[9:10] offset0:4 offset1:5
	ds_write2_b64 v39, v[3:4], v[5:6] offset0:6 offset1:7
	; wave barrier
	ds_read2st64_b64 v[1:4], v40 offset1:1
	ds_read2st64_b64 v[5:8], v40 offset0:2 offset1:3
	ds_read2st64_b64 v[9:12], v40 offset0:4 offset1:5
	;; [unrolled: 1-line block ×3, first 2 shown]
	s_mov_b32 s33, 8
	s_mov_b32 s34, 32
	;; [unrolled: 1-line block ×3, first 2 shown]
	s_waitcnt lgkmcnt(0)
	s_barrier
	; wave barrier
	s_barrier
	s_branch .LBB366_4
.LBB366_3:                              ;   in Loop: Header=BB366_4 Depth=2
	s_andn2_b64 vcc, exec, s[26:27]
	s_cbranch_vccz .LBB366_1
.LBB366_4:                              ;   Parent Loop BB366_2 Depth=1
                                        ; =>  This Inner Loop Header: Depth=2
	s_min_i32 s28, s33, 32
	s_cmp_lt_u32 s36, 32
	s_cselect_b64 s[26:27], -1, 0
	s_cmp_gt_u32 s36, 31
	s_cselect_b64 vcc, -1, 0
	s_sub_i32 s28, s28, 32
	s_add_i32 s29, s28, s34
	s_lshl_b32 s29, -1, s29
	s_not_b32 s29, s29
	s_cmp_lg_u32 s28, s36
	s_cselect_b32 s42, s29, -1
	s_max_i32 s37, s34, 0
	s_max_i32 s28, s36, 32
	s_sub_i32 s43, s28, 32
	s_sub_i32 s28, s28, s37
	;; [unrolled: 1-line block ×3, first 2 shown]
	s_min_i32 s28, s28, 32
	s_sub_i32 s28, s28, s43
	s_lshl_b32 s29, -1, s28
	v_mov_b32_e32 v38, v2
	s_not_b32 s29, s29
	v_mov_b32_e32 v37, v1
	s_cmp_lg_u32 s28, 32
	s_cselect_b32 s44, s29, -1
	v_lshrrev_b32_e32 v2, s43, v37
	v_lshrrev_b32_e32 v1, s36, v38
	v_and_b32_e32 v2, s44, v2
	v_and_b32_e32 v1, s42, v1
	v_lshlrev_b32_e32 v2, s37, v2
	v_cndmask_b32_e64 v1, 0, v1, s[26:27]
	v_cndmask_b32_e32 v2, 0, v2, vcc
	v_or_b32_e32 v1, v1, v2
	v_mov_b32_e32 v36, v4
	v_and_b32_e32 v2, 1, v1
	v_mov_b32_e32 v35, v3
	v_mov_b32_e32 v34, v6
	v_add_co_u32_e64 v4, s[28:29], -1, v2
	v_mov_b32_e32 v33, v5
	v_addc_co_u32_e64 v5, s[28:29], 0, -1, s[28:29]
	v_cmp_ne_u32_e64 s[28:29], 0, v2
	v_lshlrev_b32_e32 v24, 30, v1
	v_xor_b32_e32 v2, s29, v5
	v_xor_b32_e32 v4, s28, v4
	v_cmp_gt_i64_e64 s[28:29], 0, v[23:24]
	v_not_b32_e32 v5, v24
	v_ashrrev_i32_e32 v5, 31, v5
	v_and_b32_e32 v4, exec_lo, v4
	v_xor_b32_e32 v6, s29, v5
	v_xor_b32_e32 v5, s28, v5
	v_lshlrev_b32_e32 v24, 29, v1
	v_and_b32_e32 v4, v4, v5
	v_cmp_gt_i64_e64 s[28:29], 0, v[23:24]
	v_not_b32_e32 v5, v24
	v_and_b32_e32 v2, exec_hi, v2
	v_ashrrev_i32_e32 v5, 31, v5
	v_and_b32_e32 v2, v2, v6
	v_xor_b32_e32 v6, s29, v5
	v_xor_b32_e32 v5, s28, v5
	v_lshlrev_b32_e32 v24, 28, v1
	v_and_b32_e32 v4, v4, v5
	v_cmp_gt_i64_e64 s[28:29], 0, v[23:24]
	v_not_b32_e32 v5, v24
	v_ashrrev_i32_e32 v5, 31, v5
	v_and_b32_e32 v2, v2, v6
	v_xor_b32_e32 v6, s29, v5
	v_xor_b32_e32 v5, s28, v5
	v_lshlrev_b32_e32 v24, 27, v1
	v_and_b32_e32 v4, v4, v5
	v_cmp_gt_i64_e64 s[28:29], 0, v[23:24]
	v_not_b32_e32 v5, v24
	;; [unrolled: 8-line block ×4, first 2 shown]
	v_ashrrev_i32_e32 v5, 31, v5
	v_lshlrev_b32_e32 v24, 24, v1
	v_lshlrev_b32_e32 v3, 4, v1
	v_and_b32_e32 v2, v2, v6
	v_xor_b32_e32 v6, s29, v5
	v_xor_b32_e32 v5, s28, v5
	v_cmp_gt_i64_e64 s[28:29], 0, v[23:24]
	v_not_b32_e32 v1, v24
	v_ashrrev_i32_e32 v1, 31, v1
	v_and_b32_e32 v4, v4, v5
	v_xor_b32_e32 v5, s29, v1
	v_xor_b32_e32 v1, s28, v1
	v_and_b32_e32 v2, v2, v6
	v_and_b32_e32 v1, v4, v1
	;; [unrolled: 1-line block ×3, first 2 shown]
	v_mbcnt_lo_u32_b32 v4, v1, 0
	v_mbcnt_hi_u32_b32 v5, v2, v4
	v_cmp_ne_u64_e64 s[28:29], 0, v[1:2]
	v_mov_b32_e32 v32, v8
	v_mov_b32_e32 v30, v10
	;; [unrolled: 1-line block ×5, first 2 shown]
	v_cmp_eq_u32_e64 s[30:31], 0, v5
	v_mov_b32_e32 v31, v7
	v_mov_b32_e32 v29, v9
	;; [unrolled: 1-line block ×5, first 2 shown]
	s_and_b64 s[30:31], s[30:31], s[28:29]
	v_add_u32_e32 v6, v46, v3
	ds_write2_b64 v41, v[19:20], v[21:22] offset0:2 offset1:3
	s_waitcnt lgkmcnt(0)
	s_barrier
	; wave barrier
	s_and_saveexec_b64 s[28:29], s[30:31]
; %bb.5:                                ;   in Loop: Header=BB366_4 Depth=2
	v_bcnt_u32_b32 v1, v1, 0
	v_bcnt_u32_b32 v1, v2, v1
	ds_write_b32 v6, v1 offset:16
; %bb.6:                                ;   in Loop: Header=BB366_4 Depth=2
	s_or_b64 exec, exec, s[28:29]
	v_lshrrev_b32_e32 v2, s43, v35
	v_lshrrev_b32_e32 v1, s36, v36
	v_and_b32_e32 v2, s44, v2
	v_and_b32_e32 v1, s42, v1
	v_lshlrev_b32_e32 v2, s37, v2
	v_cndmask_b32_e64 v1, 0, v1, s[26:27]
	v_cndmask_b32_e32 v2, 0, v2, vcc
	v_or_b32_e32 v1, v1, v2
	v_lshlrev_b32_e32 v2, 4, v1
	v_add_u32_e32 v8, v46, v2
	v_and_b32_e32 v2, 1, v1
	v_add_co_u32_e64 v3, s[28:29], -1, v2
	v_addc_co_u32_e64 v4, s[28:29], 0, -1, s[28:29]
	v_cmp_ne_u32_e64 s[28:29], 0, v2
	v_lshlrev_b32_e32 v24, 30, v1
	v_xor_b32_e32 v2, s29, v4
	v_xor_b32_e32 v3, s28, v3
	v_cmp_gt_i64_e64 s[28:29], 0, v[23:24]
	v_not_b32_e32 v4, v24
	v_ashrrev_i32_e32 v4, 31, v4
	v_and_b32_e32 v3, exec_lo, v3
	v_xor_b32_e32 v9, s29, v4
	v_xor_b32_e32 v4, s28, v4
	v_lshlrev_b32_e32 v24, 29, v1
	v_and_b32_e32 v3, v3, v4
	v_cmp_gt_i64_e64 s[28:29], 0, v[23:24]
	v_not_b32_e32 v4, v24
	v_and_b32_e32 v2, exec_hi, v2
	v_ashrrev_i32_e32 v4, 31, v4
	v_and_b32_e32 v2, v2, v9
	v_xor_b32_e32 v9, s29, v4
	v_xor_b32_e32 v4, s28, v4
	v_lshlrev_b32_e32 v24, 28, v1
	v_and_b32_e32 v3, v3, v4
	v_cmp_gt_i64_e64 s[28:29], 0, v[23:24]
	v_not_b32_e32 v4, v24
	v_ashrrev_i32_e32 v4, 31, v4
	v_and_b32_e32 v2, v2, v9
	v_xor_b32_e32 v9, s29, v4
	v_xor_b32_e32 v4, s28, v4
	v_lshlrev_b32_e32 v24, 27, v1
	v_and_b32_e32 v3, v3, v4
	v_cmp_gt_i64_e64 s[28:29], 0, v[23:24]
	v_not_b32_e32 v4, v24
	v_ashrrev_i32_e32 v4, 31, v4
	v_and_b32_e32 v2, v2, v9
	v_xor_b32_e32 v9, s29, v4
	v_xor_b32_e32 v4, s28, v4
	v_lshlrev_b32_e32 v24, 26, v1
	v_and_b32_e32 v3, v3, v4
	v_cmp_gt_i64_e64 s[28:29], 0, v[23:24]
	v_not_b32_e32 v4, v24
	v_ashrrev_i32_e32 v4, 31, v4
	v_and_b32_e32 v2, v2, v9
	v_xor_b32_e32 v9, s29, v4
	v_xor_b32_e32 v4, s28, v4
	v_lshlrev_b32_e32 v24, 25, v1
	v_and_b32_e32 v3, v3, v4
	v_cmp_gt_i64_e64 s[28:29], 0, v[23:24]
	v_not_b32_e32 v4, v24
	v_ashrrev_i32_e32 v4, 31, v4
	v_lshlrev_b32_e32 v24, 24, v1
	v_and_b32_e32 v2, v2, v9
	v_xor_b32_e32 v9, s29, v4
	v_xor_b32_e32 v4, s28, v4
	v_cmp_gt_i64_e64 s[28:29], 0, v[23:24]
	v_not_b32_e32 v1, v24
	v_ashrrev_i32_e32 v1, 31, v1
	v_and_b32_e32 v3, v3, v4
	v_xor_b32_e32 v4, s29, v1
	v_xor_b32_e32 v1, s28, v1
	; wave barrier
	ds_read_b32 v7, v8 offset:16
	v_and_b32_e32 v2, v2, v9
	v_and_b32_e32 v1, v3, v1
	;; [unrolled: 1-line block ×3, first 2 shown]
	v_mbcnt_lo_u32_b32 v3, v1, 0
	v_mbcnt_hi_u32_b32 v9, v2, v3
	v_cmp_ne_u64_e64 s[28:29], 0, v[1:2]
	v_cmp_eq_u32_e64 s[30:31], 0, v9
	s_and_b64 s[30:31], s[30:31], s[28:29]
	; wave barrier
	s_and_saveexec_b64 s[28:29], s[30:31]
	s_cbranch_execz .LBB366_8
; %bb.7:                                ;   in Loop: Header=BB366_4 Depth=2
	v_bcnt_u32_b32 v1, v1, 0
	v_bcnt_u32_b32 v1, v2, v1
	s_waitcnt lgkmcnt(0)
	v_add_u32_e32 v1, v7, v1
	ds_write_b32 v8, v1 offset:16
.LBB366_8:                              ;   in Loop: Header=BB366_4 Depth=2
	s_or_b64 exec, exec, s[28:29]
	v_lshrrev_b32_e32 v2, s43, v33
	v_lshrrev_b32_e32 v1, s36, v34
	v_and_b32_e32 v2, s44, v2
	v_and_b32_e32 v1, s42, v1
	v_lshlrev_b32_e32 v2, s37, v2
	v_cndmask_b32_e64 v1, 0, v1, s[26:27]
	v_cndmask_b32_e32 v2, 0, v2, vcc
	v_or_b32_e32 v1, v1, v2
	v_lshlrev_b32_e32 v2, 4, v1
	v_add_u32_e32 v11, v46, v2
	v_and_b32_e32 v2, 1, v1
	v_add_co_u32_e64 v3, s[28:29], -1, v2
	v_addc_co_u32_e64 v4, s[28:29], 0, -1, s[28:29]
	v_cmp_ne_u32_e64 s[28:29], 0, v2
	v_lshlrev_b32_e32 v24, 30, v1
	v_xor_b32_e32 v2, s29, v4
	v_xor_b32_e32 v3, s28, v3
	v_cmp_gt_i64_e64 s[28:29], 0, v[23:24]
	v_not_b32_e32 v4, v24
	v_ashrrev_i32_e32 v4, 31, v4
	v_and_b32_e32 v3, exec_lo, v3
	v_xor_b32_e32 v12, s29, v4
	v_xor_b32_e32 v4, s28, v4
	v_lshlrev_b32_e32 v24, 29, v1
	v_and_b32_e32 v3, v3, v4
	v_cmp_gt_i64_e64 s[28:29], 0, v[23:24]
	v_not_b32_e32 v4, v24
	v_and_b32_e32 v2, exec_hi, v2
	v_ashrrev_i32_e32 v4, 31, v4
	v_and_b32_e32 v2, v2, v12
	v_xor_b32_e32 v12, s29, v4
	v_xor_b32_e32 v4, s28, v4
	v_lshlrev_b32_e32 v24, 28, v1
	v_and_b32_e32 v3, v3, v4
	v_cmp_gt_i64_e64 s[28:29], 0, v[23:24]
	v_not_b32_e32 v4, v24
	v_ashrrev_i32_e32 v4, 31, v4
	v_and_b32_e32 v2, v2, v12
	v_xor_b32_e32 v12, s29, v4
	v_xor_b32_e32 v4, s28, v4
	v_lshlrev_b32_e32 v24, 27, v1
	v_and_b32_e32 v3, v3, v4
	v_cmp_gt_i64_e64 s[28:29], 0, v[23:24]
	v_not_b32_e32 v4, v24
	;; [unrolled: 8-line block ×4, first 2 shown]
	v_ashrrev_i32_e32 v4, 31, v4
	v_lshlrev_b32_e32 v24, 24, v1
	v_and_b32_e32 v2, v2, v12
	v_xor_b32_e32 v12, s29, v4
	v_xor_b32_e32 v4, s28, v4
	v_cmp_gt_i64_e64 s[28:29], 0, v[23:24]
	v_not_b32_e32 v1, v24
	v_ashrrev_i32_e32 v1, 31, v1
	v_and_b32_e32 v3, v3, v4
	v_xor_b32_e32 v4, s29, v1
	v_xor_b32_e32 v1, s28, v1
	; wave barrier
	ds_read_b32 v10, v11 offset:16
	v_and_b32_e32 v2, v2, v12
	v_and_b32_e32 v1, v3, v1
	;; [unrolled: 1-line block ×3, first 2 shown]
	v_mbcnt_lo_u32_b32 v3, v1, 0
	v_mbcnt_hi_u32_b32 v12, v2, v3
	v_cmp_ne_u64_e64 s[28:29], 0, v[1:2]
	v_cmp_eq_u32_e64 s[30:31], 0, v12
	s_and_b64 s[30:31], s[30:31], s[28:29]
	; wave barrier
	s_and_saveexec_b64 s[28:29], s[30:31]
	s_cbranch_execz .LBB366_10
; %bb.9:                                ;   in Loop: Header=BB366_4 Depth=2
	v_bcnt_u32_b32 v1, v1, 0
	v_bcnt_u32_b32 v1, v2, v1
	s_waitcnt lgkmcnt(0)
	v_add_u32_e32 v1, v10, v1
	ds_write_b32 v11, v1 offset:16
.LBB366_10:                             ;   in Loop: Header=BB366_4 Depth=2
	s_or_b64 exec, exec, s[28:29]
	v_lshrrev_b32_e32 v2, s43, v31
	v_lshrrev_b32_e32 v1, s36, v32
	v_and_b32_e32 v2, s44, v2
	v_and_b32_e32 v1, s42, v1
	v_lshlrev_b32_e32 v2, s37, v2
	v_cndmask_b32_e64 v1, 0, v1, s[26:27]
	v_cndmask_b32_e32 v2, 0, v2, vcc
	v_or_b32_e32 v1, v1, v2
	v_lshlrev_b32_e32 v2, 4, v1
	v_add_u32_e32 v14, v46, v2
	v_and_b32_e32 v2, 1, v1
	v_add_co_u32_e64 v3, s[28:29], -1, v2
	v_addc_co_u32_e64 v4, s[28:29], 0, -1, s[28:29]
	v_cmp_ne_u32_e64 s[28:29], 0, v2
	v_lshlrev_b32_e32 v24, 30, v1
	v_xor_b32_e32 v2, s29, v4
	v_xor_b32_e32 v3, s28, v3
	v_cmp_gt_i64_e64 s[28:29], 0, v[23:24]
	v_not_b32_e32 v4, v24
	v_ashrrev_i32_e32 v4, 31, v4
	v_and_b32_e32 v3, exec_lo, v3
	v_xor_b32_e32 v15, s29, v4
	v_xor_b32_e32 v4, s28, v4
	v_lshlrev_b32_e32 v24, 29, v1
	v_and_b32_e32 v3, v3, v4
	v_cmp_gt_i64_e64 s[28:29], 0, v[23:24]
	v_not_b32_e32 v4, v24
	v_and_b32_e32 v2, exec_hi, v2
	v_ashrrev_i32_e32 v4, 31, v4
	v_and_b32_e32 v2, v2, v15
	v_xor_b32_e32 v15, s29, v4
	v_xor_b32_e32 v4, s28, v4
	v_lshlrev_b32_e32 v24, 28, v1
	v_and_b32_e32 v3, v3, v4
	v_cmp_gt_i64_e64 s[28:29], 0, v[23:24]
	v_not_b32_e32 v4, v24
	v_ashrrev_i32_e32 v4, 31, v4
	v_and_b32_e32 v2, v2, v15
	v_xor_b32_e32 v15, s29, v4
	v_xor_b32_e32 v4, s28, v4
	v_lshlrev_b32_e32 v24, 27, v1
	v_and_b32_e32 v3, v3, v4
	v_cmp_gt_i64_e64 s[28:29], 0, v[23:24]
	v_not_b32_e32 v4, v24
	;; [unrolled: 8-line block ×4, first 2 shown]
	v_ashrrev_i32_e32 v4, 31, v4
	v_lshlrev_b32_e32 v24, 24, v1
	v_and_b32_e32 v2, v2, v15
	v_xor_b32_e32 v15, s29, v4
	v_xor_b32_e32 v4, s28, v4
	v_cmp_gt_i64_e64 s[28:29], 0, v[23:24]
	v_not_b32_e32 v1, v24
	v_ashrrev_i32_e32 v1, 31, v1
	v_and_b32_e32 v3, v3, v4
	v_xor_b32_e32 v4, s29, v1
	v_xor_b32_e32 v1, s28, v1
	; wave barrier
	ds_read_b32 v13, v14 offset:16
	v_and_b32_e32 v2, v2, v15
	v_and_b32_e32 v1, v3, v1
	;; [unrolled: 1-line block ×3, first 2 shown]
	v_mbcnt_lo_u32_b32 v3, v1, 0
	v_mbcnt_hi_u32_b32 v15, v2, v3
	v_cmp_ne_u64_e64 s[28:29], 0, v[1:2]
	v_cmp_eq_u32_e64 s[30:31], 0, v15
	s_and_b64 s[30:31], s[30:31], s[28:29]
	; wave barrier
	s_and_saveexec_b64 s[28:29], s[30:31]
	s_cbranch_execz .LBB366_12
; %bb.11:                               ;   in Loop: Header=BB366_4 Depth=2
	v_bcnt_u32_b32 v1, v1, 0
	v_bcnt_u32_b32 v1, v2, v1
	s_waitcnt lgkmcnt(0)
	v_add_u32_e32 v1, v13, v1
	ds_write_b32 v14, v1 offset:16
.LBB366_12:                             ;   in Loop: Header=BB366_4 Depth=2
	s_or_b64 exec, exec, s[28:29]
	v_lshrrev_b32_e32 v2, s43, v29
	v_lshrrev_b32_e32 v1, s36, v30
	v_and_b32_e32 v2, s44, v2
	v_and_b32_e32 v1, s42, v1
	v_lshlrev_b32_e32 v2, s37, v2
	v_cndmask_b32_e64 v1, 0, v1, s[26:27]
	v_cndmask_b32_e32 v2, 0, v2, vcc
	v_or_b32_e32 v1, v1, v2
	v_lshlrev_b32_e32 v2, 4, v1
	v_add_u32_e32 v48, v46, v2
	v_and_b32_e32 v2, 1, v1
	v_add_co_u32_e64 v3, s[28:29], -1, v2
	v_addc_co_u32_e64 v4, s[28:29], 0, -1, s[28:29]
	v_cmp_ne_u32_e64 s[28:29], 0, v2
	v_lshlrev_b32_e32 v24, 30, v1
	v_xor_b32_e32 v2, s29, v4
	v_xor_b32_e32 v3, s28, v3
	v_cmp_gt_i64_e64 s[28:29], 0, v[23:24]
	v_not_b32_e32 v4, v24
	v_ashrrev_i32_e32 v4, 31, v4
	v_and_b32_e32 v2, exec_hi, v2
	v_xor_b32_e32 v24, s29, v4
	v_and_b32_e32 v3, exec_lo, v3
	v_xor_b32_e32 v4, s28, v4
	v_and_b32_e32 v2, v2, v24
	v_lshlrev_b32_e32 v24, 29, v1
	v_and_b32_e32 v3, v3, v4
	v_cmp_gt_i64_e64 s[28:29], 0, v[23:24]
	v_not_b32_e32 v4, v24
	v_ashrrev_i32_e32 v4, 31, v4
	v_xor_b32_e32 v24, s29, v4
	v_xor_b32_e32 v4, s28, v4
	v_and_b32_e32 v2, v2, v24
	v_lshlrev_b32_e32 v24, 28, v1
	v_and_b32_e32 v3, v3, v4
	v_cmp_gt_i64_e64 s[28:29], 0, v[23:24]
	v_not_b32_e32 v4, v24
	v_ashrrev_i32_e32 v4, 31, v4
	v_xor_b32_e32 v24, s29, v4
	;; [unrolled: 8-line block ×5, first 2 shown]
	v_and_b32_e32 v2, v2, v24
	v_lshlrev_b32_e32 v24, 24, v1
	v_xor_b32_e32 v4, s28, v4
	v_cmp_gt_i64_e64 s[28:29], 0, v[23:24]
	v_not_b32_e32 v1, v24
	v_ashrrev_i32_e32 v1, 31, v1
	v_and_b32_e32 v3, v3, v4
	v_xor_b32_e32 v4, s29, v1
	v_xor_b32_e32 v1, s28, v1
	; wave barrier
	ds_read_b32 v16, v48 offset:16
	v_and_b32_e32 v1, v3, v1
	v_and_b32_e32 v2, v2, v4
	v_mbcnt_lo_u32_b32 v3, v1, 0
	v_mbcnt_hi_u32_b32 v49, v2, v3
	v_cmp_ne_u64_e64 s[28:29], 0, v[1:2]
	v_cmp_eq_u32_e64 s[30:31], 0, v49
	s_and_b64 s[30:31], s[30:31], s[28:29]
	; wave barrier
	s_and_saveexec_b64 s[28:29], s[30:31]
	s_cbranch_execz .LBB366_14
; %bb.13:                               ;   in Loop: Header=BB366_4 Depth=2
	v_bcnt_u32_b32 v1, v1, 0
	v_bcnt_u32_b32 v1, v2, v1
	s_waitcnt lgkmcnt(0)
	v_add_u32_e32 v1, v16, v1
	ds_write_b32 v48, v1 offset:16
.LBB366_14:                             ;   in Loop: Header=BB366_4 Depth=2
	s_or_b64 exec, exec, s[28:29]
	v_lshrrev_b32_e32 v2, s43, v27
	v_lshrrev_b32_e32 v1, s36, v28
	v_and_b32_e32 v2, s44, v2
	v_and_b32_e32 v1, s42, v1
	v_lshlrev_b32_e32 v2, s37, v2
	v_cndmask_b32_e64 v1, 0, v1, s[26:27]
	v_cndmask_b32_e32 v2, 0, v2, vcc
	v_or_b32_e32 v1, v1, v2
	v_lshlrev_b32_e32 v2, 4, v1
	v_add_u32_e32 v51, v46, v2
	v_and_b32_e32 v2, 1, v1
	v_add_co_u32_e64 v3, s[28:29], -1, v2
	v_addc_co_u32_e64 v4, s[28:29], 0, -1, s[28:29]
	v_cmp_ne_u32_e64 s[28:29], 0, v2
	v_lshlrev_b32_e32 v24, 30, v1
	v_xor_b32_e32 v2, s29, v4
	v_xor_b32_e32 v3, s28, v3
	v_cmp_gt_i64_e64 s[28:29], 0, v[23:24]
	v_not_b32_e32 v4, v24
	v_ashrrev_i32_e32 v4, 31, v4
	v_and_b32_e32 v2, exec_hi, v2
	v_xor_b32_e32 v24, s29, v4
	v_and_b32_e32 v3, exec_lo, v3
	v_xor_b32_e32 v4, s28, v4
	v_and_b32_e32 v2, v2, v24
	v_lshlrev_b32_e32 v24, 29, v1
	v_and_b32_e32 v3, v3, v4
	v_cmp_gt_i64_e64 s[28:29], 0, v[23:24]
	v_not_b32_e32 v4, v24
	v_ashrrev_i32_e32 v4, 31, v4
	v_xor_b32_e32 v24, s29, v4
	v_xor_b32_e32 v4, s28, v4
	v_and_b32_e32 v2, v2, v24
	v_lshlrev_b32_e32 v24, 28, v1
	v_and_b32_e32 v3, v3, v4
	v_cmp_gt_i64_e64 s[28:29], 0, v[23:24]
	v_not_b32_e32 v4, v24
	v_ashrrev_i32_e32 v4, 31, v4
	v_xor_b32_e32 v24, s29, v4
	;; [unrolled: 8-line block ×5, first 2 shown]
	v_and_b32_e32 v2, v2, v24
	v_lshlrev_b32_e32 v24, 24, v1
	v_xor_b32_e32 v4, s28, v4
	v_cmp_gt_i64_e64 s[28:29], 0, v[23:24]
	v_not_b32_e32 v1, v24
	v_ashrrev_i32_e32 v1, 31, v1
	v_and_b32_e32 v3, v3, v4
	v_xor_b32_e32 v4, s29, v1
	v_xor_b32_e32 v1, s28, v1
	; wave barrier
	ds_read_b32 v50, v51 offset:16
	v_and_b32_e32 v1, v3, v1
	v_and_b32_e32 v2, v2, v4
	v_mbcnt_lo_u32_b32 v3, v1, 0
	v_mbcnt_hi_u32_b32 v52, v2, v3
	v_cmp_ne_u64_e64 s[28:29], 0, v[1:2]
	v_cmp_eq_u32_e64 s[30:31], 0, v52
	s_and_b64 s[30:31], s[30:31], s[28:29]
	; wave barrier
	s_and_saveexec_b64 s[28:29], s[30:31]
	s_cbranch_execz .LBB366_16
; %bb.15:                               ;   in Loop: Header=BB366_4 Depth=2
	v_bcnt_u32_b32 v1, v1, 0
	v_bcnt_u32_b32 v1, v2, v1
	s_waitcnt lgkmcnt(0)
	v_add_u32_e32 v1, v50, v1
	ds_write_b32 v51, v1 offset:16
.LBB366_16:                             ;   in Loop: Header=BB366_4 Depth=2
	s_or_b64 exec, exec, s[28:29]
	v_lshrrev_b32_e32 v2, s43, v25
	v_lshrrev_b32_e32 v1, s36, v26
	v_and_b32_e32 v2, s44, v2
	v_and_b32_e32 v1, s42, v1
	v_lshlrev_b32_e32 v2, s37, v2
	v_cndmask_b32_e64 v1, 0, v1, s[26:27]
	v_cndmask_b32_e32 v2, 0, v2, vcc
	v_or_b32_e32 v1, v1, v2
	v_lshlrev_b32_e32 v2, 4, v1
	v_add_u32_e32 v54, v46, v2
	v_and_b32_e32 v2, 1, v1
	v_add_co_u32_e64 v3, s[28:29], -1, v2
	v_addc_co_u32_e64 v4, s[28:29], 0, -1, s[28:29]
	v_cmp_ne_u32_e64 s[28:29], 0, v2
	v_lshlrev_b32_e32 v24, 30, v1
	v_xor_b32_e32 v2, s29, v4
	v_xor_b32_e32 v3, s28, v3
	v_cmp_gt_i64_e64 s[28:29], 0, v[23:24]
	v_not_b32_e32 v4, v24
	v_ashrrev_i32_e32 v4, 31, v4
	v_and_b32_e32 v2, exec_hi, v2
	v_xor_b32_e32 v24, s29, v4
	v_and_b32_e32 v3, exec_lo, v3
	v_xor_b32_e32 v4, s28, v4
	v_and_b32_e32 v2, v2, v24
	v_lshlrev_b32_e32 v24, 29, v1
	v_and_b32_e32 v3, v3, v4
	v_cmp_gt_i64_e64 s[28:29], 0, v[23:24]
	v_not_b32_e32 v4, v24
	v_ashrrev_i32_e32 v4, 31, v4
	v_xor_b32_e32 v24, s29, v4
	v_xor_b32_e32 v4, s28, v4
	v_and_b32_e32 v2, v2, v24
	v_lshlrev_b32_e32 v24, 28, v1
	v_and_b32_e32 v3, v3, v4
	v_cmp_gt_i64_e64 s[28:29], 0, v[23:24]
	v_not_b32_e32 v4, v24
	v_ashrrev_i32_e32 v4, 31, v4
	v_xor_b32_e32 v24, s29, v4
	v_xor_b32_e32 v4, s28, v4
	v_and_b32_e32 v2, v2, v24
	v_lshlrev_b32_e32 v24, 27, v1
	v_and_b32_e32 v3, v3, v4
	v_cmp_gt_i64_e64 s[28:29], 0, v[23:24]
	v_not_b32_e32 v4, v24
	v_ashrrev_i32_e32 v4, 31, v4
	v_xor_b32_e32 v24, s29, v4
	v_xor_b32_e32 v4, s28, v4
	v_and_b32_e32 v2, v2, v24
	v_lshlrev_b32_e32 v24, 26, v1
	v_and_b32_e32 v3, v3, v4
	v_cmp_gt_i64_e64 s[28:29], 0, v[23:24]
	v_not_b32_e32 v4, v24
	v_ashrrev_i32_e32 v4, 31, v4
	v_xor_b32_e32 v24, s29, v4
	v_xor_b32_e32 v4, s28, v4
	v_and_b32_e32 v2, v2, v24
	v_lshlrev_b32_e32 v24, 25, v1
	v_and_b32_e32 v3, v3, v4
	v_cmp_gt_i64_e64 s[28:29], 0, v[23:24]
	v_not_b32_e32 v4, v24
	v_ashrrev_i32_e32 v4, 31, v4
	v_xor_b32_e32 v24, s29, v4
	v_and_b32_e32 v2, v2, v24
	v_lshlrev_b32_e32 v24, 24, v1
	v_xor_b32_e32 v4, s28, v4
	v_cmp_gt_i64_e64 s[28:29], 0, v[23:24]
	v_not_b32_e32 v1, v24
	v_ashrrev_i32_e32 v1, 31, v1
	v_and_b32_e32 v3, v3, v4
	v_xor_b32_e32 v4, s29, v1
	v_xor_b32_e32 v1, s28, v1
	; wave barrier
	ds_read_b32 v53, v54 offset:16
	v_and_b32_e32 v1, v3, v1
	v_and_b32_e32 v2, v2, v4
	v_mbcnt_lo_u32_b32 v3, v1, 0
	v_mbcnt_hi_u32_b32 v55, v2, v3
	v_cmp_ne_u64_e64 s[28:29], 0, v[1:2]
	v_cmp_eq_u32_e64 s[30:31], 0, v55
	s_and_b64 s[30:31], s[30:31], s[28:29]
	; wave barrier
	s_and_saveexec_b64 s[28:29], s[30:31]
	s_cbranch_execz .LBB366_18
; %bb.17:                               ;   in Loop: Header=BB366_4 Depth=2
	v_bcnt_u32_b32 v1, v1, 0
	v_bcnt_u32_b32 v1, v2, v1
	s_waitcnt lgkmcnt(0)
	v_add_u32_e32 v1, v53, v1
	ds_write_b32 v54, v1 offset:16
.LBB366_18:                             ;   in Loop: Header=BB366_4 Depth=2
	s_or_b64 exec, exec, s[28:29]
	v_lshrrev_b32_e32 v2, s43, v17
	v_lshrrev_b32_e32 v1, s36, v18
	v_and_b32_e32 v2, s44, v2
	v_and_b32_e32 v1, s42, v1
	v_lshlrev_b32_e32 v2, s37, v2
	v_cndmask_b32_e64 v1, 0, v1, s[26:27]
	v_cndmask_b32_e32 v2, 0, v2, vcc
	v_or_b32_e32 v1, v1, v2
	v_lshlrev_b32_e32 v2, 4, v1
	v_add_u32_e32 v57, v46, v2
	v_and_b32_e32 v2, 1, v1
	v_add_co_u32_e32 v3, vcc, -1, v2
	v_addc_co_u32_e64 v4, s[26:27], 0, -1, vcc
	v_cmp_ne_u32_e32 vcc, 0, v2
	v_lshlrev_b32_e32 v24, 30, v1
	v_xor_b32_e32 v2, vcc_hi, v4
	v_xor_b32_e32 v3, vcc_lo, v3
	v_cmp_gt_i64_e32 vcc, 0, v[23:24]
	v_not_b32_e32 v4, v24
	v_ashrrev_i32_e32 v4, 31, v4
	v_and_b32_e32 v2, exec_hi, v2
	v_xor_b32_e32 v24, vcc_hi, v4
	v_and_b32_e32 v3, exec_lo, v3
	v_xor_b32_e32 v4, vcc_lo, v4
	v_and_b32_e32 v2, v2, v24
	v_lshlrev_b32_e32 v24, 29, v1
	v_and_b32_e32 v3, v3, v4
	v_cmp_gt_i64_e32 vcc, 0, v[23:24]
	v_not_b32_e32 v4, v24
	v_ashrrev_i32_e32 v4, 31, v4
	v_xor_b32_e32 v24, vcc_hi, v4
	v_xor_b32_e32 v4, vcc_lo, v4
	v_and_b32_e32 v2, v2, v24
	v_lshlrev_b32_e32 v24, 28, v1
	v_and_b32_e32 v3, v3, v4
	v_cmp_gt_i64_e32 vcc, 0, v[23:24]
	v_not_b32_e32 v4, v24
	v_ashrrev_i32_e32 v4, 31, v4
	v_xor_b32_e32 v24, vcc_hi, v4
	;; [unrolled: 8-line block ×5, first 2 shown]
	v_and_b32_e32 v2, v2, v24
	v_lshlrev_b32_e32 v24, 24, v1
	v_xor_b32_e32 v4, vcc_lo, v4
	v_cmp_gt_i64_e32 vcc, 0, v[23:24]
	v_not_b32_e32 v1, v24
	v_ashrrev_i32_e32 v1, 31, v1
	v_and_b32_e32 v3, v3, v4
	v_xor_b32_e32 v4, vcc_hi, v1
	v_xor_b32_e32 v1, vcc_lo, v1
	; wave barrier
	ds_read_b32 v56, v57 offset:16
	v_and_b32_e32 v1, v3, v1
	v_and_b32_e32 v2, v2, v4
	v_mbcnt_lo_u32_b32 v3, v1, 0
	v_mbcnt_hi_u32_b32 v24, v2, v3
	v_cmp_ne_u64_e32 vcc, 0, v[1:2]
	v_cmp_eq_u32_e64 s[26:27], 0, v24
	s_and_b64 s[28:29], s[26:27], vcc
	; wave barrier
	s_and_saveexec_b64 s[26:27], s[28:29]
	s_cbranch_execz .LBB366_20
; %bb.19:                               ;   in Loop: Header=BB366_4 Depth=2
	v_bcnt_u32_b32 v1, v1, 0
	v_bcnt_u32_b32 v1, v2, v1
	s_waitcnt lgkmcnt(0)
	v_add_u32_e32 v1, v56, v1
	ds_write_b32 v57, v1 offset:16
.LBB366_20:                             ;   in Loop: Header=BB366_4 Depth=2
	s_or_b64 exec, exec, s[26:27]
	; wave barrier
	s_waitcnt lgkmcnt(0)
	s_barrier
	ds_read2_b64 v[1:4], v41 offset0:2 offset1:3
	s_waitcnt lgkmcnt(0)
	v_add_u32_e32 v58, v2, v1
	v_add3_u32 v4, v58, v3, v4
	s_nop 1
	v_mov_b32_dpp v58, v4 row_shr:1 row_mask:0xf bank_mask:0xf
	v_cndmask_b32_e64 v58, v58, 0, s[0:1]
	v_add_u32_e32 v4, v58, v4
	s_nop 1
	v_mov_b32_dpp v58, v4 row_shr:2 row_mask:0xf bank_mask:0xf
	v_cndmask_b32_e64 v58, 0, v58, s[2:3]
	v_add_u32_e32 v4, v4, v58
	;; [unrolled: 4-line block ×4, first 2 shown]
	s_nop 1
	v_mov_b32_dpp v58, v4 row_bcast:15 row_mask:0xf bank_mask:0xf
	v_cndmask_b32_e64 v58, v58, 0, s[8:9]
	v_add_u32_e32 v4, v4, v58
	s_nop 1
	v_mov_b32_dpp v58, v4 row_bcast:31 row_mask:0xf bank_mask:0xf
	v_cndmask_b32_e64 v58, 0, v58, s[10:11]
	v_add_u32_e32 v4, v4, v58
	s_and_saveexec_b64 s[26:27], s[12:13]
; %bb.21:                               ;   in Loop: Header=BB366_4 Depth=2
	ds_write_b32 v43, v4
; %bb.22:                               ;   in Loop: Header=BB366_4 Depth=2
	s_or_b64 exec, exec, s[26:27]
	s_waitcnt lgkmcnt(0)
	s_barrier
	s_and_saveexec_b64 s[26:27], s[14:15]
	s_cbranch_execz .LBB366_24
; %bb.23:                               ;   in Loop: Header=BB366_4 Depth=2
	ds_read_b32 v58, v44
	s_waitcnt lgkmcnt(0)
	s_nop 0
	v_mov_b32_dpp v59, v58 row_shr:1 row_mask:0xf bank_mask:0xf
	v_cndmask_b32_e64 v59, v59, 0, s[22:23]
	v_add_u32_e32 v58, v59, v58
	s_nop 1
	v_mov_b32_dpp v59, v58 row_shr:2 row_mask:0xf bank_mask:0xf
	v_cndmask_b32_e64 v59, 0, v59, s[24:25]
	v_add_u32_e32 v58, v58, v59
	ds_write_b32 v44, v58
.LBB366_24:                             ;   in Loop: Header=BB366_4 Depth=2
	s_or_b64 exec, exec, s[26:27]
	v_mov_b32_e32 v58, 0
	s_waitcnt lgkmcnt(0)
	s_barrier
	s_and_saveexec_b64 s[26:27], s[16:17]
; %bb.25:                               ;   in Loop: Header=BB366_4 Depth=2
	ds_read_b32 v58, v45
; %bb.26:                               ;   in Loop: Header=BB366_4 Depth=2
	s_or_b64 exec, exec, s[26:27]
	s_waitcnt lgkmcnt(0)
	v_add_u32_e32 v4, v58, v4
	ds_bpermute_b32 v4, v42, v4
	v_lshlrev_b32_e32 v5, 3, v5
	s_cmp_gt_u32 s36, 55
	s_mov_b64 s[26:27], -1
	s_waitcnt lgkmcnt(0)
	v_cndmask_b32_e64 v4, v4, v58, s[18:19]
	v_cndmask_b32_e64 v58, v4, 0, s[20:21]
	v_add_u32_e32 v59, v58, v1
	v_add_u32_e32 v1, v59, v2
	;; [unrolled: 1-line block ×3, first 2 shown]
	ds_write2_b64 v41, v[58:59], v[1:2] offset0:2 offset1:3
	s_waitcnt lgkmcnt(0)
	s_barrier
	ds_read_b32 v1, v6 offset:16
	ds_read_b32 v2, v8 offset:16
	;; [unrolled: 1-line block ×8, first 2 shown]
	s_waitcnt lgkmcnt(7)
	v_lshl_add_u32 v48, v1, 3, v5
	v_lshlrev_b32_e32 v1, 3, v9
	v_lshlrev_b32_e32 v5, 3, v7
	s_waitcnt lgkmcnt(6)
	v_lshlrev_b32_e32 v2, 3, v2
	v_add3_u32 v51, v1, v5, v2
	v_lshlrev_b32_e32 v1, 3, v12
	v_lshlrev_b32_e32 v2, 3, v10
	s_waitcnt lgkmcnt(5)
	v_lshlrev_b32_e32 v3, 3, v3
	v_add3_u32 v54, v1, v2, v3
	;; [unrolled: 5-line block ×7, first 2 shown]
                                        ; implicit-def: $vgpr1_vgpr2
                                        ; implicit-def: $vgpr5_vgpr6
                                        ; implicit-def: $vgpr9_vgpr10
                                        ; implicit-def: $vgpr13_vgpr14
	s_cbranch_scc1 .LBB366_3
; %bb.27:                               ;   in Loop: Header=BB366_4 Depth=2
	s_barrier
	ds_write_b64 v48, v[37:38]
	ds_write_b64 v51, v[35:36]
	;; [unrolled: 1-line block ×8, first 2 shown]
	s_waitcnt lgkmcnt(0)
	s_barrier
	ds_read2st64_b64 v[1:4], v40 offset1:1
	ds_read2st64_b64 v[5:8], v40 offset0:2 offset1:3
	ds_read2st64_b64 v[9:12], v40 offset0:4 offset1:5
	;; [unrolled: 1-line block ×3, first 2 shown]
	s_add_i32 s34, s34, -8
	s_add_i32 s33, s33, 8
	s_add_i32 s36, s36, 8
	s_mov_b64 s[26:27], 0
	s_waitcnt lgkmcnt(0)
	s_barrier
	s_branch .LBB366_3
.LBB366_28:
	s_add_u32 s0, s38, s40
	s_addc_u32 s1, s39, s41
	v_lshlrev_b32_e32 v0, 3, v0
	v_mov_b32_e32 v1, s1
	v_add_co_u32_e32 v2, vcc, s0, v0
	v_addc_co_u32_e32 v19, vcc, 0, v1, vcc
	global_store_dwordx2 v0, v[15:16], s[0:1]
	global_store_dwordx2 v0, v[17:18], s[0:1] offset:2048
	v_add_co_u32_e32 v0, vcc, 0x1000, v2
	v_addc_co_u32_e32 v1, vcc, 0, v19, vcc
	global_store_dwordx2 v[0:1], v[11:12], off
	global_store_dwordx2 v[0:1], v[13:14], off offset:2048
	v_add_co_u32_e32 v0, vcc, 0x2000, v2
	v_addc_co_u32_e32 v1, vcc, 0, v19, vcc
	global_store_dwordx2 v[0:1], v[7:8], off
	global_store_dwordx2 v[0:1], v[9:10], off offset:2048
	;; [unrolled: 4-line block ×3, first 2 shown]
	s_endpgm
	.section	.rodata,"a",@progbits
	.p2align	6, 0x0
	.amdhsa_kernel _Z16sort_keys_kernelI22helper_blocked_stripedN15benchmark_utils11custom_typeIiiEELj256ELj8ELj10EEvPKT0_PS4_
		.amdhsa_group_segment_fixed_size 16384
		.amdhsa_private_segment_fixed_size 0
		.amdhsa_kernarg_size 272
		.amdhsa_user_sgpr_count 6
		.amdhsa_user_sgpr_private_segment_buffer 1
		.amdhsa_user_sgpr_dispatch_ptr 0
		.amdhsa_user_sgpr_queue_ptr 0
		.amdhsa_user_sgpr_kernarg_segment_ptr 1
		.amdhsa_user_sgpr_dispatch_id 0
		.amdhsa_user_sgpr_flat_scratch_init 0
		.amdhsa_user_sgpr_private_segment_size 0
		.amdhsa_uses_dynamic_stack 0
		.amdhsa_system_sgpr_private_segment_wavefront_offset 0
		.amdhsa_system_sgpr_workgroup_id_x 1
		.amdhsa_system_sgpr_workgroup_id_y 0
		.amdhsa_system_sgpr_workgroup_id_z 0
		.amdhsa_system_sgpr_workgroup_info 0
		.amdhsa_system_vgpr_workitem_id 2
		.amdhsa_next_free_vgpr 60
		.amdhsa_next_free_sgpr 98
		.amdhsa_reserve_vcc 1
		.amdhsa_reserve_flat_scratch 0
		.amdhsa_float_round_mode_32 0
		.amdhsa_float_round_mode_16_64 0
		.amdhsa_float_denorm_mode_32 3
		.amdhsa_float_denorm_mode_16_64 3
		.amdhsa_dx10_clamp 1
		.amdhsa_ieee_mode 1
		.amdhsa_fp16_overflow 0
		.amdhsa_exception_fp_ieee_invalid_op 0
		.amdhsa_exception_fp_denorm_src 0
		.amdhsa_exception_fp_ieee_div_zero 0
		.amdhsa_exception_fp_ieee_overflow 0
		.amdhsa_exception_fp_ieee_underflow 0
		.amdhsa_exception_fp_ieee_inexact 0
		.amdhsa_exception_int_div_zero 0
	.end_amdhsa_kernel
	.section	.text._Z16sort_keys_kernelI22helper_blocked_stripedN15benchmark_utils11custom_typeIiiEELj256ELj8ELj10EEvPKT0_PS4_,"axG",@progbits,_Z16sort_keys_kernelI22helper_blocked_stripedN15benchmark_utils11custom_typeIiiEELj256ELj8ELj10EEvPKT0_PS4_,comdat
.Lfunc_end366:
	.size	_Z16sort_keys_kernelI22helper_blocked_stripedN15benchmark_utils11custom_typeIiiEELj256ELj8ELj10EEvPKT0_PS4_, .Lfunc_end366-_Z16sort_keys_kernelI22helper_blocked_stripedN15benchmark_utils11custom_typeIiiEELj256ELj8ELj10EEvPKT0_PS4_
                                        ; -- End function
	.set _Z16sort_keys_kernelI22helper_blocked_stripedN15benchmark_utils11custom_typeIiiEELj256ELj8ELj10EEvPKT0_PS4_.num_vgpr, 60
	.set _Z16sort_keys_kernelI22helper_blocked_stripedN15benchmark_utils11custom_typeIiiEELj256ELj8ELj10EEvPKT0_PS4_.num_agpr, 0
	.set _Z16sort_keys_kernelI22helper_blocked_stripedN15benchmark_utils11custom_typeIiiEELj256ELj8ELj10EEvPKT0_PS4_.numbered_sgpr, 45
	.set _Z16sort_keys_kernelI22helper_blocked_stripedN15benchmark_utils11custom_typeIiiEELj256ELj8ELj10EEvPKT0_PS4_.num_named_barrier, 0
	.set _Z16sort_keys_kernelI22helper_blocked_stripedN15benchmark_utils11custom_typeIiiEELj256ELj8ELj10EEvPKT0_PS4_.private_seg_size, 0
	.set _Z16sort_keys_kernelI22helper_blocked_stripedN15benchmark_utils11custom_typeIiiEELj256ELj8ELj10EEvPKT0_PS4_.uses_vcc, 1
	.set _Z16sort_keys_kernelI22helper_blocked_stripedN15benchmark_utils11custom_typeIiiEELj256ELj8ELj10EEvPKT0_PS4_.uses_flat_scratch, 0
	.set _Z16sort_keys_kernelI22helper_blocked_stripedN15benchmark_utils11custom_typeIiiEELj256ELj8ELj10EEvPKT0_PS4_.has_dyn_sized_stack, 0
	.set _Z16sort_keys_kernelI22helper_blocked_stripedN15benchmark_utils11custom_typeIiiEELj256ELj8ELj10EEvPKT0_PS4_.has_recursion, 0
	.set _Z16sort_keys_kernelI22helper_blocked_stripedN15benchmark_utils11custom_typeIiiEELj256ELj8ELj10EEvPKT0_PS4_.has_indirect_call, 0
	.section	.AMDGPU.csdata,"",@progbits
; Kernel info:
; codeLenInByte = 5300
; TotalNumSgprs: 49
; NumVgprs: 60
; ScratchSize: 0
; MemoryBound: 0
; FloatMode: 240
; IeeeMode: 1
; LDSByteSize: 16384 bytes/workgroup (compile time only)
; SGPRBlocks: 12
; VGPRBlocks: 14
; NumSGPRsForWavesPerEU: 102
; NumVGPRsForWavesPerEU: 60
; Occupancy: 4
; WaveLimiterHint : 1
; COMPUTE_PGM_RSRC2:SCRATCH_EN: 0
; COMPUTE_PGM_RSRC2:USER_SGPR: 6
; COMPUTE_PGM_RSRC2:TRAP_HANDLER: 0
; COMPUTE_PGM_RSRC2:TGID_X_EN: 1
; COMPUTE_PGM_RSRC2:TGID_Y_EN: 0
; COMPUTE_PGM_RSRC2:TGID_Z_EN: 0
; COMPUTE_PGM_RSRC2:TIDIG_COMP_CNT: 2
	.section	.text._Z17sort_pairs_kernelI22helper_blocked_stripedN15benchmark_utils11custom_typeIiiEELj256ELj8ELj10EEvPKT0_PS4_,"axG",@progbits,_Z17sort_pairs_kernelI22helper_blocked_stripedN15benchmark_utils11custom_typeIiiEELj256ELj8ELj10EEvPKT0_PS4_,comdat
	.protected	_Z17sort_pairs_kernelI22helper_blocked_stripedN15benchmark_utils11custom_typeIiiEELj256ELj8ELj10EEvPKT0_PS4_ ; -- Begin function _Z17sort_pairs_kernelI22helper_blocked_stripedN15benchmark_utils11custom_typeIiiEELj256ELj8ELj10EEvPKT0_PS4_
	.globl	_Z17sort_pairs_kernelI22helper_blocked_stripedN15benchmark_utils11custom_typeIiiEELj256ELj8ELj10EEvPKT0_PS4_
	.p2align	8
	.type	_Z17sort_pairs_kernelI22helper_blocked_stripedN15benchmark_utils11custom_typeIiiEELj256ELj8ELj10EEvPKT0_PS4_,@function
_Z17sort_pairs_kernelI22helper_blocked_stripedN15benchmark_utils11custom_typeIiiEELj256ELj8ELj10EEvPKT0_PS4_: ; @_Z17sort_pairs_kernelI22helper_blocked_stripedN15benchmark_utils11custom_typeIiiEELj256ELj8ELj10EEvPKT0_PS4_
; %bb.0:
	s_load_dwordx4 s[36:39], s[4:5], 0x0
	s_load_dword s26, s[4:5], 0x1c
	s_lshl_b32 s40, s6, 11
	s_mov_b32 s41, 0
	s_lshl_b64 s[34:35], s[40:41], 3
	s_waitcnt lgkmcnt(0)
	s_add_u32 s0, s36, s34
	s_addc_u32 s1, s37, s35
	v_lshlrev_b32_e32 v19, 6, v0
	global_load_dwordx4 v[3:6], v19, s[0:1]
	global_load_dwordx4 v[7:10], v19, s[0:1] offset:16
	global_load_dwordx4 v[11:14], v19, s[0:1] offset:32
	;; [unrolled: 1-line block ×3, first 2 shown]
	s_lshr_b32 s27, s26, 16
	s_and_b32 s26, s26, 0xffff
	v_mad_u32_u24 v1, v2, s27, v1
	v_mbcnt_lo_u32_b32 v20, -1, 0
	v_mad_u64_u32 v[1:2], s[26:27], v1, s26, v[0:1]
	v_mbcnt_hi_u32_b32 v20, -1, v20
	v_subrev_co_u32_e64 v25, s[8:9], 1, v20
	v_and_b32_e32 v26, 64, v20
	v_and_b32_e32 v21, 0xc0, v0
	v_lshlrev_b32_e32 v71, 4, v0
	v_lshrrev_b32_e32 v22, 4, v0
	s_mov_b32 s11, s41
	v_and_b32_e32 v19, 0x3000, v19
	s_mov_b32 s40, s41
	v_cmp_lt_i32_e32 vcc, v25, v26
	v_lshlrev_b32_e32 v36, 2, v0
	s_mov_b32 s10, s41
	v_add_lshl_u32 v72, v20, v21, 6
	v_and_b32_e32 v23, 15, v20
	v_and_b32_e32 v24, 16, v20
	v_or_b32_e32 v21, 63, v21
	v_and_b32_e32 v73, 12, v22
	v_mad_i32_i24 v74, v0, -12, v71
	v_and_b32_e32 v22, 3, v20
	v_mov_b32_e32 v38, s11
	v_lshl_or_b32 v75, v20, 3, v19
	v_cndmask_b32_e32 v19, v25, v20, vcc
	v_mov_b32_e32 v39, s40
	v_lshrrev_b32_e32 v1, 4, v1
	v_mov_b32_e32 v35, 0
	v_cmp_gt_u32_e64 s[0:1], 4, v0
	v_cmp_lt_u32_e64 s[2:3], 63, v0
	v_cmp_eq_u32_e64 s[4:5], 0, v0
	v_cmp_lt_u32_e64 s[6:7], 31, v20
	v_mov_b32_e32 v37, s10
	v_cmp_eq_u32_e64 s[10:11], 0, v23
	v_cmp_lt_u32_e64 s[12:13], 1, v23
	v_cmp_lt_u32_e64 s[14:15], 3, v23
	;; [unrolled: 1-line block ×3, first 2 shown]
	v_cmp_eq_u32_e64 s[18:19], 0, v24
	v_cmp_eq_u32_e64 s[20:21], v0, v21
	;; [unrolled: 1-line block ×3, first 2 shown]
	v_cmp_lt_u32_e64 s[24:25], 1, v22
	v_add_u32_e32 v76, -4, v73
	v_mov_b32_e32 v40, s41
	v_lshlrev_b32_e32 v77, 2, v19
	v_and_b32_e32 v78, 0xffffffc, v1
	v_add_u32_e32 v79, v74, v36
	s_waitcnt vmcnt(3)
	v_add_u32_e32 v20, 1, v4
	v_add_u32_e32 v19, 1, v3
	v_add_u32_e32 v22, 1, v6
	v_add_u32_e32 v21, 1, v5
	s_waitcnt vmcnt(2)
	v_add_u32_e32 v24, 1, v8
	v_add_u32_e32 v23, 1, v7
	v_add_u32_e32 v26, 1, v10
	;; [unrolled: 5-line block ×4, first 2 shown]
	v_add_u32_e32 v33, 1, v17
	s_branch .LBB367_2
.LBB367_1:                              ;   in Loop: Header=BB367_2 Depth=1
	s_barrier
	ds_write_b64 v36, v[69:70]
	ds_write_b64 v80, v[67:68]
	;; [unrolled: 1-line block ×8, first 2 shown]
	s_waitcnt lgkmcnt(0)
	s_barrier
	ds_read2st64_b64 v[3:6], v79 offset1:4
	ds_read2st64_b64 v[7:10], v79 offset0:8 offset1:12
	ds_read2st64_b64 v[11:14], v79 offset0:16 offset1:20
	;; [unrolled: 1-line block ×3, first 2 shown]
	s_waitcnt lgkmcnt(0)
	s_barrier
	ds_write_b64 v36, v[53:54]
	ds_write_b64 v80, v[51:52]
	;; [unrolled: 1-line block ×8, first 2 shown]
	s_waitcnt lgkmcnt(0)
	s_barrier
	ds_read2st64_b64 v[19:22], v79 offset1:4
	ds_read2st64_b64 v[23:26], v79 offset0:8 offset1:12
	ds_read2st64_b64 v[27:30], v79 offset0:16 offset1:20
	;; [unrolled: 1-line block ×3, first 2 shown]
	s_add_i32 s41, s41, 1
	v_xor_b32_e32 v3, 0x80000000, v3
	v_xor_b32_e32 v4, 0x80000000, v4
	v_xor_b32_e32 v5, 0x80000000, v5
	v_xor_b32_e32 v6, 0x80000000, v6
	v_xor_b32_e32 v7, 0x80000000, v7
	v_xor_b32_e32 v8, 0x80000000, v8
	v_xor_b32_e32 v9, 0x80000000, v9
	v_xor_b32_e32 v10, 0x80000000, v10
	v_xor_b32_e32 v11, 0x80000000, v11
	v_xor_b32_e32 v12, 0x80000000, v12
	v_xor_b32_e32 v13, 0x80000000, v13
	v_xor_b32_e32 v14, 0x80000000, v14
	v_xor_b32_e32 v15, 0x80000000, v15
	v_xor_b32_e32 v16, 0x80000000, v16
	v_xor_b32_e32 v17, 0x80000000, v17
	s_cmp_lg_u32 s41, 10
	v_xor_b32_e32 v18, 0x80000000, v18
	s_cbranch_scc0 .LBB367_28
.LBB367_2:                              ; =>This Loop Header: Depth=1
                                        ;     Child Loop BB367_4 Depth 2
	v_xor_b32_e32 v2, 0x80000000, v4
	v_xor_b32_e32 v1, 0x80000000, v3
	;; [unrolled: 1-line block ×16, first 2 shown]
	ds_write2_b64 v72, v[1:2], v[3:4] offset1:1
	ds_write2_b64 v72, v[5:6], v[7:8] offset0:2 offset1:3
	ds_write2_b64 v72, v[9:10], v[11:12] offset0:4 offset1:5
	;; [unrolled: 1-line block ×3, first 2 shown]
	; wave barrier
	ds_read2st64_b64 v[1:4], v75 offset1:1
	ds_read2st64_b64 v[5:8], v75 offset0:2 offset1:3
	ds_read2st64_b64 v[9:12], v75 offset0:4 offset1:5
	;; [unrolled: 1-line block ×3, first 2 shown]
	; wave barrier
	s_waitcnt lgkmcnt(11)
	ds_write2_b64 v72, v[19:20], v[21:22] offset1:1
	s_waitcnt lgkmcnt(11)
	ds_write2_b64 v72, v[23:24], v[25:26] offset0:2 offset1:3
	s_waitcnt lgkmcnt(11)
	ds_write2_b64 v72, v[27:28], v[29:30] offset0:4 offset1:5
	;; [unrolled: 2-line block ×3, first 2 shown]
	; wave barrier
	ds_read2st64_b64 v[17:20], v75 offset1:1
	ds_read2st64_b64 v[21:24], v75 offset0:2 offset1:3
	ds_read2st64_b64 v[25:28], v75 offset0:4 offset1:5
	;; [unrolled: 1-line block ×3, first 2 shown]
	s_mov_b32 s33, 8
	s_mov_b32 s36, 32
	;; [unrolled: 1-line block ×3, first 2 shown]
	s_waitcnt lgkmcnt(0)
	s_barrier
	s_branch .LBB367_4
.LBB367_3:                              ;   in Loop: Header=BB367_4 Depth=2
	s_andn2_b64 vcc, exec, s[26:27]
	s_cbranch_vccz .LBB367_1
.LBB367_4:                              ;   Parent Loop BB367_2 Depth=1
                                        ; =>  This Inner Loop Header: Depth=2
	s_min_i32 s28, s33, 32
	s_cmp_lt_u32 s37, 32
	s_cselect_b64 s[26:27], -1, 0
	s_cmp_gt_u32 s37, 31
	s_cselect_b64 vcc, -1, 0
	s_sub_i32 s28, s28, 32
	s_add_i32 s29, s28, s36
	s_lshl_b32 s29, -1, s29
	s_not_b32 s29, s29
	s_cmp_lg_u32 s28, s37
	s_cselect_b32 s42, s29, -1
	s_max_i32 s40, s36, 0
	s_max_i32 s28, s37, 32
	s_sub_i32 s43, s28, 32
	s_sub_i32 s28, s28, s40
	;; [unrolled: 1-line block ×3, first 2 shown]
	s_min_i32 s28, s28, 32
	s_sub_i32 s28, s28, s43
	s_lshl_b32 s29, -1, s28
	v_mov_b32_e32 v70, v2
	s_not_b32 s29, s29
	v_mov_b32_e32 v69, v1
	s_cmp_lg_u32 s28, 32
	s_cselect_b32 s44, s29, -1
	v_lshrrev_b32_e32 v2, s43, v69
	v_lshrrev_b32_e32 v1, s37, v70
	v_and_b32_e32 v2, s44, v2
	v_and_b32_e32 v1, s42, v1
	v_lshlrev_b32_e32 v2, s40, v2
	v_cndmask_b32_e64 v1, 0, v1, s[26:27]
	v_cndmask_b32_e32 v2, 0, v2, vcc
	v_or_b32_e32 v1, v1, v2
	v_mov_b32_e32 v68, v4
	v_and_b32_e32 v2, 1, v1
	v_mov_b32_e32 v67, v3
	v_mov_b32_e32 v66, v6
	v_add_co_u32_e64 v4, s[28:29], -1, v2
	v_mov_b32_e32 v65, v5
	v_addc_co_u32_e64 v5, s[28:29], 0, -1, s[28:29]
	v_cmp_ne_u32_e64 s[28:29], 0, v2
	v_lshlrev_b32_e32 v36, 30, v1
	v_xor_b32_e32 v2, s29, v5
	v_xor_b32_e32 v4, s28, v4
	v_cmp_gt_i64_e64 s[28:29], 0, v[35:36]
	v_not_b32_e32 v5, v36
	v_ashrrev_i32_e32 v5, 31, v5
	v_and_b32_e32 v4, exec_lo, v4
	v_xor_b32_e32 v6, s29, v5
	v_xor_b32_e32 v5, s28, v5
	v_lshlrev_b32_e32 v36, 29, v1
	v_and_b32_e32 v4, v4, v5
	v_cmp_gt_i64_e64 s[28:29], 0, v[35:36]
	v_not_b32_e32 v5, v36
	v_and_b32_e32 v2, exec_hi, v2
	v_ashrrev_i32_e32 v5, 31, v5
	v_and_b32_e32 v2, v2, v6
	v_xor_b32_e32 v6, s29, v5
	v_xor_b32_e32 v5, s28, v5
	v_lshlrev_b32_e32 v36, 28, v1
	v_and_b32_e32 v4, v4, v5
	v_cmp_gt_i64_e64 s[28:29], 0, v[35:36]
	v_not_b32_e32 v5, v36
	v_ashrrev_i32_e32 v5, 31, v5
	v_and_b32_e32 v2, v2, v6
	v_xor_b32_e32 v6, s29, v5
	v_xor_b32_e32 v5, s28, v5
	v_lshlrev_b32_e32 v36, 27, v1
	v_and_b32_e32 v4, v4, v5
	v_cmp_gt_i64_e64 s[28:29], 0, v[35:36]
	v_not_b32_e32 v5, v36
	;; [unrolled: 8-line block ×4, first 2 shown]
	v_ashrrev_i32_e32 v5, 31, v5
	v_lshlrev_b32_e32 v36, 24, v1
	v_lshlrev_b32_e32 v3, 4, v1
	v_and_b32_e32 v2, v2, v6
	v_xor_b32_e32 v6, s29, v5
	v_xor_b32_e32 v5, s28, v5
	v_cmp_gt_i64_e64 s[28:29], 0, v[35:36]
	v_not_b32_e32 v1, v36
	v_ashrrev_i32_e32 v1, 31, v1
	v_and_b32_e32 v4, v4, v5
	v_xor_b32_e32 v5, s29, v1
	v_xor_b32_e32 v1, s28, v1
	v_and_b32_e32 v2, v2, v6
	v_and_b32_e32 v1, v4, v1
	;; [unrolled: 1-line block ×3, first 2 shown]
	v_mbcnt_lo_u32_b32 v4, v1, 0
	v_mbcnt_hi_u32_b32 v5, v2, v4
	v_cmp_ne_u64_e64 s[28:29], 0, v[1:2]
	v_mov_b32_e32 v54, v18
	v_mov_b32_e32 v52, v20
	;; [unrolled: 1-line block ×13, first 2 shown]
	v_cmp_eq_u32_e64 s[30:31], 0, v5
	v_mov_b32_e32 v53, v17
	v_mov_b32_e32 v51, v19
	;; [unrolled: 1-line block ×13, first 2 shown]
	s_and_b64 s[30:31], s[30:31], s[28:29]
	v_add_u32_e32 v6, v78, v3
	ds_write2_b64 v71, v[39:40], v[37:38] offset0:2 offset1:3
	s_waitcnt lgkmcnt(0)
	s_barrier
	; wave barrier
	s_and_saveexec_b64 s[28:29], s[30:31]
; %bb.5:                                ;   in Loop: Header=BB367_4 Depth=2
	v_bcnt_u32_b32 v1, v1, 0
	v_bcnt_u32_b32 v1, v2, v1
	ds_write_b32 v6, v1 offset:16
; %bb.6:                                ;   in Loop: Header=BB367_4 Depth=2
	s_or_b64 exec, exec, s[28:29]
	v_lshrrev_b32_e32 v2, s43, v67
	v_lshrrev_b32_e32 v1, s37, v68
	v_and_b32_e32 v2, s44, v2
	v_and_b32_e32 v1, s42, v1
	v_lshlrev_b32_e32 v2, s40, v2
	v_cndmask_b32_e64 v1, 0, v1, s[26:27]
	v_cndmask_b32_e32 v2, 0, v2, vcc
	v_or_b32_e32 v1, v1, v2
	v_lshlrev_b32_e32 v2, 4, v1
	v_add_u32_e32 v8, v78, v2
	v_and_b32_e32 v2, 1, v1
	v_add_co_u32_e64 v3, s[28:29], -1, v2
	v_addc_co_u32_e64 v4, s[28:29], 0, -1, s[28:29]
	v_cmp_ne_u32_e64 s[28:29], 0, v2
	v_lshlrev_b32_e32 v36, 30, v1
	v_xor_b32_e32 v2, s29, v4
	v_xor_b32_e32 v3, s28, v3
	v_cmp_gt_i64_e64 s[28:29], 0, v[35:36]
	v_not_b32_e32 v4, v36
	v_ashrrev_i32_e32 v4, 31, v4
	v_and_b32_e32 v3, exec_lo, v3
	v_xor_b32_e32 v9, s29, v4
	v_xor_b32_e32 v4, s28, v4
	v_lshlrev_b32_e32 v36, 29, v1
	v_and_b32_e32 v3, v3, v4
	v_cmp_gt_i64_e64 s[28:29], 0, v[35:36]
	v_not_b32_e32 v4, v36
	v_and_b32_e32 v2, exec_hi, v2
	v_ashrrev_i32_e32 v4, 31, v4
	v_and_b32_e32 v2, v2, v9
	v_xor_b32_e32 v9, s29, v4
	v_xor_b32_e32 v4, s28, v4
	v_lshlrev_b32_e32 v36, 28, v1
	v_and_b32_e32 v3, v3, v4
	v_cmp_gt_i64_e64 s[28:29], 0, v[35:36]
	v_not_b32_e32 v4, v36
	v_ashrrev_i32_e32 v4, 31, v4
	v_and_b32_e32 v2, v2, v9
	v_xor_b32_e32 v9, s29, v4
	v_xor_b32_e32 v4, s28, v4
	v_lshlrev_b32_e32 v36, 27, v1
	v_and_b32_e32 v3, v3, v4
	v_cmp_gt_i64_e64 s[28:29], 0, v[35:36]
	v_not_b32_e32 v4, v36
	;; [unrolled: 8-line block ×4, first 2 shown]
	v_ashrrev_i32_e32 v4, 31, v4
	v_lshlrev_b32_e32 v36, 24, v1
	v_and_b32_e32 v2, v2, v9
	v_xor_b32_e32 v9, s29, v4
	v_xor_b32_e32 v4, s28, v4
	v_cmp_gt_i64_e64 s[28:29], 0, v[35:36]
	v_not_b32_e32 v1, v36
	v_ashrrev_i32_e32 v1, 31, v1
	v_and_b32_e32 v3, v3, v4
	v_xor_b32_e32 v4, s29, v1
	v_xor_b32_e32 v1, s28, v1
	; wave barrier
	ds_read_b32 v7, v8 offset:16
	v_and_b32_e32 v2, v2, v9
	v_and_b32_e32 v1, v3, v1
	;; [unrolled: 1-line block ×3, first 2 shown]
	v_mbcnt_lo_u32_b32 v3, v1, 0
	v_mbcnt_hi_u32_b32 v9, v2, v3
	v_cmp_ne_u64_e64 s[28:29], 0, v[1:2]
	v_cmp_eq_u32_e64 s[30:31], 0, v9
	s_and_b64 s[30:31], s[30:31], s[28:29]
	; wave barrier
	s_and_saveexec_b64 s[28:29], s[30:31]
	s_cbranch_execz .LBB367_8
; %bb.7:                                ;   in Loop: Header=BB367_4 Depth=2
	v_bcnt_u32_b32 v1, v1, 0
	v_bcnt_u32_b32 v1, v2, v1
	s_waitcnt lgkmcnt(0)
	v_add_u32_e32 v1, v7, v1
	ds_write_b32 v8, v1 offset:16
.LBB367_8:                              ;   in Loop: Header=BB367_4 Depth=2
	s_or_b64 exec, exec, s[28:29]
	v_lshrrev_b32_e32 v2, s43, v65
	v_lshrrev_b32_e32 v1, s37, v66
	v_and_b32_e32 v2, s44, v2
	v_and_b32_e32 v1, s42, v1
	v_lshlrev_b32_e32 v2, s40, v2
	v_cndmask_b32_e64 v1, 0, v1, s[26:27]
	v_cndmask_b32_e32 v2, 0, v2, vcc
	v_or_b32_e32 v1, v1, v2
	v_lshlrev_b32_e32 v2, 4, v1
	v_add_u32_e32 v11, v78, v2
	v_and_b32_e32 v2, 1, v1
	v_add_co_u32_e64 v3, s[28:29], -1, v2
	v_addc_co_u32_e64 v4, s[28:29], 0, -1, s[28:29]
	v_cmp_ne_u32_e64 s[28:29], 0, v2
	v_lshlrev_b32_e32 v36, 30, v1
	v_xor_b32_e32 v2, s29, v4
	v_xor_b32_e32 v3, s28, v3
	v_cmp_gt_i64_e64 s[28:29], 0, v[35:36]
	v_not_b32_e32 v4, v36
	v_ashrrev_i32_e32 v4, 31, v4
	v_and_b32_e32 v3, exec_lo, v3
	v_xor_b32_e32 v12, s29, v4
	v_xor_b32_e32 v4, s28, v4
	v_lshlrev_b32_e32 v36, 29, v1
	v_and_b32_e32 v3, v3, v4
	v_cmp_gt_i64_e64 s[28:29], 0, v[35:36]
	v_not_b32_e32 v4, v36
	v_and_b32_e32 v2, exec_hi, v2
	v_ashrrev_i32_e32 v4, 31, v4
	v_and_b32_e32 v2, v2, v12
	v_xor_b32_e32 v12, s29, v4
	v_xor_b32_e32 v4, s28, v4
	v_lshlrev_b32_e32 v36, 28, v1
	v_and_b32_e32 v3, v3, v4
	v_cmp_gt_i64_e64 s[28:29], 0, v[35:36]
	v_not_b32_e32 v4, v36
	v_ashrrev_i32_e32 v4, 31, v4
	v_and_b32_e32 v2, v2, v12
	v_xor_b32_e32 v12, s29, v4
	v_xor_b32_e32 v4, s28, v4
	v_lshlrev_b32_e32 v36, 27, v1
	v_and_b32_e32 v3, v3, v4
	v_cmp_gt_i64_e64 s[28:29], 0, v[35:36]
	v_not_b32_e32 v4, v36
	;; [unrolled: 8-line block ×4, first 2 shown]
	v_ashrrev_i32_e32 v4, 31, v4
	v_lshlrev_b32_e32 v36, 24, v1
	v_and_b32_e32 v2, v2, v12
	v_xor_b32_e32 v12, s29, v4
	v_xor_b32_e32 v4, s28, v4
	v_cmp_gt_i64_e64 s[28:29], 0, v[35:36]
	v_not_b32_e32 v1, v36
	v_ashrrev_i32_e32 v1, 31, v1
	v_and_b32_e32 v3, v3, v4
	v_xor_b32_e32 v4, s29, v1
	v_xor_b32_e32 v1, s28, v1
	; wave barrier
	ds_read_b32 v10, v11 offset:16
	v_and_b32_e32 v2, v2, v12
	v_and_b32_e32 v1, v3, v1
	;; [unrolled: 1-line block ×3, first 2 shown]
	v_mbcnt_lo_u32_b32 v3, v1, 0
	v_mbcnt_hi_u32_b32 v12, v2, v3
	v_cmp_ne_u64_e64 s[28:29], 0, v[1:2]
	v_cmp_eq_u32_e64 s[30:31], 0, v12
	s_and_b64 s[30:31], s[30:31], s[28:29]
	; wave barrier
	s_and_saveexec_b64 s[28:29], s[30:31]
	s_cbranch_execz .LBB367_10
; %bb.9:                                ;   in Loop: Header=BB367_4 Depth=2
	v_bcnt_u32_b32 v1, v1, 0
	v_bcnt_u32_b32 v1, v2, v1
	s_waitcnt lgkmcnt(0)
	v_add_u32_e32 v1, v10, v1
	ds_write_b32 v11, v1 offset:16
.LBB367_10:                             ;   in Loop: Header=BB367_4 Depth=2
	s_or_b64 exec, exec, s[28:29]
	v_lshrrev_b32_e32 v2, s43, v63
	v_lshrrev_b32_e32 v1, s37, v64
	v_and_b32_e32 v2, s44, v2
	v_and_b32_e32 v1, s42, v1
	v_lshlrev_b32_e32 v2, s40, v2
	v_cndmask_b32_e64 v1, 0, v1, s[26:27]
	v_cndmask_b32_e32 v2, 0, v2, vcc
	v_or_b32_e32 v1, v1, v2
	v_lshlrev_b32_e32 v2, 4, v1
	v_add_u32_e32 v14, v78, v2
	v_and_b32_e32 v2, 1, v1
	v_add_co_u32_e64 v3, s[28:29], -1, v2
	v_addc_co_u32_e64 v4, s[28:29], 0, -1, s[28:29]
	v_cmp_ne_u32_e64 s[28:29], 0, v2
	v_lshlrev_b32_e32 v36, 30, v1
	v_xor_b32_e32 v2, s29, v4
	v_xor_b32_e32 v3, s28, v3
	v_cmp_gt_i64_e64 s[28:29], 0, v[35:36]
	v_not_b32_e32 v4, v36
	v_ashrrev_i32_e32 v4, 31, v4
	v_and_b32_e32 v3, exec_lo, v3
	v_xor_b32_e32 v15, s29, v4
	v_xor_b32_e32 v4, s28, v4
	v_lshlrev_b32_e32 v36, 29, v1
	v_and_b32_e32 v3, v3, v4
	v_cmp_gt_i64_e64 s[28:29], 0, v[35:36]
	v_not_b32_e32 v4, v36
	v_and_b32_e32 v2, exec_hi, v2
	v_ashrrev_i32_e32 v4, 31, v4
	v_and_b32_e32 v2, v2, v15
	v_xor_b32_e32 v15, s29, v4
	v_xor_b32_e32 v4, s28, v4
	v_lshlrev_b32_e32 v36, 28, v1
	v_and_b32_e32 v3, v3, v4
	v_cmp_gt_i64_e64 s[28:29], 0, v[35:36]
	v_not_b32_e32 v4, v36
	v_ashrrev_i32_e32 v4, 31, v4
	v_and_b32_e32 v2, v2, v15
	v_xor_b32_e32 v15, s29, v4
	v_xor_b32_e32 v4, s28, v4
	v_lshlrev_b32_e32 v36, 27, v1
	v_and_b32_e32 v3, v3, v4
	v_cmp_gt_i64_e64 s[28:29], 0, v[35:36]
	v_not_b32_e32 v4, v36
	v_ashrrev_i32_e32 v4, 31, v4
	v_and_b32_e32 v2, v2, v15
	v_xor_b32_e32 v15, s29, v4
	v_xor_b32_e32 v4, s28, v4
	v_lshlrev_b32_e32 v36, 26, v1
	v_and_b32_e32 v3, v3, v4
	v_cmp_gt_i64_e64 s[28:29], 0, v[35:36]
	v_not_b32_e32 v4, v36
	v_ashrrev_i32_e32 v4, 31, v4
	v_and_b32_e32 v2, v2, v15
	v_xor_b32_e32 v15, s29, v4
	v_xor_b32_e32 v4, s28, v4
	v_lshlrev_b32_e32 v36, 25, v1
	v_and_b32_e32 v3, v3, v4
	v_cmp_gt_i64_e64 s[28:29], 0, v[35:36]
	v_not_b32_e32 v4, v36
	v_ashrrev_i32_e32 v4, 31, v4
	v_lshlrev_b32_e32 v36, 24, v1
	v_and_b32_e32 v2, v2, v15
	v_xor_b32_e32 v15, s29, v4
	v_xor_b32_e32 v4, s28, v4
	v_cmp_gt_i64_e64 s[28:29], 0, v[35:36]
	v_not_b32_e32 v1, v36
	v_ashrrev_i32_e32 v1, 31, v1
	v_and_b32_e32 v3, v3, v4
	v_xor_b32_e32 v4, s29, v1
	v_xor_b32_e32 v1, s28, v1
	; wave barrier
	ds_read_b32 v13, v14 offset:16
	v_and_b32_e32 v2, v2, v15
	v_and_b32_e32 v1, v3, v1
	v_and_b32_e32 v2, v2, v4
	v_mbcnt_lo_u32_b32 v3, v1, 0
	v_mbcnt_hi_u32_b32 v15, v2, v3
	v_cmp_ne_u64_e64 s[28:29], 0, v[1:2]
	v_cmp_eq_u32_e64 s[30:31], 0, v15
	s_and_b64 s[30:31], s[30:31], s[28:29]
	; wave barrier
	s_and_saveexec_b64 s[28:29], s[30:31]
	s_cbranch_execz .LBB367_12
; %bb.11:                               ;   in Loop: Header=BB367_4 Depth=2
	v_bcnt_u32_b32 v1, v1, 0
	v_bcnt_u32_b32 v1, v2, v1
	s_waitcnt lgkmcnt(0)
	v_add_u32_e32 v1, v13, v1
	ds_write_b32 v14, v1 offset:16
.LBB367_12:                             ;   in Loop: Header=BB367_4 Depth=2
	s_or_b64 exec, exec, s[28:29]
	v_lshrrev_b32_e32 v2, s43, v61
	v_lshrrev_b32_e32 v1, s37, v62
	v_and_b32_e32 v2, s44, v2
	v_and_b32_e32 v1, s42, v1
	v_lshlrev_b32_e32 v2, s40, v2
	v_cndmask_b32_e64 v1, 0, v1, s[26:27]
	v_cndmask_b32_e32 v2, 0, v2, vcc
	v_or_b32_e32 v1, v1, v2
	v_lshlrev_b32_e32 v2, 4, v1
	v_add_u32_e32 v17, v78, v2
	v_and_b32_e32 v2, 1, v1
	v_add_co_u32_e64 v3, s[28:29], -1, v2
	v_addc_co_u32_e64 v4, s[28:29], 0, -1, s[28:29]
	v_cmp_ne_u32_e64 s[28:29], 0, v2
	v_lshlrev_b32_e32 v36, 30, v1
	v_xor_b32_e32 v2, s29, v4
	v_xor_b32_e32 v3, s28, v3
	v_cmp_gt_i64_e64 s[28:29], 0, v[35:36]
	v_not_b32_e32 v4, v36
	v_ashrrev_i32_e32 v4, 31, v4
	v_and_b32_e32 v3, exec_lo, v3
	v_xor_b32_e32 v18, s29, v4
	v_xor_b32_e32 v4, s28, v4
	v_lshlrev_b32_e32 v36, 29, v1
	v_and_b32_e32 v3, v3, v4
	v_cmp_gt_i64_e64 s[28:29], 0, v[35:36]
	v_not_b32_e32 v4, v36
	v_and_b32_e32 v2, exec_hi, v2
	v_ashrrev_i32_e32 v4, 31, v4
	v_and_b32_e32 v2, v2, v18
	v_xor_b32_e32 v18, s29, v4
	v_xor_b32_e32 v4, s28, v4
	v_lshlrev_b32_e32 v36, 28, v1
	v_and_b32_e32 v3, v3, v4
	v_cmp_gt_i64_e64 s[28:29], 0, v[35:36]
	v_not_b32_e32 v4, v36
	v_ashrrev_i32_e32 v4, 31, v4
	v_and_b32_e32 v2, v2, v18
	v_xor_b32_e32 v18, s29, v4
	v_xor_b32_e32 v4, s28, v4
	v_lshlrev_b32_e32 v36, 27, v1
	v_and_b32_e32 v3, v3, v4
	v_cmp_gt_i64_e64 s[28:29], 0, v[35:36]
	v_not_b32_e32 v4, v36
	;; [unrolled: 8-line block ×4, first 2 shown]
	v_ashrrev_i32_e32 v4, 31, v4
	v_lshlrev_b32_e32 v36, 24, v1
	v_and_b32_e32 v2, v2, v18
	v_xor_b32_e32 v18, s29, v4
	v_xor_b32_e32 v4, s28, v4
	v_cmp_gt_i64_e64 s[28:29], 0, v[35:36]
	v_not_b32_e32 v1, v36
	v_ashrrev_i32_e32 v1, 31, v1
	v_and_b32_e32 v3, v3, v4
	v_xor_b32_e32 v4, s29, v1
	v_xor_b32_e32 v1, s28, v1
	; wave barrier
	ds_read_b32 v16, v17 offset:16
	v_and_b32_e32 v2, v2, v18
	v_and_b32_e32 v1, v3, v1
	;; [unrolled: 1-line block ×3, first 2 shown]
	v_mbcnt_lo_u32_b32 v3, v1, 0
	v_mbcnt_hi_u32_b32 v18, v2, v3
	v_cmp_ne_u64_e64 s[28:29], 0, v[1:2]
	v_cmp_eq_u32_e64 s[30:31], 0, v18
	s_and_b64 s[30:31], s[30:31], s[28:29]
	; wave barrier
	s_and_saveexec_b64 s[28:29], s[30:31]
	s_cbranch_execz .LBB367_14
; %bb.13:                               ;   in Loop: Header=BB367_4 Depth=2
	v_bcnt_u32_b32 v1, v1, 0
	v_bcnt_u32_b32 v1, v2, v1
	s_waitcnt lgkmcnt(0)
	v_add_u32_e32 v1, v16, v1
	ds_write_b32 v17, v1 offset:16
.LBB367_14:                             ;   in Loop: Header=BB367_4 Depth=2
	s_or_b64 exec, exec, s[28:29]
	v_lshrrev_b32_e32 v2, s43, v59
	v_lshrrev_b32_e32 v1, s37, v60
	v_and_b32_e32 v2, s44, v2
	v_and_b32_e32 v1, s42, v1
	v_lshlrev_b32_e32 v2, s40, v2
	v_cndmask_b32_e64 v1, 0, v1, s[26:27]
	v_cndmask_b32_e32 v2, 0, v2, vcc
	v_or_b32_e32 v1, v1, v2
	v_lshlrev_b32_e32 v2, 4, v1
	v_add_u32_e32 v20, v78, v2
	v_and_b32_e32 v2, 1, v1
	v_add_co_u32_e64 v3, s[28:29], -1, v2
	v_addc_co_u32_e64 v4, s[28:29], 0, -1, s[28:29]
	v_cmp_ne_u32_e64 s[28:29], 0, v2
	v_lshlrev_b32_e32 v36, 30, v1
	v_xor_b32_e32 v2, s29, v4
	v_xor_b32_e32 v3, s28, v3
	v_cmp_gt_i64_e64 s[28:29], 0, v[35:36]
	v_not_b32_e32 v4, v36
	v_ashrrev_i32_e32 v4, 31, v4
	v_and_b32_e32 v3, exec_lo, v3
	v_xor_b32_e32 v21, s29, v4
	v_xor_b32_e32 v4, s28, v4
	v_lshlrev_b32_e32 v36, 29, v1
	v_and_b32_e32 v3, v3, v4
	v_cmp_gt_i64_e64 s[28:29], 0, v[35:36]
	v_not_b32_e32 v4, v36
	v_and_b32_e32 v2, exec_hi, v2
	v_ashrrev_i32_e32 v4, 31, v4
	v_and_b32_e32 v2, v2, v21
	v_xor_b32_e32 v21, s29, v4
	v_xor_b32_e32 v4, s28, v4
	v_lshlrev_b32_e32 v36, 28, v1
	v_and_b32_e32 v3, v3, v4
	v_cmp_gt_i64_e64 s[28:29], 0, v[35:36]
	v_not_b32_e32 v4, v36
	v_ashrrev_i32_e32 v4, 31, v4
	v_and_b32_e32 v2, v2, v21
	v_xor_b32_e32 v21, s29, v4
	v_xor_b32_e32 v4, s28, v4
	v_lshlrev_b32_e32 v36, 27, v1
	v_and_b32_e32 v3, v3, v4
	v_cmp_gt_i64_e64 s[28:29], 0, v[35:36]
	v_not_b32_e32 v4, v36
	;; [unrolled: 8-line block ×4, first 2 shown]
	v_ashrrev_i32_e32 v4, 31, v4
	v_lshlrev_b32_e32 v36, 24, v1
	v_and_b32_e32 v2, v2, v21
	v_xor_b32_e32 v21, s29, v4
	v_xor_b32_e32 v4, s28, v4
	v_cmp_gt_i64_e64 s[28:29], 0, v[35:36]
	v_not_b32_e32 v1, v36
	v_ashrrev_i32_e32 v1, 31, v1
	v_and_b32_e32 v3, v3, v4
	v_xor_b32_e32 v4, s29, v1
	v_xor_b32_e32 v1, s28, v1
	; wave barrier
	ds_read_b32 v19, v20 offset:16
	v_and_b32_e32 v2, v2, v21
	v_and_b32_e32 v1, v3, v1
	;; [unrolled: 1-line block ×3, first 2 shown]
	v_mbcnt_lo_u32_b32 v3, v1, 0
	v_mbcnt_hi_u32_b32 v21, v2, v3
	v_cmp_ne_u64_e64 s[28:29], 0, v[1:2]
	v_cmp_eq_u32_e64 s[30:31], 0, v21
	s_and_b64 s[30:31], s[30:31], s[28:29]
	; wave barrier
	s_and_saveexec_b64 s[28:29], s[30:31]
	s_cbranch_execz .LBB367_16
; %bb.15:                               ;   in Loop: Header=BB367_4 Depth=2
	v_bcnt_u32_b32 v1, v1, 0
	v_bcnt_u32_b32 v1, v2, v1
	s_waitcnt lgkmcnt(0)
	v_add_u32_e32 v1, v19, v1
	ds_write_b32 v20, v1 offset:16
.LBB367_16:                             ;   in Loop: Header=BB367_4 Depth=2
	s_or_b64 exec, exec, s[28:29]
	v_lshrrev_b32_e32 v2, s43, v57
	v_lshrrev_b32_e32 v1, s37, v58
	v_and_b32_e32 v2, s44, v2
	v_and_b32_e32 v1, s42, v1
	v_lshlrev_b32_e32 v2, s40, v2
	v_cndmask_b32_e64 v1, 0, v1, s[26:27]
	v_cndmask_b32_e32 v2, 0, v2, vcc
	v_or_b32_e32 v1, v1, v2
	v_lshlrev_b32_e32 v2, 4, v1
	v_add_u32_e32 v23, v78, v2
	v_and_b32_e32 v2, 1, v1
	v_add_co_u32_e64 v3, s[28:29], -1, v2
	v_addc_co_u32_e64 v4, s[28:29], 0, -1, s[28:29]
	v_cmp_ne_u32_e64 s[28:29], 0, v2
	v_lshlrev_b32_e32 v36, 30, v1
	v_xor_b32_e32 v2, s29, v4
	v_xor_b32_e32 v3, s28, v3
	v_cmp_gt_i64_e64 s[28:29], 0, v[35:36]
	v_not_b32_e32 v4, v36
	v_ashrrev_i32_e32 v4, 31, v4
	v_and_b32_e32 v3, exec_lo, v3
	v_xor_b32_e32 v24, s29, v4
	v_xor_b32_e32 v4, s28, v4
	v_lshlrev_b32_e32 v36, 29, v1
	v_and_b32_e32 v3, v3, v4
	v_cmp_gt_i64_e64 s[28:29], 0, v[35:36]
	v_not_b32_e32 v4, v36
	v_and_b32_e32 v2, exec_hi, v2
	v_ashrrev_i32_e32 v4, 31, v4
	v_and_b32_e32 v2, v2, v24
	v_xor_b32_e32 v24, s29, v4
	v_xor_b32_e32 v4, s28, v4
	v_lshlrev_b32_e32 v36, 28, v1
	v_and_b32_e32 v3, v3, v4
	v_cmp_gt_i64_e64 s[28:29], 0, v[35:36]
	v_not_b32_e32 v4, v36
	v_ashrrev_i32_e32 v4, 31, v4
	v_and_b32_e32 v2, v2, v24
	v_xor_b32_e32 v24, s29, v4
	v_xor_b32_e32 v4, s28, v4
	v_lshlrev_b32_e32 v36, 27, v1
	v_and_b32_e32 v3, v3, v4
	v_cmp_gt_i64_e64 s[28:29], 0, v[35:36]
	v_not_b32_e32 v4, v36
	;; [unrolled: 8-line block ×4, first 2 shown]
	v_ashrrev_i32_e32 v4, 31, v4
	v_lshlrev_b32_e32 v36, 24, v1
	v_and_b32_e32 v2, v2, v24
	v_xor_b32_e32 v24, s29, v4
	v_xor_b32_e32 v4, s28, v4
	v_cmp_gt_i64_e64 s[28:29], 0, v[35:36]
	v_not_b32_e32 v1, v36
	v_ashrrev_i32_e32 v1, 31, v1
	v_and_b32_e32 v3, v3, v4
	v_xor_b32_e32 v4, s29, v1
	v_xor_b32_e32 v1, s28, v1
	; wave barrier
	ds_read_b32 v22, v23 offset:16
	v_and_b32_e32 v2, v2, v24
	v_and_b32_e32 v1, v3, v1
	;; [unrolled: 1-line block ×3, first 2 shown]
	v_mbcnt_lo_u32_b32 v3, v1, 0
	v_mbcnt_hi_u32_b32 v24, v2, v3
	v_cmp_ne_u64_e64 s[28:29], 0, v[1:2]
	v_cmp_eq_u32_e64 s[30:31], 0, v24
	s_and_b64 s[30:31], s[30:31], s[28:29]
	; wave barrier
	s_and_saveexec_b64 s[28:29], s[30:31]
	s_cbranch_execz .LBB367_18
; %bb.17:                               ;   in Loop: Header=BB367_4 Depth=2
	v_bcnt_u32_b32 v1, v1, 0
	v_bcnt_u32_b32 v1, v2, v1
	s_waitcnt lgkmcnt(0)
	v_add_u32_e32 v1, v22, v1
	ds_write_b32 v23, v1 offset:16
.LBB367_18:                             ;   in Loop: Header=BB367_4 Depth=2
	s_or_b64 exec, exec, s[28:29]
	v_lshrrev_b32_e32 v2, s43, v55
	v_lshrrev_b32_e32 v1, s37, v56
	v_and_b32_e32 v2, s44, v2
	v_and_b32_e32 v1, s42, v1
	v_lshlrev_b32_e32 v2, s40, v2
	v_cndmask_b32_e64 v1, 0, v1, s[26:27]
	v_cndmask_b32_e32 v2, 0, v2, vcc
	v_or_b32_e32 v1, v1, v2
	v_lshlrev_b32_e32 v2, 4, v1
	v_add_u32_e32 v26, v78, v2
	v_and_b32_e32 v2, 1, v1
	v_add_co_u32_e32 v3, vcc, -1, v2
	v_addc_co_u32_e64 v4, s[26:27], 0, -1, vcc
	v_cmp_ne_u32_e32 vcc, 0, v2
	v_lshlrev_b32_e32 v36, 30, v1
	v_xor_b32_e32 v2, vcc_hi, v4
	v_xor_b32_e32 v3, vcc_lo, v3
	v_cmp_gt_i64_e32 vcc, 0, v[35:36]
	v_not_b32_e32 v4, v36
	v_ashrrev_i32_e32 v4, 31, v4
	v_and_b32_e32 v3, exec_lo, v3
	v_xor_b32_e32 v27, vcc_hi, v4
	v_xor_b32_e32 v4, vcc_lo, v4
	v_lshlrev_b32_e32 v36, 29, v1
	v_and_b32_e32 v3, v3, v4
	v_cmp_gt_i64_e32 vcc, 0, v[35:36]
	v_not_b32_e32 v4, v36
	v_and_b32_e32 v2, exec_hi, v2
	v_ashrrev_i32_e32 v4, 31, v4
	v_and_b32_e32 v2, v2, v27
	v_xor_b32_e32 v27, vcc_hi, v4
	v_xor_b32_e32 v4, vcc_lo, v4
	v_lshlrev_b32_e32 v36, 28, v1
	v_and_b32_e32 v3, v3, v4
	v_cmp_gt_i64_e32 vcc, 0, v[35:36]
	v_not_b32_e32 v4, v36
	v_ashrrev_i32_e32 v4, 31, v4
	v_and_b32_e32 v2, v2, v27
	v_xor_b32_e32 v27, vcc_hi, v4
	v_xor_b32_e32 v4, vcc_lo, v4
	v_lshlrev_b32_e32 v36, 27, v1
	v_and_b32_e32 v3, v3, v4
	v_cmp_gt_i64_e32 vcc, 0, v[35:36]
	v_not_b32_e32 v4, v36
	;; [unrolled: 8-line block ×4, first 2 shown]
	v_ashrrev_i32_e32 v4, 31, v4
	v_lshlrev_b32_e32 v36, 24, v1
	v_and_b32_e32 v2, v2, v27
	v_xor_b32_e32 v27, vcc_hi, v4
	v_xor_b32_e32 v4, vcc_lo, v4
	v_cmp_gt_i64_e32 vcc, 0, v[35:36]
	v_not_b32_e32 v1, v36
	v_ashrrev_i32_e32 v1, 31, v1
	v_and_b32_e32 v3, v3, v4
	v_xor_b32_e32 v4, vcc_hi, v1
	v_xor_b32_e32 v1, vcc_lo, v1
	; wave barrier
	ds_read_b32 v25, v26 offset:16
	v_and_b32_e32 v2, v2, v27
	v_and_b32_e32 v1, v3, v1
	;; [unrolled: 1-line block ×3, first 2 shown]
	v_mbcnt_lo_u32_b32 v3, v1, 0
	v_mbcnt_hi_u32_b32 v27, v2, v3
	v_cmp_ne_u64_e32 vcc, 0, v[1:2]
	v_cmp_eq_u32_e64 s[26:27], 0, v27
	s_and_b64 s[28:29], s[26:27], vcc
	; wave barrier
	s_and_saveexec_b64 s[26:27], s[28:29]
	s_cbranch_execz .LBB367_20
; %bb.19:                               ;   in Loop: Header=BB367_4 Depth=2
	v_bcnt_u32_b32 v1, v1, 0
	v_bcnt_u32_b32 v1, v2, v1
	s_waitcnt lgkmcnt(0)
	v_add_u32_e32 v1, v25, v1
	ds_write_b32 v26, v1 offset:16
.LBB367_20:                             ;   in Loop: Header=BB367_4 Depth=2
	s_or_b64 exec, exec, s[26:27]
	; wave barrier
	s_waitcnt lgkmcnt(0)
	s_barrier
	ds_read2_b64 v[1:4], v71 offset0:2 offset1:3
	s_waitcnt lgkmcnt(0)
	v_add_u32_e32 v28, v2, v1
	v_add3_u32 v4, v28, v3, v4
	s_nop 1
	v_mov_b32_dpp v28, v4 row_shr:1 row_mask:0xf bank_mask:0xf
	v_cndmask_b32_e64 v28, v28, 0, s[10:11]
	v_add_u32_e32 v4, v28, v4
	s_nop 1
	v_mov_b32_dpp v28, v4 row_shr:2 row_mask:0xf bank_mask:0xf
	v_cndmask_b32_e64 v28, 0, v28, s[12:13]
	v_add_u32_e32 v4, v4, v28
	;; [unrolled: 4-line block ×4, first 2 shown]
	s_nop 1
	v_mov_b32_dpp v28, v4 row_bcast:15 row_mask:0xf bank_mask:0xf
	v_cndmask_b32_e64 v28, v28, 0, s[18:19]
	v_add_u32_e32 v4, v4, v28
	s_nop 1
	v_mov_b32_dpp v28, v4 row_bcast:31 row_mask:0xf bank_mask:0xf
	v_cndmask_b32_e64 v28, 0, v28, s[6:7]
	v_add_u32_e32 v4, v4, v28
	s_and_saveexec_b64 s[26:27], s[20:21]
; %bb.21:                               ;   in Loop: Header=BB367_4 Depth=2
	ds_write_b32 v73, v4
; %bb.22:                               ;   in Loop: Header=BB367_4 Depth=2
	s_or_b64 exec, exec, s[26:27]
	s_waitcnt lgkmcnt(0)
	s_barrier
	s_and_saveexec_b64 s[26:27], s[0:1]
	s_cbranch_execz .LBB367_24
; %bb.23:                               ;   in Loop: Header=BB367_4 Depth=2
	ds_read_b32 v28, v74
	s_waitcnt lgkmcnt(0)
	s_nop 0
	v_mov_b32_dpp v29, v28 row_shr:1 row_mask:0xf bank_mask:0xf
	v_cndmask_b32_e64 v29, v29, 0, s[22:23]
	v_add_u32_e32 v28, v29, v28
	s_nop 1
	v_mov_b32_dpp v29, v28 row_shr:2 row_mask:0xf bank_mask:0xf
	v_cndmask_b32_e64 v29, 0, v29, s[24:25]
	v_add_u32_e32 v28, v28, v29
	ds_write_b32 v74, v28
.LBB367_24:                             ;   in Loop: Header=BB367_4 Depth=2
	s_or_b64 exec, exec, s[26:27]
	v_mov_b32_e32 v28, 0
	s_waitcnt lgkmcnt(0)
	s_barrier
	s_and_saveexec_b64 s[26:27], s[2:3]
; %bb.25:                               ;   in Loop: Header=BB367_4 Depth=2
	ds_read_b32 v28, v76
; %bb.26:                               ;   in Loop: Header=BB367_4 Depth=2
	s_or_b64 exec, exec, s[26:27]
	s_waitcnt lgkmcnt(0)
	v_add_u32_e32 v4, v28, v4
	ds_bpermute_b32 v4, v77, v4
	v_lshlrev_b32_e32 v5, 3, v5
	s_cmp_gt_u32 s37, 55
	s_mov_b64 s[26:27], -1
	s_waitcnt lgkmcnt(0)
	v_cndmask_b32_e64 v4, v4, v28, s[8:9]
	v_cndmask_b32_e64 v28, v4, 0, s[4:5]
	v_add_u32_e32 v29, v28, v1
	v_add_u32_e32 v1, v29, v2
	;; [unrolled: 1-line block ×3, first 2 shown]
	ds_write2_b64 v71, v[28:29], v[1:2] offset0:2 offset1:3
	s_waitcnt lgkmcnt(0)
	s_barrier
	ds_read_b32 v1, v6 offset:16
	ds_read_b32 v2, v8 offset:16
	;; [unrolled: 1-line block ×8, first 2 shown]
	s_waitcnt lgkmcnt(7)
	v_lshl_add_u32 v36, v1, 3, v5
	v_lshlrev_b32_e32 v1, 3, v9
	v_lshlrev_b32_e32 v5, 3, v7
	s_waitcnt lgkmcnt(6)
	v_lshlrev_b32_e32 v2, 3, v2
	v_add3_u32 v80, v1, v5, v2
	v_lshlrev_b32_e32 v1, 3, v12
	v_lshlrev_b32_e32 v2, 3, v10
	s_waitcnt lgkmcnt(5)
	v_lshlrev_b32_e32 v3, 3, v3
	v_add3_u32 v81, v1, v2, v3
	;; [unrolled: 5-line block ×7, first 2 shown]
                                        ; implicit-def: $vgpr17_vgpr18
                                        ; implicit-def: $vgpr21_vgpr22
                                        ; implicit-def: $vgpr25_vgpr26
                                        ; implicit-def: $vgpr29_vgpr30
                                        ; implicit-def: $vgpr1_vgpr2
                                        ; implicit-def: $vgpr5_vgpr6
                                        ; implicit-def: $vgpr9_vgpr10
                                        ; implicit-def: $vgpr13_vgpr14
	s_cbranch_scc1 .LBB367_3
; %bb.27:                               ;   in Loop: Header=BB367_4 Depth=2
	s_barrier
	ds_write_b64 v36, v[69:70]
	ds_write_b64 v80, v[67:68]
	;; [unrolled: 1-line block ×8, first 2 shown]
	s_waitcnt lgkmcnt(0)
	s_barrier
	ds_read2st64_b64 v[1:4], v75 offset1:1
	ds_read2st64_b64 v[5:8], v75 offset0:2 offset1:3
	ds_read2st64_b64 v[9:12], v75 offset0:4 offset1:5
	;; [unrolled: 1-line block ×3, first 2 shown]
	s_waitcnt lgkmcnt(0)
	s_barrier
	ds_write_b64 v36, v[53:54]
	ds_write_b64 v80, v[51:52]
	;; [unrolled: 1-line block ×8, first 2 shown]
	s_waitcnt lgkmcnt(0)
	s_barrier
	ds_read2st64_b64 v[17:20], v75 offset1:1
	ds_read2st64_b64 v[21:24], v75 offset0:2 offset1:3
	ds_read2st64_b64 v[25:28], v75 offset0:4 offset1:5
	;; [unrolled: 1-line block ×3, first 2 shown]
	s_add_i32 s36, s36, -8
	s_add_i32 s33, s33, 8
	s_add_i32 s37, s37, 8
	s_mov_b64 s[26:27], 0
	s_waitcnt lgkmcnt(0)
	s_barrier
	s_branch .LBB367_3
.LBB367_28:
	s_add_u32 s0, s38, s34
	s_addc_u32 s1, s39, s35
	v_lshlrev_b32_e32 v0, 3, v0
	s_waitcnt lgkmcnt(3)
	v_add_u32_e32 v1, v3, v19
	v_add_u32_e32 v2, v4, v20
	v_add_u32_e32 v3, v5, v21
	v_add_u32_e32 v4, v6, v22
	s_waitcnt lgkmcnt(2)
	v_add_u32_e32 v5, v7, v23
	v_add_u32_e32 v6, v8, v24
	v_add_u32_e32 v7, v9, v25
	v_add_u32_e32 v8, v10, v26
	;; [unrolled: 5-line block ×4, first 2 shown]
	v_mov_b32_e32 v17, s1
	v_add_co_u32_e32 v18, vcc, s0, v0
	v_addc_co_u32_e32 v17, vcc, 0, v17, vcc
	global_store_dwordx2 v0, v[1:2], s[0:1]
	global_store_dwordx2 v0, v[3:4], s[0:1] offset:2048
	s_movk_i32 s0, 0x1000
	v_add_co_u32_e32 v0, vcc, s0, v18
	v_addc_co_u32_e32 v1, vcc, 0, v17, vcc
	s_movk_i32 s0, 0x2000
	v_add_co_u32_e32 v2, vcc, s0, v18
	v_addc_co_u32_e32 v3, vcc, 0, v17, vcc
	global_store_dwordx2 v[2:3], v[5:6], off offset:-4096
	global_store_dwordx2 v[0:1], v[7:8], off offset:2048
	global_store_dwordx2 v[2:3], v[9:10], off
	global_store_dwordx2 v[2:3], v[11:12], off offset:2048
	v_add_co_u32_e32 v0, vcc, 0x3000, v18
	v_addc_co_u32_e32 v1, vcc, 0, v17, vcc
	global_store_dwordx2 v[0:1], v[13:14], off
	global_store_dwordx2 v[0:1], v[15:16], off offset:2048
	s_endpgm
	.section	.rodata,"a",@progbits
	.p2align	6, 0x0
	.amdhsa_kernel _Z17sort_pairs_kernelI22helper_blocked_stripedN15benchmark_utils11custom_typeIiiEELj256ELj8ELj10EEvPKT0_PS4_
		.amdhsa_group_segment_fixed_size 16384
		.amdhsa_private_segment_fixed_size 0
		.amdhsa_kernarg_size 272
		.amdhsa_user_sgpr_count 6
		.amdhsa_user_sgpr_private_segment_buffer 1
		.amdhsa_user_sgpr_dispatch_ptr 0
		.amdhsa_user_sgpr_queue_ptr 0
		.amdhsa_user_sgpr_kernarg_segment_ptr 1
		.amdhsa_user_sgpr_dispatch_id 0
		.amdhsa_user_sgpr_flat_scratch_init 0
		.amdhsa_user_sgpr_private_segment_size 0
		.amdhsa_uses_dynamic_stack 0
		.amdhsa_system_sgpr_private_segment_wavefront_offset 0
		.amdhsa_system_sgpr_workgroup_id_x 1
		.amdhsa_system_sgpr_workgroup_id_y 0
		.amdhsa_system_sgpr_workgroup_id_z 0
		.amdhsa_system_sgpr_workgroup_info 0
		.amdhsa_system_vgpr_workitem_id 2
		.amdhsa_next_free_vgpr 87
		.amdhsa_next_free_sgpr 98
		.amdhsa_reserve_vcc 1
		.amdhsa_reserve_flat_scratch 0
		.amdhsa_float_round_mode_32 0
		.amdhsa_float_round_mode_16_64 0
		.amdhsa_float_denorm_mode_32 3
		.amdhsa_float_denorm_mode_16_64 3
		.amdhsa_dx10_clamp 1
		.amdhsa_ieee_mode 1
		.amdhsa_fp16_overflow 0
		.amdhsa_exception_fp_ieee_invalid_op 0
		.amdhsa_exception_fp_denorm_src 0
		.amdhsa_exception_fp_ieee_div_zero 0
		.amdhsa_exception_fp_ieee_overflow 0
		.amdhsa_exception_fp_ieee_underflow 0
		.amdhsa_exception_fp_ieee_inexact 0
		.amdhsa_exception_int_div_zero 0
	.end_amdhsa_kernel
	.section	.text._Z17sort_pairs_kernelI22helper_blocked_stripedN15benchmark_utils11custom_typeIiiEELj256ELj8ELj10EEvPKT0_PS4_,"axG",@progbits,_Z17sort_pairs_kernelI22helper_blocked_stripedN15benchmark_utils11custom_typeIiiEELj256ELj8ELj10EEvPKT0_PS4_,comdat
.Lfunc_end367:
	.size	_Z17sort_pairs_kernelI22helper_blocked_stripedN15benchmark_utils11custom_typeIiiEELj256ELj8ELj10EEvPKT0_PS4_, .Lfunc_end367-_Z17sort_pairs_kernelI22helper_blocked_stripedN15benchmark_utils11custom_typeIiiEELj256ELj8ELj10EEvPKT0_PS4_
                                        ; -- End function
	.set _Z17sort_pairs_kernelI22helper_blocked_stripedN15benchmark_utils11custom_typeIiiEELj256ELj8ELj10EEvPKT0_PS4_.num_vgpr, 87
	.set _Z17sort_pairs_kernelI22helper_blocked_stripedN15benchmark_utils11custom_typeIiiEELj256ELj8ELj10EEvPKT0_PS4_.num_agpr, 0
	.set _Z17sort_pairs_kernelI22helper_blocked_stripedN15benchmark_utils11custom_typeIiiEELj256ELj8ELj10EEvPKT0_PS4_.numbered_sgpr, 45
	.set _Z17sort_pairs_kernelI22helper_blocked_stripedN15benchmark_utils11custom_typeIiiEELj256ELj8ELj10EEvPKT0_PS4_.num_named_barrier, 0
	.set _Z17sort_pairs_kernelI22helper_blocked_stripedN15benchmark_utils11custom_typeIiiEELj256ELj8ELj10EEvPKT0_PS4_.private_seg_size, 0
	.set _Z17sort_pairs_kernelI22helper_blocked_stripedN15benchmark_utils11custom_typeIiiEELj256ELj8ELj10EEvPKT0_PS4_.uses_vcc, 1
	.set _Z17sort_pairs_kernelI22helper_blocked_stripedN15benchmark_utils11custom_typeIiiEELj256ELj8ELj10EEvPKT0_PS4_.uses_flat_scratch, 0
	.set _Z17sort_pairs_kernelI22helper_blocked_stripedN15benchmark_utils11custom_typeIiiEELj256ELj8ELj10EEvPKT0_PS4_.has_dyn_sized_stack, 0
	.set _Z17sort_pairs_kernelI22helper_blocked_stripedN15benchmark_utils11custom_typeIiiEELj256ELj8ELj10EEvPKT0_PS4_.has_recursion, 0
	.set _Z17sort_pairs_kernelI22helper_blocked_stripedN15benchmark_utils11custom_typeIiiEELj256ELj8ELj10EEvPKT0_PS4_.has_indirect_call, 0
	.section	.AMDGPU.csdata,"",@progbits
; Kernel info:
; codeLenInByte = 5796
; TotalNumSgprs: 49
; NumVgprs: 87
; ScratchSize: 0
; MemoryBound: 0
; FloatMode: 240
; IeeeMode: 1
; LDSByteSize: 16384 bytes/workgroup (compile time only)
; SGPRBlocks: 12
; VGPRBlocks: 21
; NumSGPRsForWavesPerEU: 102
; NumVGPRsForWavesPerEU: 87
; Occupancy: 2
; WaveLimiterHint : 1
; COMPUTE_PGM_RSRC2:SCRATCH_EN: 0
; COMPUTE_PGM_RSRC2:USER_SGPR: 6
; COMPUTE_PGM_RSRC2:TRAP_HANDLER: 0
; COMPUTE_PGM_RSRC2:TGID_X_EN: 1
; COMPUTE_PGM_RSRC2:TGID_Y_EN: 0
; COMPUTE_PGM_RSRC2:TGID_Z_EN: 0
; COMPUTE_PGM_RSRC2:TIDIG_COMP_CNT: 2
	.section	.text._Z16sort_keys_kernelI22helper_blocked_stripedN15benchmark_utils11custom_typeIiiEELj320ELj1ELj10EEvPKT0_PS4_,"axG",@progbits,_Z16sort_keys_kernelI22helper_blocked_stripedN15benchmark_utils11custom_typeIiiEELj320ELj1ELj10EEvPKT0_PS4_,comdat
	.protected	_Z16sort_keys_kernelI22helper_blocked_stripedN15benchmark_utils11custom_typeIiiEELj320ELj1ELj10EEvPKT0_PS4_ ; -- Begin function _Z16sort_keys_kernelI22helper_blocked_stripedN15benchmark_utils11custom_typeIiiEELj320ELj1ELj10EEvPKT0_PS4_
	.globl	_Z16sort_keys_kernelI22helper_blocked_stripedN15benchmark_utils11custom_typeIiiEELj320ELj1ELj10EEvPKT0_PS4_
	.p2align	8
	.type	_Z16sort_keys_kernelI22helper_blocked_stripedN15benchmark_utils11custom_typeIiiEELj320ELj1ELj10EEvPKT0_PS4_,@function
_Z16sort_keys_kernelI22helper_blocked_stripedN15benchmark_utils11custom_typeIiiEELj320ELj1ELj10EEvPKT0_PS4_: ; @_Z16sort_keys_kernelI22helper_blocked_stripedN15benchmark_utils11custom_typeIiiEELj320ELj1ELj10EEvPKT0_PS4_
; %bb.0:
	s_load_dwordx4 s[28:31], s[4:5], 0x0
	s_load_dword s26, s[4:5], 0x1c
	s_mul_i32 s0, s6, 0x140
	s_mov_b32 s1, 0
	s_lshl_b64 s[34:35], s[0:1], 3
	s_waitcnt lgkmcnt(0)
	s_add_u32 s0, s28, s34
	s_addc_u32 s1, s29, s35
	v_lshlrev_b32_e32 v3, 3, v0
	global_load_dwordx2 v[3:4], v3, s[0:1]
	v_mbcnt_lo_u32_b32 v5, -1, 0
	v_mbcnt_hi_u32_b32 v5, -1, v5
	v_subrev_co_u32_e64 v23, s[6:7], 1, v5
	v_and_b32_e32 v24, 64, v5
	v_lshrrev_b32_e32 v7, 4, v0
	v_cmp_lt_i32_e64 s[24:25], v23, v24
	v_and_b32_e32 v19, 28, v7
	v_cndmask_b32_e64 v7, v23, v5, s[24:25]
	s_lshr_b32 s24, s26, 16
	s_and_b32 s25, s26, 0xffff
	v_mad_u32_u24 v1, v2, s24, v1
	v_mad_u64_u32 v[1:2], s[24:25], v1, s25, v[0:1]
	v_and_b32_e32 v6, 0x1c0, v0
	v_lshlrev_b32_e32 v18, 4, v0
	v_and_b32_e32 v21, 15, v5
	v_lshlrev_b32_e32 v26, 3, v6
	v_min_u32_e32 v6, 0x100, v6
	v_lshlrev_b32_e32 v8, 2, v0
	v_and_b32_e32 v22, 16, v5
	v_cmp_lt_u32_e64 s[4:5], 31, v5
	v_and_b32_e32 v25, 7, v5
	v_mad_i32_i24 v20, v0, -12, v18
	v_cmp_eq_u32_e64 s[8:9], 0, v21
	v_cmp_lt_u32_e64 s[10:11], 1, v21
	v_cmp_lt_u32_e64 s[12:13], 3, v21
	;; [unrolled: 1-line block ×3, first 2 shown]
	v_lshl_add_u32 v21, v5, 3, v26
	v_or_b32_e32 v5, 63, v6
	v_lshrrev_b32_e32 v1, 4, v1
	s_mov_b32 s33, 10
	s_movk_i32 s36, 0xff
	v_mov_b32_e32 v9, 20
	v_mov_b32_e32 v10, 1
	;; [unrolled: 1-line block ×9, first 2 shown]
	v_cmp_gt_u32_e32 vcc, 5, v0
	v_cmp_lt_u32_e64 s[0:1], 63, v0
	v_cmp_eq_u32_e64 s[2:3], 0, v0
	v_cmp_eq_u32_e64 s[16:17], 0, v22
	;; [unrolled: 1-line block ×3, first 2 shown]
	v_cmp_lt_u32_e64 s[20:21], 1, v25
	v_cmp_lt_u32_e64 s[22:23], 3, v25
	v_add_u32_e32 v22, v20, v8
	v_add_u32_e32 v23, -4, v19
	v_cmp_eq_u32_e64 s[24:25], v0, v5
	v_lshlrev_b32_e32 v24, 2, v7
	v_and_b32_e32 v25, 0xffffffc, v1
	v_mov_b32_e32 v1, 0
	s_waitcnt vmcnt(0)
	v_xor_b32_e32 v3, 0x80000000, v3
	v_xor_b32_e32 v4, 0x80000000, v4
	s_branch .LBB368_2
.LBB368_1:                              ;   in Loop: Header=BB368_2 Depth=1
	s_or_b64 exec, exec, s[26:27]
	s_waitcnt lgkmcnt(0)
	v_add_u32_e32 v6, v27, v6
	ds_bpermute_b32 v6, v24, v6
	v_lshlrev_b32_e32 v2, 3, v2
	s_add_i32 s33, s33, -1
	s_cmp_eq_u32 s33, 0
	s_waitcnt lgkmcnt(0)
	v_cndmask_b32_e64 v6, v6, v27, s[6:7]
	v_cndmask_b32_e64 v6, v6, 0, s[2:3]
	v_add_u32_e32 v7, v6, v7
	v_add_u32_e32 v8, v7, v8
	;; [unrolled: 1-line block ×3, first 2 shown]
	ds_write2_b32 v18, v6, v7 offset0:5 offset1:6
	ds_write2_b32 v18, v8, v5 offset0:7 offset1:8
	s_waitcnt lgkmcnt(0)
	s_barrier
	ds_read_b32 v5, v26 offset:20
	s_waitcnt lgkmcnt(0)
	s_barrier
	v_lshl_add_u32 v2, v5, 3, v2
	ds_write_b64 v2, v[3:4]
	s_waitcnt lgkmcnt(0)
	s_barrier
	ds_read_b64 v[3:4], v22
	s_cbranch_scc1 .LBB368_66
.LBB368_2:                              ; =>This Inner Loop Header: Depth=1
	s_waitcnt lgkmcnt(0)
	v_and_b32_e32 v2, 1, v4
	v_add_co_u32_e64 v5, s[26:27], -1, v2
	v_addc_co_u32_e64 v6, s[26:27], 0, -1, s[26:27]
	v_cmp_ne_u32_e64 s[26:27], 0, v2
	v_xor_b32_e32 v2, s27, v6
	v_and_b32_e32 v6, exec_hi, v2
	v_lshlrev_b32_e32 v2, 30, v4
	v_xor_b32_e32 v5, s26, v5
	v_cmp_gt_i64_e64 s[26:27], 0, v[1:2]
	v_not_b32_e32 v2, v2
	v_ashrrev_i32_e32 v2, 31, v2
	v_and_b32_e32 v5, exec_lo, v5
	v_xor_b32_e32 v8, s27, v2
	v_xor_b32_e32 v2, s26, v2
	v_and_b32_e32 v5, v5, v2
	v_lshlrev_b32_e32 v2, 29, v4
	v_cmp_gt_i64_e64 s[26:27], 0, v[1:2]
	v_not_b32_e32 v2, v2
	v_ashrrev_i32_e32 v2, 31, v2
	v_and_b32_e32 v6, v6, v8
	v_xor_b32_e32 v8, s27, v2
	v_xor_b32_e32 v2, s26, v2
	v_and_b32_e32 v5, v5, v2
	v_lshlrev_b32_e32 v2, 28, v4
	v_cmp_gt_i64_e64 s[26:27], 0, v[1:2]
	v_not_b32_e32 v2, v2
	v_ashrrev_i32_e32 v2, 31, v2
	v_and_b32_e32 v6, v6, v8
	v_xor_b32_e32 v8, s27, v2
	v_xor_b32_e32 v2, s26, v2
	v_and_b32_e32 v5, v5, v2
	v_lshlrev_b32_e32 v2, 27, v4
	v_cmp_gt_i64_e64 s[26:27], 0, v[1:2]
	v_not_b32_e32 v2, v2
	v_ashrrev_i32_e32 v2, 31, v2
	v_and_b32_e32 v6, v6, v8
	v_xor_b32_e32 v8, s27, v2
	v_xor_b32_e32 v2, s26, v2
	v_and_b32_e32 v5, v5, v2
	v_lshlrev_b32_e32 v2, 26, v4
	v_cmp_gt_i64_e64 s[26:27], 0, v[1:2]
	v_not_b32_e32 v2, v2
	v_ashrrev_i32_e32 v2, 31, v2
	v_and_b32_e32 v6, v6, v8
	v_xor_b32_e32 v8, s27, v2
	v_xor_b32_e32 v2, s26, v2
	v_and_b32_e32 v5, v5, v2
	v_lshlrev_b32_e32 v2, 25, v4
	v_cmp_gt_i64_e64 s[26:27], 0, v[1:2]
	v_not_b32_e32 v2, v2
	v_ashrrev_i32_e32 v2, 31, v2
	v_and_b32_e32 v6, v6, v8
	v_xor_b32_e32 v8, s27, v2
	v_xor_b32_e32 v2, s26, v2
	v_and_b32_e32 v5, v5, v2
	v_lshlrev_b32_e32 v2, 24, v4
	v_cmp_gt_i64_e64 s[26:27], 0, v[1:2]
	v_not_b32_e32 v2, v2
	v_ashrrev_i32_e32 v2, 31, v2
	v_and_b32_e32 v6, v6, v8
	v_xor_b32_e32 v8, s27, v2
	v_xor_b32_e32 v2, s26, v2
	v_and_b32_e32 v5, v5, v2
	v_and_b32_e32 v6, v6, v8
	v_mbcnt_lo_u32_b32 v2, v5, 0
	v_mbcnt_hi_u32_b32 v2, v6, v2
	v_cmp_ne_u64_e64 s[26:27], 0, v[5:6]
	v_mul_u32_u24_sdwa v7, v4, v9 dst_sel:DWORD dst_unused:UNUSED_PAD src0_sel:BYTE_0 src1_sel:DWORD
	v_cmp_eq_u32_e64 s[28:29], 0, v2
	s_and_b64 s[28:29], s[28:29], s[26:27]
	v_add_u32_e32 v26, v25, v7
	ds_write2_b32 v18, v1, v1 offset0:5 offset1:6
	ds_write2_b32 v18, v1, v1 offset0:7 offset1:8
	s_waitcnt lgkmcnt(0)
	s_barrier
	; wave barrier
	s_and_saveexec_b64 s[26:27], s[28:29]
; %bb.3:                                ;   in Loop: Header=BB368_2 Depth=1
	v_bcnt_u32_b32 v5, v5, 0
	v_bcnt_u32_b32 v5, v6, v5
	ds_write_b32 v26, v5 offset:20
; %bb.4:                                ;   in Loop: Header=BB368_2 Depth=1
	s_or_b64 exec, exec, s[26:27]
	; wave barrier
	s_waitcnt lgkmcnt(0)
	s_barrier
	ds_read2_b32 v[7:8], v18 offset0:5 offset1:6
	ds_read2_b32 v[5:6], v18 offset0:7 offset1:8
	s_waitcnt lgkmcnt(1)
	v_add_u32_e32 v27, v8, v7
	s_waitcnt lgkmcnt(0)
	v_add3_u32 v6, v27, v5, v6
	s_nop 1
	v_mov_b32_dpp v27, v6 row_shr:1 row_mask:0xf bank_mask:0xf
	v_cndmask_b32_e64 v27, v27, 0, s[8:9]
	v_add_u32_e32 v6, v27, v6
	s_nop 1
	v_mov_b32_dpp v27, v6 row_shr:2 row_mask:0xf bank_mask:0xf
	v_cndmask_b32_e64 v27, 0, v27, s[10:11]
	v_add_u32_e32 v6, v6, v27
	s_nop 1
	v_mov_b32_dpp v27, v6 row_shr:4 row_mask:0xf bank_mask:0xf
	v_cndmask_b32_e64 v27, 0, v27, s[12:13]
	v_add_u32_e32 v6, v6, v27
	s_nop 1
	v_mov_b32_dpp v27, v6 row_shr:8 row_mask:0xf bank_mask:0xf
	v_cndmask_b32_e64 v27, 0, v27, s[14:15]
	v_add_u32_e32 v6, v6, v27
	s_nop 1
	v_mov_b32_dpp v27, v6 row_bcast:15 row_mask:0xf bank_mask:0xf
	v_cndmask_b32_e64 v27, v27, 0, s[16:17]
	v_add_u32_e32 v6, v6, v27
	s_nop 1
	v_mov_b32_dpp v27, v6 row_bcast:31 row_mask:0xf bank_mask:0xf
	v_cndmask_b32_e64 v27, 0, v27, s[4:5]
	v_add_u32_e32 v6, v6, v27
	s_and_saveexec_b64 s[26:27], s[24:25]
; %bb.5:                                ;   in Loop: Header=BB368_2 Depth=1
	ds_write_b32 v19, v6
; %bb.6:                                ;   in Loop: Header=BB368_2 Depth=1
	s_or_b64 exec, exec, s[26:27]
	s_waitcnt lgkmcnt(0)
	s_barrier
	s_and_saveexec_b64 s[26:27], vcc
	s_cbranch_execz .LBB368_8
; %bb.7:                                ;   in Loop: Header=BB368_2 Depth=1
	ds_read_b32 v27, v20
	s_waitcnt lgkmcnt(0)
	s_nop 0
	v_mov_b32_dpp v28, v27 row_shr:1 row_mask:0xf bank_mask:0xf
	v_cndmask_b32_e64 v28, v28, 0, s[18:19]
	v_add_u32_e32 v27, v28, v27
	s_nop 1
	v_mov_b32_dpp v28, v27 row_shr:2 row_mask:0xf bank_mask:0xf
	v_cndmask_b32_e64 v28, 0, v28, s[20:21]
	v_add_u32_e32 v27, v27, v28
	;; [unrolled: 4-line block ×3, first 2 shown]
	ds_write_b32 v20, v27
.LBB368_8:                              ;   in Loop: Header=BB368_2 Depth=1
	s_or_b64 exec, exec, s[26:27]
	v_mov_b32_e32 v27, 0
	s_waitcnt lgkmcnt(0)
	s_barrier
	s_and_saveexec_b64 s[26:27], s[0:1]
; %bb.9:                                ;   in Loop: Header=BB368_2 Depth=1
	ds_read_b32 v27, v23
; %bb.10:                               ;   in Loop: Header=BB368_2 Depth=1
	s_or_b64 exec, exec, s[26:27]
	s_waitcnt lgkmcnt(0)
	v_add_u32_e32 v6, v27, v6
	ds_bpermute_b32 v6, v24, v6
	v_lshlrev_b32_e32 v2, 3, v2
	s_waitcnt lgkmcnt(0)
	v_cndmask_b32_e64 v6, v6, v27, s[6:7]
	v_cndmask_b32_e64 v6, v6, 0, s[2:3]
	v_add_u32_e32 v7, v6, v7
	v_add_u32_e32 v8, v7, v8
	;; [unrolled: 1-line block ×3, first 2 shown]
	ds_write2_b32 v18, v6, v7 offset0:5 offset1:6
	ds_write2_b32 v18, v8, v5 offset0:7 offset1:8
	s_waitcnt lgkmcnt(0)
	s_barrier
	ds_read_b32 v5, v26 offset:20
	s_waitcnt lgkmcnt(0)
	s_barrier
	v_lshl_add_u32 v2, v5, 3, v2
	ds_write_b64 v2, v[3:4]
	s_waitcnt lgkmcnt(0)
	s_barrier
	ds_read_b64 v[3:4], v21
	s_waitcnt lgkmcnt(0)
	s_barrier
	ds_write2_b32 v18, v1, v1 offset0:5 offset1:6
	ds_write2_b32 v18, v1, v1 offset0:7 offset1:8
	v_lshrrev_b32_e32 v5, 8, v4
	v_and_b32_e32 v2, 1, v5
	v_add_co_u32_e64 v6, s[26:27], -1, v2
	v_addc_co_u32_e64 v8, s[26:27], 0, -1, s[26:27]
	v_cmp_ne_u32_e64 s[26:27], 0, v2
	v_xor_b32_e32 v2, s27, v8
	v_and_b32_e32 v8, exec_hi, v2
	v_lshlrev_b32_e32 v2, 30, v5
	v_xor_b32_e32 v6, s26, v6
	v_cmp_gt_i64_e64 s[26:27], 0, v[1:2]
	v_not_b32_e32 v2, v2
	v_ashrrev_i32_e32 v2, 31, v2
	v_and_b32_e32 v6, exec_lo, v6
	v_xor_b32_e32 v26, s27, v2
	v_xor_b32_e32 v2, s26, v2
	v_and_b32_e32 v6, v6, v2
	v_lshlrev_b32_e32 v2, 29, v5
	v_cmp_gt_i64_e64 s[26:27], 0, v[1:2]
	v_not_b32_e32 v2, v2
	v_ashrrev_i32_e32 v2, 31, v2
	v_and_b32_e32 v8, v8, v26
	v_xor_b32_e32 v26, s27, v2
	v_xor_b32_e32 v2, s26, v2
	v_and_b32_e32 v6, v6, v2
	v_lshlrev_b32_e32 v2, 28, v5
	v_cmp_gt_i64_e64 s[26:27], 0, v[1:2]
	v_not_b32_e32 v2, v2
	v_ashrrev_i32_e32 v2, 31, v2
	v_and_b32_e32 v8, v8, v26
	;; [unrolled: 8-line block ×5, first 2 shown]
	v_xor_b32_e32 v26, s27, v2
	v_xor_b32_e32 v2, s26, v2
	v_and_b32_e32 v8, v8, v26
	v_and_b32_e32 v26, v6, v2
	v_lshlrev_b32_e32 v2, 24, v5
	v_cmp_gt_i64_e64 s[26:27], 0, v[1:2]
	v_not_b32_e32 v2, v2
	v_ashrrev_i32_e32 v2, 31, v2
	v_mul_u32_u24_sdwa v7, v5, v9 dst_sel:DWORD dst_unused:UNUSED_PAD src0_sel:BYTE_0 src1_sel:DWORD
	v_xor_b32_e32 v5, s27, v2
	v_xor_b32_e32 v2, s26, v2
	v_and_b32_e32 v6, v8, v5
	v_and_b32_e32 v5, v26, v2
	v_mbcnt_lo_u32_b32 v2, v5, 0
	v_mbcnt_hi_u32_b32 v2, v6, v2
	v_cmp_ne_u64_e64 s[26:27], 0, v[5:6]
	v_cmp_eq_u32_e64 s[28:29], 0, v2
	s_and_b64 s[28:29], s[28:29], s[26:27]
	v_add_u32_e32 v26, v25, v7
	s_waitcnt lgkmcnt(0)
	s_barrier
	; wave barrier
	s_and_saveexec_b64 s[26:27], s[28:29]
; %bb.11:                               ;   in Loop: Header=BB368_2 Depth=1
	v_bcnt_u32_b32 v5, v5, 0
	v_bcnt_u32_b32 v5, v6, v5
	ds_write_b32 v26, v5 offset:20
; %bb.12:                               ;   in Loop: Header=BB368_2 Depth=1
	s_or_b64 exec, exec, s[26:27]
	; wave barrier
	s_waitcnt lgkmcnt(0)
	s_barrier
	ds_read2_b32 v[7:8], v18 offset0:5 offset1:6
	ds_read2_b32 v[5:6], v18 offset0:7 offset1:8
	s_waitcnt lgkmcnt(1)
	v_add_u32_e32 v27, v8, v7
	s_waitcnt lgkmcnt(0)
	v_add3_u32 v6, v27, v5, v6
	s_nop 1
	v_mov_b32_dpp v27, v6 row_shr:1 row_mask:0xf bank_mask:0xf
	v_cndmask_b32_e64 v27, v27, 0, s[8:9]
	v_add_u32_e32 v6, v27, v6
	s_nop 1
	v_mov_b32_dpp v27, v6 row_shr:2 row_mask:0xf bank_mask:0xf
	v_cndmask_b32_e64 v27, 0, v27, s[10:11]
	v_add_u32_e32 v6, v6, v27
	;; [unrolled: 4-line block ×4, first 2 shown]
	s_nop 1
	v_mov_b32_dpp v27, v6 row_bcast:15 row_mask:0xf bank_mask:0xf
	v_cndmask_b32_e64 v27, v27, 0, s[16:17]
	v_add_u32_e32 v6, v6, v27
	s_nop 1
	v_mov_b32_dpp v27, v6 row_bcast:31 row_mask:0xf bank_mask:0xf
	v_cndmask_b32_e64 v27, 0, v27, s[4:5]
	v_add_u32_e32 v6, v6, v27
	s_and_saveexec_b64 s[26:27], s[24:25]
; %bb.13:                               ;   in Loop: Header=BB368_2 Depth=1
	ds_write_b32 v19, v6
; %bb.14:                               ;   in Loop: Header=BB368_2 Depth=1
	s_or_b64 exec, exec, s[26:27]
	s_waitcnt lgkmcnt(0)
	s_barrier
	s_and_saveexec_b64 s[26:27], vcc
	s_cbranch_execz .LBB368_16
; %bb.15:                               ;   in Loop: Header=BB368_2 Depth=1
	ds_read_b32 v27, v20
	s_waitcnt lgkmcnt(0)
	s_nop 0
	v_mov_b32_dpp v28, v27 row_shr:1 row_mask:0xf bank_mask:0xf
	v_cndmask_b32_e64 v28, v28, 0, s[18:19]
	v_add_u32_e32 v27, v28, v27
	s_nop 1
	v_mov_b32_dpp v28, v27 row_shr:2 row_mask:0xf bank_mask:0xf
	v_cndmask_b32_e64 v28, 0, v28, s[20:21]
	v_add_u32_e32 v27, v27, v28
	;; [unrolled: 4-line block ×3, first 2 shown]
	ds_write_b32 v20, v27
.LBB368_16:                             ;   in Loop: Header=BB368_2 Depth=1
	s_or_b64 exec, exec, s[26:27]
	v_mov_b32_e32 v27, 0
	s_waitcnt lgkmcnt(0)
	s_barrier
	s_and_saveexec_b64 s[26:27], s[0:1]
; %bb.17:                               ;   in Loop: Header=BB368_2 Depth=1
	ds_read_b32 v27, v23
; %bb.18:                               ;   in Loop: Header=BB368_2 Depth=1
	s_or_b64 exec, exec, s[26:27]
	s_waitcnt lgkmcnt(0)
	v_add_u32_e32 v6, v27, v6
	ds_bpermute_b32 v6, v24, v6
	v_lshlrev_b32_e32 v2, 3, v2
	s_waitcnt lgkmcnt(0)
	v_cndmask_b32_e64 v6, v6, v27, s[6:7]
	v_cndmask_b32_e64 v6, v6, 0, s[2:3]
	v_add_u32_e32 v7, v6, v7
	v_add_u32_e32 v8, v7, v8
	;; [unrolled: 1-line block ×3, first 2 shown]
	ds_write2_b32 v18, v6, v7 offset0:5 offset1:6
	ds_write2_b32 v18, v8, v5 offset0:7 offset1:8
	s_waitcnt lgkmcnt(0)
	s_barrier
	ds_read_b32 v5, v26 offset:20
	s_waitcnt lgkmcnt(0)
	s_barrier
	v_lshl_add_u32 v2, v5, 3, v2
	ds_write_b64 v2, v[3:4]
	s_waitcnt lgkmcnt(0)
	s_barrier
	ds_read_b64 v[3:4], v21
	s_waitcnt lgkmcnt(0)
	s_barrier
	ds_write2_b32 v18, v1, v1 offset0:5 offset1:6
	ds_write2_b32 v18, v1, v1 offset0:7 offset1:8
	v_and_b32_sdwa v2, v4, s36 dst_sel:DWORD dst_unused:UNUSED_PAD src0_sel:WORD_1 src1_sel:DWORD
	v_mul_u32_u24_e32 v7, 20, v2
	v_and_b32_sdwa v2, v4, v10 dst_sel:DWORD dst_unused:UNUSED_PAD src0_sel:WORD_1 src1_sel:DWORD
	v_add_co_u32_e64 v5, s[26:27], -1, v2
	v_addc_co_u32_e64 v6, s[26:27], 0, -1, s[26:27]
	v_cmp_ne_u32_e64 s[26:27], 0, v2
	v_xor_b32_e32 v2, s27, v6
	v_and_b32_e32 v6, exec_hi, v2
	v_lshlrev_b32_sdwa v2, v11, v4 dst_sel:DWORD dst_unused:UNUSED_PAD src0_sel:DWORD src1_sel:WORD_1
	v_xor_b32_e32 v5, s26, v5
	v_cmp_gt_i64_e64 s[26:27], 0, v[1:2]
	v_not_b32_e32 v2, v2
	v_ashrrev_i32_e32 v2, 31, v2
	v_and_b32_e32 v5, exec_lo, v5
	v_xor_b32_e32 v8, s27, v2
	v_xor_b32_e32 v2, s26, v2
	v_and_b32_e32 v5, v5, v2
	v_lshlrev_b32_sdwa v2, v12, v4 dst_sel:DWORD dst_unused:UNUSED_PAD src0_sel:DWORD src1_sel:WORD_1
	v_cmp_gt_i64_e64 s[26:27], 0, v[1:2]
	v_not_b32_e32 v2, v2
	v_ashrrev_i32_e32 v2, 31, v2
	v_and_b32_e32 v6, v6, v8
	v_xor_b32_e32 v8, s27, v2
	v_xor_b32_e32 v2, s26, v2
	v_and_b32_e32 v5, v5, v2
	v_lshlrev_b32_sdwa v2, v13, v4 dst_sel:DWORD dst_unused:UNUSED_PAD src0_sel:DWORD src1_sel:WORD_1
	v_cmp_gt_i64_e64 s[26:27], 0, v[1:2]
	v_not_b32_e32 v2, v2
	v_ashrrev_i32_e32 v2, 31, v2
	v_and_b32_e32 v6, v6, v8
	;; [unrolled: 8-line block ×6, first 2 shown]
	v_xor_b32_e32 v8, s27, v2
	v_xor_b32_e32 v2, s26, v2
	v_and_b32_e32 v5, v5, v2
	v_and_b32_e32 v6, v6, v8
	v_mbcnt_lo_u32_b32 v2, v5, 0
	v_mbcnt_hi_u32_b32 v2, v6, v2
	v_cmp_ne_u64_e64 s[26:27], 0, v[5:6]
	v_cmp_eq_u32_e64 s[28:29], 0, v2
	s_and_b64 s[28:29], s[28:29], s[26:27]
	v_add_u32_e32 v26, v25, v7
	s_waitcnt lgkmcnt(0)
	s_barrier
	; wave barrier
	s_and_saveexec_b64 s[26:27], s[28:29]
; %bb.19:                               ;   in Loop: Header=BB368_2 Depth=1
	v_bcnt_u32_b32 v5, v5, 0
	v_bcnt_u32_b32 v5, v6, v5
	ds_write_b32 v26, v5 offset:20
; %bb.20:                               ;   in Loop: Header=BB368_2 Depth=1
	s_or_b64 exec, exec, s[26:27]
	; wave barrier
	s_waitcnt lgkmcnt(0)
	s_barrier
	ds_read2_b32 v[7:8], v18 offset0:5 offset1:6
	ds_read2_b32 v[5:6], v18 offset0:7 offset1:8
	s_waitcnt lgkmcnt(1)
	v_add_u32_e32 v27, v8, v7
	s_waitcnt lgkmcnt(0)
	v_add3_u32 v6, v27, v5, v6
	s_nop 1
	v_mov_b32_dpp v27, v6 row_shr:1 row_mask:0xf bank_mask:0xf
	v_cndmask_b32_e64 v27, v27, 0, s[8:9]
	v_add_u32_e32 v6, v27, v6
	s_nop 1
	v_mov_b32_dpp v27, v6 row_shr:2 row_mask:0xf bank_mask:0xf
	v_cndmask_b32_e64 v27, 0, v27, s[10:11]
	v_add_u32_e32 v6, v6, v27
	;; [unrolled: 4-line block ×4, first 2 shown]
	s_nop 1
	v_mov_b32_dpp v27, v6 row_bcast:15 row_mask:0xf bank_mask:0xf
	v_cndmask_b32_e64 v27, v27, 0, s[16:17]
	v_add_u32_e32 v6, v6, v27
	s_nop 1
	v_mov_b32_dpp v27, v6 row_bcast:31 row_mask:0xf bank_mask:0xf
	v_cndmask_b32_e64 v27, 0, v27, s[4:5]
	v_add_u32_e32 v6, v6, v27
	s_and_saveexec_b64 s[26:27], s[24:25]
; %bb.21:                               ;   in Loop: Header=BB368_2 Depth=1
	ds_write_b32 v19, v6
; %bb.22:                               ;   in Loop: Header=BB368_2 Depth=1
	s_or_b64 exec, exec, s[26:27]
	s_waitcnt lgkmcnt(0)
	s_barrier
	s_and_saveexec_b64 s[26:27], vcc
	s_cbranch_execz .LBB368_24
; %bb.23:                               ;   in Loop: Header=BB368_2 Depth=1
	ds_read_b32 v27, v20
	s_waitcnt lgkmcnt(0)
	s_nop 0
	v_mov_b32_dpp v28, v27 row_shr:1 row_mask:0xf bank_mask:0xf
	v_cndmask_b32_e64 v28, v28, 0, s[18:19]
	v_add_u32_e32 v27, v28, v27
	s_nop 1
	v_mov_b32_dpp v28, v27 row_shr:2 row_mask:0xf bank_mask:0xf
	v_cndmask_b32_e64 v28, 0, v28, s[20:21]
	v_add_u32_e32 v27, v27, v28
	;; [unrolled: 4-line block ×3, first 2 shown]
	ds_write_b32 v20, v27
.LBB368_24:                             ;   in Loop: Header=BB368_2 Depth=1
	s_or_b64 exec, exec, s[26:27]
	v_mov_b32_e32 v27, 0
	s_waitcnt lgkmcnt(0)
	s_barrier
	s_and_saveexec_b64 s[26:27], s[0:1]
; %bb.25:                               ;   in Loop: Header=BB368_2 Depth=1
	ds_read_b32 v27, v23
; %bb.26:                               ;   in Loop: Header=BB368_2 Depth=1
	s_or_b64 exec, exec, s[26:27]
	s_waitcnt lgkmcnt(0)
	v_add_u32_e32 v6, v27, v6
	ds_bpermute_b32 v6, v24, v6
	v_lshlrev_b32_e32 v2, 3, v2
	s_waitcnt lgkmcnt(0)
	v_cndmask_b32_e64 v6, v6, v27, s[6:7]
	v_cndmask_b32_e64 v6, v6, 0, s[2:3]
	v_add_u32_e32 v7, v6, v7
	v_add_u32_e32 v8, v7, v8
	;; [unrolled: 1-line block ×3, first 2 shown]
	ds_write2_b32 v18, v6, v7 offset0:5 offset1:6
	ds_write2_b32 v18, v8, v5 offset0:7 offset1:8
	s_waitcnt lgkmcnt(0)
	s_barrier
	ds_read_b32 v5, v26 offset:20
	s_waitcnt lgkmcnt(0)
	s_barrier
	v_lshl_add_u32 v2, v5, 3, v2
	ds_write_b64 v2, v[3:4]
	s_waitcnt lgkmcnt(0)
	s_barrier
	ds_read_b64 v[3:4], v21
	s_waitcnt lgkmcnt(0)
	s_barrier
	ds_write2_b32 v18, v1, v1 offset0:5 offset1:6
	ds_write2_b32 v18, v1, v1 offset0:7 offset1:8
	v_and_b32_sdwa v2, v4, v10 dst_sel:DWORD dst_unused:UNUSED_PAD src0_sel:BYTE_3 src1_sel:DWORD
	v_add_co_u32_e64 v5, s[26:27], -1, v2
	v_addc_co_u32_e64 v6, s[26:27], 0, -1, s[26:27]
	v_cmp_ne_u32_e64 s[26:27], 0, v2
	v_xor_b32_e32 v2, s27, v6
	v_and_b32_e32 v6, exec_hi, v2
	v_lshlrev_b32_sdwa v2, v11, v4 dst_sel:DWORD dst_unused:UNUSED_PAD src0_sel:DWORD src1_sel:BYTE_3
	v_xor_b32_e32 v5, s26, v5
	v_cmp_gt_i64_e64 s[26:27], 0, v[1:2]
	v_not_b32_e32 v2, v2
	v_ashrrev_i32_e32 v2, 31, v2
	v_and_b32_e32 v5, exec_lo, v5
	v_xor_b32_e32 v8, s27, v2
	v_xor_b32_e32 v2, s26, v2
	v_and_b32_e32 v5, v5, v2
	v_lshlrev_b32_sdwa v2, v12, v4 dst_sel:DWORD dst_unused:UNUSED_PAD src0_sel:DWORD src1_sel:BYTE_3
	v_cmp_gt_i64_e64 s[26:27], 0, v[1:2]
	v_not_b32_e32 v2, v2
	v_ashrrev_i32_e32 v2, 31, v2
	v_and_b32_e32 v6, v6, v8
	v_xor_b32_e32 v8, s27, v2
	v_xor_b32_e32 v2, s26, v2
	v_and_b32_e32 v5, v5, v2
	v_lshlrev_b32_sdwa v2, v13, v4 dst_sel:DWORD dst_unused:UNUSED_PAD src0_sel:DWORD src1_sel:BYTE_3
	v_cmp_gt_i64_e64 s[26:27], 0, v[1:2]
	v_not_b32_e32 v2, v2
	v_ashrrev_i32_e32 v2, 31, v2
	v_and_b32_e32 v6, v6, v8
	;; [unrolled: 8-line block ×6, first 2 shown]
	v_xor_b32_e32 v8, s27, v2
	v_xor_b32_e32 v2, s26, v2
	v_and_b32_e32 v5, v5, v2
	v_and_b32_e32 v6, v6, v8
	v_mbcnt_lo_u32_b32 v2, v5, 0
	v_mbcnt_hi_u32_b32 v2, v6, v2
	v_cmp_ne_u64_e64 s[26:27], 0, v[5:6]
	v_mul_u32_u24_sdwa v7, v4, v9 dst_sel:DWORD dst_unused:UNUSED_PAD src0_sel:BYTE_3 src1_sel:DWORD
	v_cmp_eq_u32_e64 s[28:29], 0, v2
	s_and_b64 s[28:29], s[28:29], s[26:27]
	v_add_u32_e32 v26, v25, v7
	s_waitcnt lgkmcnt(0)
	s_barrier
	; wave barrier
	s_and_saveexec_b64 s[26:27], s[28:29]
; %bb.27:                               ;   in Loop: Header=BB368_2 Depth=1
	v_bcnt_u32_b32 v5, v5, 0
	v_bcnt_u32_b32 v5, v6, v5
	ds_write_b32 v26, v5 offset:20
; %bb.28:                               ;   in Loop: Header=BB368_2 Depth=1
	s_or_b64 exec, exec, s[26:27]
	; wave barrier
	s_waitcnt lgkmcnt(0)
	s_barrier
	ds_read2_b32 v[7:8], v18 offset0:5 offset1:6
	ds_read2_b32 v[5:6], v18 offset0:7 offset1:8
	s_waitcnt lgkmcnt(1)
	v_add_u32_e32 v27, v8, v7
	s_waitcnt lgkmcnt(0)
	v_add3_u32 v6, v27, v5, v6
	s_nop 1
	v_mov_b32_dpp v27, v6 row_shr:1 row_mask:0xf bank_mask:0xf
	v_cndmask_b32_e64 v27, v27, 0, s[8:9]
	v_add_u32_e32 v6, v27, v6
	s_nop 1
	v_mov_b32_dpp v27, v6 row_shr:2 row_mask:0xf bank_mask:0xf
	v_cndmask_b32_e64 v27, 0, v27, s[10:11]
	v_add_u32_e32 v6, v6, v27
	;; [unrolled: 4-line block ×4, first 2 shown]
	s_nop 1
	v_mov_b32_dpp v27, v6 row_bcast:15 row_mask:0xf bank_mask:0xf
	v_cndmask_b32_e64 v27, v27, 0, s[16:17]
	v_add_u32_e32 v6, v6, v27
	s_nop 1
	v_mov_b32_dpp v27, v6 row_bcast:31 row_mask:0xf bank_mask:0xf
	v_cndmask_b32_e64 v27, 0, v27, s[4:5]
	v_add_u32_e32 v6, v6, v27
	s_and_saveexec_b64 s[26:27], s[24:25]
; %bb.29:                               ;   in Loop: Header=BB368_2 Depth=1
	ds_write_b32 v19, v6
; %bb.30:                               ;   in Loop: Header=BB368_2 Depth=1
	s_or_b64 exec, exec, s[26:27]
	s_waitcnt lgkmcnt(0)
	s_barrier
	s_and_saveexec_b64 s[26:27], vcc
	s_cbranch_execz .LBB368_32
; %bb.31:                               ;   in Loop: Header=BB368_2 Depth=1
	ds_read_b32 v27, v20
	s_waitcnt lgkmcnt(0)
	s_nop 0
	v_mov_b32_dpp v28, v27 row_shr:1 row_mask:0xf bank_mask:0xf
	v_cndmask_b32_e64 v28, v28, 0, s[18:19]
	v_add_u32_e32 v27, v28, v27
	s_nop 1
	v_mov_b32_dpp v28, v27 row_shr:2 row_mask:0xf bank_mask:0xf
	v_cndmask_b32_e64 v28, 0, v28, s[20:21]
	v_add_u32_e32 v27, v27, v28
	;; [unrolled: 4-line block ×3, first 2 shown]
	ds_write_b32 v20, v27
.LBB368_32:                             ;   in Loop: Header=BB368_2 Depth=1
	s_or_b64 exec, exec, s[26:27]
	v_mov_b32_e32 v27, 0
	s_waitcnt lgkmcnt(0)
	s_barrier
	s_and_saveexec_b64 s[26:27], s[0:1]
; %bb.33:                               ;   in Loop: Header=BB368_2 Depth=1
	ds_read_b32 v27, v23
; %bb.34:                               ;   in Loop: Header=BB368_2 Depth=1
	s_or_b64 exec, exec, s[26:27]
	s_waitcnt lgkmcnt(0)
	v_add_u32_e32 v6, v27, v6
	ds_bpermute_b32 v6, v24, v6
	v_lshlrev_b32_e32 v2, 3, v2
	s_waitcnt lgkmcnt(0)
	v_cndmask_b32_e64 v6, v6, v27, s[6:7]
	v_cndmask_b32_e64 v6, v6, 0, s[2:3]
	v_add_u32_e32 v7, v6, v7
	v_add_u32_e32 v8, v7, v8
	;; [unrolled: 1-line block ×3, first 2 shown]
	ds_write2_b32 v18, v6, v7 offset0:5 offset1:6
	ds_write2_b32 v18, v8, v5 offset0:7 offset1:8
	s_waitcnt lgkmcnt(0)
	s_barrier
	ds_read_b32 v5, v26 offset:20
	s_waitcnt lgkmcnt(0)
	s_barrier
	v_lshl_add_u32 v2, v5, 3, v2
	ds_write_b64 v2, v[3:4]
	s_waitcnt lgkmcnt(0)
	s_barrier
	ds_read_b64 v[3:4], v21
	s_waitcnt lgkmcnt(0)
	s_barrier
	ds_write2_b32 v18, v1, v1 offset0:5 offset1:6
	ds_write2_b32 v18, v1, v1 offset0:7 offset1:8
	v_and_b32_e32 v2, 1, v3
	v_add_co_u32_e64 v5, s[26:27], -1, v2
	v_addc_co_u32_e64 v6, s[26:27], 0, -1, s[26:27]
	v_cmp_ne_u32_e64 s[26:27], 0, v2
	v_xor_b32_e32 v2, s27, v6
	v_and_b32_e32 v6, exec_hi, v2
	v_lshlrev_b32_e32 v2, 30, v3
	v_xor_b32_e32 v5, s26, v5
	v_cmp_gt_i64_e64 s[26:27], 0, v[1:2]
	v_not_b32_e32 v2, v2
	v_ashrrev_i32_e32 v2, 31, v2
	v_and_b32_e32 v5, exec_lo, v5
	v_xor_b32_e32 v8, s27, v2
	v_xor_b32_e32 v2, s26, v2
	v_and_b32_e32 v5, v5, v2
	v_lshlrev_b32_e32 v2, 29, v3
	v_cmp_gt_i64_e64 s[26:27], 0, v[1:2]
	v_not_b32_e32 v2, v2
	v_ashrrev_i32_e32 v2, 31, v2
	v_and_b32_e32 v6, v6, v8
	v_xor_b32_e32 v8, s27, v2
	v_xor_b32_e32 v2, s26, v2
	v_and_b32_e32 v5, v5, v2
	v_lshlrev_b32_e32 v2, 28, v3
	v_cmp_gt_i64_e64 s[26:27], 0, v[1:2]
	v_not_b32_e32 v2, v2
	v_ashrrev_i32_e32 v2, 31, v2
	v_and_b32_e32 v6, v6, v8
	;; [unrolled: 8-line block ×6, first 2 shown]
	v_xor_b32_e32 v8, s27, v2
	v_xor_b32_e32 v2, s26, v2
	v_and_b32_e32 v5, v5, v2
	v_and_b32_e32 v6, v6, v8
	v_mbcnt_lo_u32_b32 v2, v5, 0
	v_mbcnt_hi_u32_b32 v2, v6, v2
	v_cmp_ne_u64_e64 s[26:27], 0, v[5:6]
	v_mul_u32_u24_sdwa v7, v3, v9 dst_sel:DWORD dst_unused:UNUSED_PAD src0_sel:BYTE_0 src1_sel:DWORD
	v_cmp_eq_u32_e64 s[28:29], 0, v2
	s_and_b64 s[28:29], s[28:29], s[26:27]
	v_add_u32_e32 v26, v25, v7
	s_waitcnt lgkmcnt(0)
	s_barrier
	; wave barrier
	s_and_saveexec_b64 s[26:27], s[28:29]
; %bb.35:                               ;   in Loop: Header=BB368_2 Depth=1
	v_bcnt_u32_b32 v5, v5, 0
	v_bcnt_u32_b32 v5, v6, v5
	ds_write_b32 v26, v5 offset:20
; %bb.36:                               ;   in Loop: Header=BB368_2 Depth=1
	s_or_b64 exec, exec, s[26:27]
	; wave barrier
	s_waitcnt lgkmcnt(0)
	s_barrier
	ds_read2_b32 v[7:8], v18 offset0:5 offset1:6
	ds_read2_b32 v[5:6], v18 offset0:7 offset1:8
	s_waitcnt lgkmcnt(1)
	v_add_u32_e32 v27, v8, v7
	s_waitcnt lgkmcnt(0)
	v_add3_u32 v6, v27, v5, v6
	s_nop 1
	v_mov_b32_dpp v27, v6 row_shr:1 row_mask:0xf bank_mask:0xf
	v_cndmask_b32_e64 v27, v27, 0, s[8:9]
	v_add_u32_e32 v6, v27, v6
	s_nop 1
	v_mov_b32_dpp v27, v6 row_shr:2 row_mask:0xf bank_mask:0xf
	v_cndmask_b32_e64 v27, 0, v27, s[10:11]
	v_add_u32_e32 v6, v6, v27
	;; [unrolled: 4-line block ×4, first 2 shown]
	s_nop 1
	v_mov_b32_dpp v27, v6 row_bcast:15 row_mask:0xf bank_mask:0xf
	v_cndmask_b32_e64 v27, v27, 0, s[16:17]
	v_add_u32_e32 v6, v6, v27
	s_nop 1
	v_mov_b32_dpp v27, v6 row_bcast:31 row_mask:0xf bank_mask:0xf
	v_cndmask_b32_e64 v27, 0, v27, s[4:5]
	v_add_u32_e32 v6, v6, v27
	s_and_saveexec_b64 s[26:27], s[24:25]
; %bb.37:                               ;   in Loop: Header=BB368_2 Depth=1
	ds_write_b32 v19, v6
; %bb.38:                               ;   in Loop: Header=BB368_2 Depth=1
	s_or_b64 exec, exec, s[26:27]
	s_waitcnt lgkmcnt(0)
	s_barrier
	s_and_saveexec_b64 s[26:27], vcc
	s_cbranch_execz .LBB368_40
; %bb.39:                               ;   in Loop: Header=BB368_2 Depth=1
	ds_read_b32 v27, v20
	s_waitcnt lgkmcnt(0)
	s_nop 0
	v_mov_b32_dpp v28, v27 row_shr:1 row_mask:0xf bank_mask:0xf
	v_cndmask_b32_e64 v28, v28, 0, s[18:19]
	v_add_u32_e32 v27, v28, v27
	s_nop 1
	v_mov_b32_dpp v28, v27 row_shr:2 row_mask:0xf bank_mask:0xf
	v_cndmask_b32_e64 v28, 0, v28, s[20:21]
	v_add_u32_e32 v27, v27, v28
	s_nop 1
	v_mov_b32_dpp v28, v27 row_shr:4 row_mask:0xf bank_mask:0xf
	v_cndmask_b32_e64 v28, 0, v28, s[22:23]
	v_add_u32_e32 v27, v27, v28
	ds_write_b32 v20, v27
.LBB368_40:                             ;   in Loop: Header=BB368_2 Depth=1
	s_or_b64 exec, exec, s[26:27]
	v_mov_b32_e32 v27, 0
	s_waitcnt lgkmcnt(0)
	s_barrier
	s_and_saveexec_b64 s[26:27], s[0:1]
; %bb.41:                               ;   in Loop: Header=BB368_2 Depth=1
	ds_read_b32 v27, v23
; %bb.42:                               ;   in Loop: Header=BB368_2 Depth=1
	s_or_b64 exec, exec, s[26:27]
	s_waitcnt lgkmcnt(0)
	v_add_u32_e32 v6, v27, v6
	ds_bpermute_b32 v6, v24, v6
	v_lshlrev_b32_e32 v2, 3, v2
	s_waitcnt lgkmcnt(0)
	v_cndmask_b32_e64 v6, v6, v27, s[6:7]
	v_cndmask_b32_e64 v6, v6, 0, s[2:3]
	v_add_u32_e32 v7, v6, v7
	v_add_u32_e32 v8, v7, v8
	v_add_u32_e32 v5, v8, v5
	ds_write2_b32 v18, v6, v7 offset0:5 offset1:6
	ds_write2_b32 v18, v8, v5 offset0:7 offset1:8
	s_waitcnt lgkmcnt(0)
	s_barrier
	ds_read_b32 v5, v26 offset:20
	s_waitcnt lgkmcnt(0)
	s_barrier
	v_lshl_add_u32 v2, v5, 3, v2
	ds_write_b64 v2, v[3:4]
	s_waitcnt lgkmcnt(0)
	s_barrier
	ds_read_b64 v[3:4], v21
	s_waitcnt lgkmcnt(0)
	s_barrier
	ds_write2_b32 v18, v1, v1 offset0:5 offset1:6
	ds_write2_b32 v18, v1, v1 offset0:7 offset1:8
	v_lshrrev_b32_e32 v5, 8, v3
	v_and_b32_e32 v2, 1, v5
	v_add_co_u32_e64 v6, s[26:27], -1, v2
	v_addc_co_u32_e64 v8, s[26:27], 0, -1, s[26:27]
	v_cmp_ne_u32_e64 s[26:27], 0, v2
	v_xor_b32_e32 v2, s27, v8
	v_and_b32_e32 v8, exec_hi, v2
	v_lshlrev_b32_e32 v2, 30, v5
	v_xor_b32_e32 v6, s26, v6
	v_cmp_gt_i64_e64 s[26:27], 0, v[1:2]
	v_not_b32_e32 v2, v2
	v_ashrrev_i32_e32 v2, 31, v2
	v_and_b32_e32 v6, exec_lo, v6
	v_xor_b32_e32 v26, s27, v2
	v_xor_b32_e32 v2, s26, v2
	v_and_b32_e32 v6, v6, v2
	v_lshlrev_b32_e32 v2, 29, v5
	v_cmp_gt_i64_e64 s[26:27], 0, v[1:2]
	v_not_b32_e32 v2, v2
	v_ashrrev_i32_e32 v2, 31, v2
	v_and_b32_e32 v8, v8, v26
	v_xor_b32_e32 v26, s27, v2
	v_xor_b32_e32 v2, s26, v2
	v_and_b32_e32 v6, v6, v2
	v_lshlrev_b32_e32 v2, 28, v5
	v_cmp_gt_i64_e64 s[26:27], 0, v[1:2]
	v_not_b32_e32 v2, v2
	v_ashrrev_i32_e32 v2, 31, v2
	v_and_b32_e32 v8, v8, v26
	;; [unrolled: 8-line block ×5, first 2 shown]
	v_xor_b32_e32 v26, s27, v2
	v_xor_b32_e32 v2, s26, v2
	v_and_b32_e32 v8, v8, v26
	v_and_b32_e32 v26, v6, v2
	v_lshlrev_b32_e32 v2, 24, v5
	v_cmp_gt_i64_e64 s[26:27], 0, v[1:2]
	v_not_b32_e32 v2, v2
	v_ashrrev_i32_e32 v2, 31, v2
	v_mul_u32_u24_sdwa v7, v5, v9 dst_sel:DWORD dst_unused:UNUSED_PAD src0_sel:BYTE_0 src1_sel:DWORD
	v_xor_b32_e32 v5, s27, v2
	v_xor_b32_e32 v2, s26, v2
	v_and_b32_e32 v6, v8, v5
	v_and_b32_e32 v5, v26, v2
	v_mbcnt_lo_u32_b32 v2, v5, 0
	v_mbcnt_hi_u32_b32 v2, v6, v2
	v_cmp_ne_u64_e64 s[26:27], 0, v[5:6]
	v_cmp_eq_u32_e64 s[28:29], 0, v2
	s_and_b64 s[28:29], s[28:29], s[26:27]
	v_add_u32_e32 v26, v25, v7
	s_waitcnt lgkmcnt(0)
	s_barrier
	; wave barrier
	s_and_saveexec_b64 s[26:27], s[28:29]
; %bb.43:                               ;   in Loop: Header=BB368_2 Depth=1
	v_bcnt_u32_b32 v5, v5, 0
	v_bcnt_u32_b32 v5, v6, v5
	ds_write_b32 v26, v5 offset:20
; %bb.44:                               ;   in Loop: Header=BB368_2 Depth=1
	s_or_b64 exec, exec, s[26:27]
	; wave barrier
	s_waitcnt lgkmcnt(0)
	s_barrier
	ds_read2_b32 v[7:8], v18 offset0:5 offset1:6
	ds_read2_b32 v[5:6], v18 offset0:7 offset1:8
	s_waitcnt lgkmcnt(1)
	v_add_u32_e32 v27, v8, v7
	s_waitcnt lgkmcnt(0)
	v_add3_u32 v6, v27, v5, v6
	s_nop 1
	v_mov_b32_dpp v27, v6 row_shr:1 row_mask:0xf bank_mask:0xf
	v_cndmask_b32_e64 v27, v27, 0, s[8:9]
	v_add_u32_e32 v6, v27, v6
	s_nop 1
	v_mov_b32_dpp v27, v6 row_shr:2 row_mask:0xf bank_mask:0xf
	v_cndmask_b32_e64 v27, 0, v27, s[10:11]
	v_add_u32_e32 v6, v6, v27
	;; [unrolled: 4-line block ×4, first 2 shown]
	s_nop 1
	v_mov_b32_dpp v27, v6 row_bcast:15 row_mask:0xf bank_mask:0xf
	v_cndmask_b32_e64 v27, v27, 0, s[16:17]
	v_add_u32_e32 v6, v6, v27
	s_nop 1
	v_mov_b32_dpp v27, v6 row_bcast:31 row_mask:0xf bank_mask:0xf
	v_cndmask_b32_e64 v27, 0, v27, s[4:5]
	v_add_u32_e32 v6, v6, v27
	s_and_saveexec_b64 s[26:27], s[24:25]
; %bb.45:                               ;   in Loop: Header=BB368_2 Depth=1
	ds_write_b32 v19, v6
; %bb.46:                               ;   in Loop: Header=BB368_2 Depth=1
	s_or_b64 exec, exec, s[26:27]
	s_waitcnt lgkmcnt(0)
	s_barrier
	s_and_saveexec_b64 s[26:27], vcc
	s_cbranch_execz .LBB368_48
; %bb.47:                               ;   in Loop: Header=BB368_2 Depth=1
	ds_read_b32 v27, v20
	s_waitcnt lgkmcnt(0)
	s_nop 0
	v_mov_b32_dpp v28, v27 row_shr:1 row_mask:0xf bank_mask:0xf
	v_cndmask_b32_e64 v28, v28, 0, s[18:19]
	v_add_u32_e32 v27, v28, v27
	s_nop 1
	v_mov_b32_dpp v28, v27 row_shr:2 row_mask:0xf bank_mask:0xf
	v_cndmask_b32_e64 v28, 0, v28, s[20:21]
	v_add_u32_e32 v27, v27, v28
	s_nop 1
	v_mov_b32_dpp v28, v27 row_shr:4 row_mask:0xf bank_mask:0xf
	v_cndmask_b32_e64 v28, 0, v28, s[22:23]
	v_add_u32_e32 v27, v27, v28
	ds_write_b32 v20, v27
.LBB368_48:                             ;   in Loop: Header=BB368_2 Depth=1
	s_or_b64 exec, exec, s[26:27]
	v_mov_b32_e32 v27, 0
	s_waitcnt lgkmcnt(0)
	s_barrier
	s_and_saveexec_b64 s[26:27], s[0:1]
; %bb.49:                               ;   in Loop: Header=BB368_2 Depth=1
	ds_read_b32 v27, v23
; %bb.50:                               ;   in Loop: Header=BB368_2 Depth=1
	s_or_b64 exec, exec, s[26:27]
	s_waitcnt lgkmcnt(0)
	v_add_u32_e32 v6, v27, v6
	ds_bpermute_b32 v6, v24, v6
	v_lshlrev_b32_e32 v2, 3, v2
	s_waitcnt lgkmcnt(0)
	v_cndmask_b32_e64 v6, v6, v27, s[6:7]
	v_cndmask_b32_e64 v6, v6, 0, s[2:3]
	v_add_u32_e32 v7, v6, v7
	v_add_u32_e32 v8, v7, v8
	;; [unrolled: 1-line block ×3, first 2 shown]
	ds_write2_b32 v18, v6, v7 offset0:5 offset1:6
	ds_write2_b32 v18, v8, v5 offset0:7 offset1:8
	s_waitcnt lgkmcnt(0)
	s_barrier
	ds_read_b32 v5, v26 offset:20
	s_waitcnt lgkmcnt(0)
	s_barrier
	v_lshl_add_u32 v2, v5, 3, v2
	ds_write_b64 v2, v[3:4]
	s_waitcnt lgkmcnt(0)
	s_barrier
	ds_read_b64 v[3:4], v21
	s_waitcnt lgkmcnt(0)
	s_barrier
	ds_write2_b32 v18, v1, v1 offset0:5 offset1:6
	ds_write2_b32 v18, v1, v1 offset0:7 offset1:8
	v_and_b32_sdwa v2, v3, s36 dst_sel:DWORD dst_unused:UNUSED_PAD src0_sel:WORD_1 src1_sel:DWORD
	v_mul_u32_u24_e32 v7, 20, v2
	v_and_b32_sdwa v2, v3, v10 dst_sel:DWORD dst_unused:UNUSED_PAD src0_sel:WORD_1 src1_sel:DWORD
	v_add_co_u32_e64 v5, s[26:27], -1, v2
	v_addc_co_u32_e64 v6, s[26:27], 0, -1, s[26:27]
	v_cmp_ne_u32_e64 s[26:27], 0, v2
	v_xor_b32_e32 v2, s27, v6
	v_and_b32_e32 v6, exec_hi, v2
	v_lshlrev_b32_sdwa v2, v11, v3 dst_sel:DWORD dst_unused:UNUSED_PAD src0_sel:DWORD src1_sel:WORD_1
	v_xor_b32_e32 v5, s26, v5
	v_cmp_gt_i64_e64 s[26:27], 0, v[1:2]
	v_not_b32_e32 v2, v2
	v_ashrrev_i32_e32 v2, 31, v2
	v_and_b32_e32 v5, exec_lo, v5
	v_xor_b32_e32 v8, s27, v2
	v_xor_b32_e32 v2, s26, v2
	v_and_b32_e32 v5, v5, v2
	v_lshlrev_b32_sdwa v2, v12, v3 dst_sel:DWORD dst_unused:UNUSED_PAD src0_sel:DWORD src1_sel:WORD_1
	v_cmp_gt_i64_e64 s[26:27], 0, v[1:2]
	v_not_b32_e32 v2, v2
	v_ashrrev_i32_e32 v2, 31, v2
	v_and_b32_e32 v6, v6, v8
	v_xor_b32_e32 v8, s27, v2
	v_xor_b32_e32 v2, s26, v2
	v_and_b32_e32 v5, v5, v2
	v_lshlrev_b32_sdwa v2, v13, v3 dst_sel:DWORD dst_unused:UNUSED_PAD src0_sel:DWORD src1_sel:WORD_1
	v_cmp_gt_i64_e64 s[26:27], 0, v[1:2]
	v_not_b32_e32 v2, v2
	v_ashrrev_i32_e32 v2, 31, v2
	v_and_b32_e32 v6, v6, v8
	;; [unrolled: 8-line block ×6, first 2 shown]
	v_xor_b32_e32 v8, s27, v2
	v_xor_b32_e32 v2, s26, v2
	v_and_b32_e32 v5, v5, v2
	v_and_b32_e32 v6, v6, v8
	v_mbcnt_lo_u32_b32 v2, v5, 0
	v_mbcnt_hi_u32_b32 v2, v6, v2
	v_cmp_ne_u64_e64 s[26:27], 0, v[5:6]
	v_cmp_eq_u32_e64 s[28:29], 0, v2
	s_and_b64 s[28:29], s[28:29], s[26:27]
	v_add_u32_e32 v26, v25, v7
	s_waitcnt lgkmcnt(0)
	s_barrier
	; wave barrier
	s_and_saveexec_b64 s[26:27], s[28:29]
; %bb.51:                               ;   in Loop: Header=BB368_2 Depth=1
	v_bcnt_u32_b32 v5, v5, 0
	v_bcnt_u32_b32 v5, v6, v5
	ds_write_b32 v26, v5 offset:20
; %bb.52:                               ;   in Loop: Header=BB368_2 Depth=1
	s_or_b64 exec, exec, s[26:27]
	; wave barrier
	s_waitcnt lgkmcnt(0)
	s_barrier
	ds_read2_b32 v[7:8], v18 offset0:5 offset1:6
	ds_read2_b32 v[5:6], v18 offset0:7 offset1:8
	s_waitcnt lgkmcnt(1)
	v_add_u32_e32 v27, v8, v7
	s_waitcnt lgkmcnt(0)
	v_add3_u32 v6, v27, v5, v6
	s_nop 1
	v_mov_b32_dpp v27, v6 row_shr:1 row_mask:0xf bank_mask:0xf
	v_cndmask_b32_e64 v27, v27, 0, s[8:9]
	v_add_u32_e32 v6, v27, v6
	s_nop 1
	v_mov_b32_dpp v27, v6 row_shr:2 row_mask:0xf bank_mask:0xf
	v_cndmask_b32_e64 v27, 0, v27, s[10:11]
	v_add_u32_e32 v6, v6, v27
	;; [unrolled: 4-line block ×4, first 2 shown]
	s_nop 1
	v_mov_b32_dpp v27, v6 row_bcast:15 row_mask:0xf bank_mask:0xf
	v_cndmask_b32_e64 v27, v27, 0, s[16:17]
	v_add_u32_e32 v6, v6, v27
	s_nop 1
	v_mov_b32_dpp v27, v6 row_bcast:31 row_mask:0xf bank_mask:0xf
	v_cndmask_b32_e64 v27, 0, v27, s[4:5]
	v_add_u32_e32 v6, v6, v27
	s_and_saveexec_b64 s[26:27], s[24:25]
; %bb.53:                               ;   in Loop: Header=BB368_2 Depth=1
	ds_write_b32 v19, v6
; %bb.54:                               ;   in Loop: Header=BB368_2 Depth=1
	s_or_b64 exec, exec, s[26:27]
	s_waitcnt lgkmcnt(0)
	s_barrier
	s_and_saveexec_b64 s[26:27], vcc
	s_cbranch_execz .LBB368_56
; %bb.55:                               ;   in Loop: Header=BB368_2 Depth=1
	ds_read_b32 v27, v20
	s_waitcnt lgkmcnt(0)
	s_nop 0
	v_mov_b32_dpp v28, v27 row_shr:1 row_mask:0xf bank_mask:0xf
	v_cndmask_b32_e64 v28, v28, 0, s[18:19]
	v_add_u32_e32 v27, v28, v27
	s_nop 1
	v_mov_b32_dpp v28, v27 row_shr:2 row_mask:0xf bank_mask:0xf
	v_cndmask_b32_e64 v28, 0, v28, s[20:21]
	v_add_u32_e32 v27, v27, v28
	;; [unrolled: 4-line block ×3, first 2 shown]
	ds_write_b32 v20, v27
.LBB368_56:                             ;   in Loop: Header=BB368_2 Depth=1
	s_or_b64 exec, exec, s[26:27]
	v_mov_b32_e32 v27, 0
	s_waitcnt lgkmcnt(0)
	s_barrier
	s_and_saveexec_b64 s[26:27], s[0:1]
; %bb.57:                               ;   in Loop: Header=BB368_2 Depth=1
	ds_read_b32 v27, v23
; %bb.58:                               ;   in Loop: Header=BB368_2 Depth=1
	s_or_b64 exec, exec, s[26:27]
	s_waitcnt lgkmcnt(0)
	v_add_u32_e32 v6, v27, v6
	ds_bpermute_b32 v6, v24, v6
	v_lshlrev_b32_e32 v2, 3, v2
	s_waitcnt lgkmcnt(0)
	v_cndmask_b32_e64 v6, v6, v27, s[6:7]
	v_cndmask_b32_e64 v6, v6, 0, s[2:3]
	v_add_u32_e32 v7, v6, v7
	v_add_u32_e32 v8, v7, v8
	;; [unrolled: 1-line block ×3, first 2 shown]
	ds_write2_b32 v18, v6, v7 offset0:5 offset1:6
	ds_write2_b32 v18, v8, v5 offset0:7 offset1:8
	s_waitcnt lgkmcnt(0)
	s_barrier
	ds_read_b32 v5, v26 offset:20
	s_waitcnt lgkmcnt(0)
	s_barrier
	v_lshl_add_u32 v2, v5, 3, v2
	ds_write_b64 v2, v[3:4]
	s_waitcnt lgkmcnt(0)
	s_barrier
	ds_read_b64 v[3:4], v21
	s_waitcnt lgkmcnt(0)
	s_barrier
	ds_write2_b32 v18, v1, v1 offset0:5 offset1:6
	ds_write2_b32 v18, v1, v1 offset0:7 offset1:8
	v_and_b32_sdwa v2, v3, v10 dst_sel:DWORD dst_unused:UNUSED_PAD src0_sel:BYTE_3 src1_sel:DWORD
	v_add_co_u32_e64 v5, s[26:27], -1, v2
	v_addc_co_u32_e64 v6, s[26:27], 0, -1, s[26:27]
	v_cmp_ne_u32_e64 s[26:27], 0, v2
	v_xor_b32_e32 v2, s27, v6
	v_and_b32_e32 v6, exec_hi, v2
	v_lshlrev_b32_sdwa v2, v11, v3 dst_sel:DWORD dst_unused:UNUSED_PAD src0_sel:DWORD src1_sel:BYTE_3
	v_xor_b32_e32 v5, s26, v5
	v_cmp_gt_i64_e64 s[26:27], 0, v[1:2]
	v_not_b32_e32 v2, v2
	v_ashrrev_i32_e32 v2, 31, v2
	v_and_b32_e32 v5, exec_lo, v5
	v_xor_b32_e32 v8, s27, v2
	v_xor_b32_e32 v2, s26, v2
	v_and_b32_e32 v5, v5, v2
	v_lshlrev_b32_sdwa v2, v12, v3 dst_sel:DWORD dst_unused:UNUSED_PAD src0_sel:DWORD src1_sel:BYTE_3
	v_cmp_gt_i64_e64 s[26:27], 0, v[1:2]
	v_not_b32_e32 v2, v2
	v_ashrrev_i32_e32 v2, 31, v2
	v_and_b32_e32 v6, v6, v8
	v_xor_b32_e32 v8, s27, v2
	v_xor_b32_e32 v2, s26, v2
	v_and_b32_e32 v5, v5, v2
	v_lshlrev_b32_sdwa v2, v13, v3 dst_sel:DWORD dst_unused:UNUSED_PAD src0_sel:DWORD src1_sel:BYTE_3
	v_cmp_gt_i64_e64 s[26:27], 0, v[1:2]
	v_not_b32_e32 v2, v2
	v_ashrrev_i32_e32 v2, 31, v2
	v_and_b32_e32 v6, v6, v8
	v_xor_b32_e32 v8, s27, v2
	v_xor_b32_e32 v2, s26, v2
	v_and_b32_e32 v5, v5, v2
	v_lshlrev_b32_sdwa v2, v14, v3 dst_sel:DWORD dst_unused:UNUSED_PAD src0_sel:DWORD src1_sel:BYTE_3
	v_cmp_gt_i64_e64 s[26:27], 0, v[1:2]
	v_not_b32_e32 v2, v2
	v_ashrrev_i32_e32 v2, 31, v2
	v_and_b32_e32 v6, v6, v8
	v_xor_b32_e32 v8, s27, v2
	v_xor_b32_e32 v2, s26, v2
	v_and_b32_e32 v5, v5, v2
	v_lshlrev_b32_sdwa v2, v15, v3 dst_sel:DWORD dst_unused:UNUSED_PAD src0_sel:DWORD src1_sel:BYTE_3
	v_cmp_gt_i64_e64 s[26:27], 0, v[1:2]
	v_not_b32_e32 v2, v2
	v_ashrrev_i32_e32 v2, 31, v2
	v_and_b32_e32 v6, v6, v8
	v_xor_b32_e32 v8, s27, v2
	v_xor_b32_e32 v2, s26, v2
	v_and_b32_e32 v5, v5, v2
	v_lshlrev_b32_sdwa v2, v16, v3 dst_sel:DWORD dst_unused:UNUSED_PAD src0_sel:DWORD src1_sel:BYTE_3
	v_cmp_gt_i64_e64 s[26:27], 0, v[1:2]
	v_not_b32_e32 v2, v2
	v_ashrrev_i32_e32 v2, 31, v2
	v_and_b32_e32 v6, v6, v8
	v_xor_b32_e32 v8, s27, v2
	v_xor_b32_e32 v2, s26, v2
	v_and_b32_e32 v5, v5, v2
	v_lshlrev_b32_sdwa v2, v17, v3 dst_sel:DWORD dst_unused:UNUSED_PAD src0_sel:DWORD src1_sel:BYTE_3
	v_cmp_gt_i64_e64 s[26:27], 0, v[1:2]
	v_not_b32_e32 v2, v2
	v_ashrrev_i32_e32 v2, 31, v2
	v_and_b32_e32 v6, v6, v8
	v_xor_b32_e32 v8, s27, v2
	v_xor_b32_e32 v2, s26, v2
	v_and_b32_e32 v5, v5, v2
	v_and_b32_e32 v6, v6, v8
	v_mbcnt_lo_u32_b32 v2, v5, 0
	v_mbcnt_hi_u32_b32 v2, v6, v2
	v_cmp_ne_u64_e64 s[26:27], 0, v[5:6]
	v_mul_u32_u24_sdwa v7, v3, v9 dst_sel:DWORD dst_unused:UNUSED_PAD src0_sel:BYTE_3 src1_sel:DWORD
	v_cmp_eq_u32_e64 s[28:29], 0, v2
	s_and_b64 s[28:29], s[28:29], s[26:27]
	v_add_u32_e32 v26, v25, v7
	s_waitcnt lgkmcnt(0)
	s_barrier
	; wave barrier
	s_and_saveexec_b64 s[26:27], s[28:29]
; %bb.59:                               ;   in Loop: Header=BB368_2 Depth=1
	v_bcnt_u32_b32 v5, v5, 0
	v_bcnt_u32_b32 v5, v6, v5
	ds_write_b32 v26, v5 offset:20
; %bb.60:                               ;   in Loop: Header=BB368_2 Depth=1
	s_or_b64 exec, exec, s[26:27]
	; wave barrier
	s_waitcnt lgkmcnt(0)
	s_barrier
	ds_read2_b32 v[7:8], v18 offset0:5 offset1:6
	ds_read2_b32 v[5:6], v18 offset0:7 offset1:8
	s_waitcnt lgkmcnt(1)
	v_add_u32_e32 v27, v8, v7
	s_waitcnt lgkmcnt(0)
	v_add3_u32 v6, v27, v5, v6
	s_nop 1
	v_mov_b32_dpp v27, v6 row_shr:1 row_mask:0xf bank_mask:0xf
	v_cndmask_b32_e64 v27, v27, 0, s[8:9]
	v_add_u32_e32 v6, v27, v6
	s_nop 1
	v_mov_b32_dpp v27, v6 row_shr:2 row_mask:0xf bank_mask:0xf
	v_cndmask_b32_e64 v27, 0, v27, s[10:11]
	v_add_u32_e32 v6, v6, v27
	s_nop 1
	v_mov_b32_dpp v27, v6 row_shr:4 row_mask:0xf bank_mask:0xf
	v_cndmask_b32_e64 v27, 0, v27, s[12:13]
	v_add_u32_e32 v6, v6, v27
	s_nop 1
	v_mov_b32_dpp v27, v6 row_shr:8 row_mask:0xf bank_mask:0xf
	v_cndmask_b32_e64 v27, 0, v27, s[14:15]
	v_add_u32_e32 v6, v6, v27
	s_nop 1
	v_mov_b32_dpp v27, v6 row_bcast:15 row_mask:0xf bank_mask:0xf
	v_cndmask_b32_e64 v27, v27, 0, s[16:17]
	v_add_u32_e32 v6, v6, v27
	s_nop 1
	v_mov_b32_dpp v27, v6 row_bcast:31 row_mask:0xf bank_mask:0xf
	v_cndmask_b32_e64 v27, 0, v27, s[4:5]
	v_add_u32_e32 v6, v6, v27
	s_and_saveexec_b64 s[26:27], s[24:25]
; %bb.61:                               ;   in Loop: Header=BB368_2 Depth=1
	ds_write_b32 v19, v6
; %bb.62:                               ;   in Loop: Header=BB368_2 Depth=1
	s_or_b64 exec, exec, s[26:27]
	s_waitcnt lgkmcnt(0)
	s_barrier
	s_and_saveexec_b64 s[26:27], vcc
	s_cbranch_execz .LBB368_64
; %bb.63:                               ;   in Loop: Header=BB368_2 Depth=1
	ds_read_b32 v27, v20
	s_waitcnt lgkmcnt(0)
	s_nop 0
	v_mov_b32_dpp v28, v27 row_shr:1 row_mask:0xf bank_mask:0xf
	v_cndmask_b32_e64 v28, v28, 0, s[18:19]
	v_add_u32_e32 v27, v28, v27
	s_nop 1
	v_mov_b32_dpp v28, v27 row_shr:2 row_mask:0xf bank_mask:0xf
	v_cndmask_b32_e64 v28, 0, v28, s[20:21]
	v_add_u32_e32 v27, v27, v28
	;; [unrolled: 4-line block ×3, first 2 shown]
	ds_write_b32 v20, v27
.LBB368_64:                             ;   in Loop: Header=BB368_2 Depth=1
	s_or_b64 exec, exec, s[26:27]
	v_mov_b32_e32 v27, 0
	s_waitcnt lgkmcnt(0)
	s_barrier
	s_and_saveexec_b64 s[26:27], s[0:1]
	s_cbranch_execz .LBB368_1
; %bb.65:                               ;   in Loop: Header=BB368_2 Depth=1
	ds_read_b32 v27, v23
	s_branch .LBB368_1
.LBB368_66:
	s_add_u32 s0, s30, s34
	s_waitcnt lgkmcnt(0)
	v_xor_b32_e32 v2, 0x80000000, v4
	v_xor_b32_e32 v1, 0x80000000, v3
	s_addc_u32 s1, s31, s35
	v_lshlrev_b32_e32 v0, 3, v0
	global_store_dwordx2 v0, v[1:2], s[0:1]
	s_endpgm
	.section	.rodata,"a",@progbits
	.p2align	6, 0x0
	.amdhsa_kernel _Z16sort_keys_kernelI22helper_blocked_stripedN15benchmark_utils11custom_typeIiiEELj320ELj1ELj10EEvPKT0_PS4_
		.amdhsa_group_segment_fixed_size 5152
		.amdhsa_private_segment_fixed_size 0
		.amdhsa_kernarg_size 272
		.amdhsa_user_sgpr_count 6
		.amdhsa_user_sgpr_private_segment_buffer 1
		.amdhsa_user_sgpr_dispatch_ptr 0
		.amdhsa_user_sgpr_queue_ptr 0
		.amdhsa_user_sgpr_kernarg_segment_ptr 1
		.amdhsa_user_sgpr_dispatch_id 0
		.amdhsa_user_sgpr_flat_scratch_init 0
		.amdhsa_user_sgpr_private_segment_size 0
		.amdhsa_uses_dynamic_stack 0
		.amdhsa_system_sgpr_private_segment_wavefront_offset 0
		.amdhsa_system_sgpr_workgroup_id_x 1
		.amdhsa_system_sgpr_workgroup_id_y 0
		.amdhsa_system_sgpr_workgroup_id_z 0
		.amdhsa_system_sgpr_workgroup_info 0
		.amdhsa_system_vgpr_workitem_id 2
		.amdhsa_next_free_vgpr 29
		.amdhsa_next_free_sgpr 37
		.amdhsa_reserve_vcc 1
		.amdhsa_reserve_flat_scratch 0
		.amdhsa_float_round_mode_32 0
		.amdhsa_float_round_mode_16_64 0
		.amdhsa_float_denorm_mode_32 3
		.amdhsa_float_denorm_mode_16_64 3
		.amdhsa_dx10_clamp 1
		.amdhsa_ieee_mode 1
		.amdhsa_fp16_overflow 0
		.amdhsa_exception_fp_ieee_invalid_op 0
		.amdhsa_exception_fp_denorm_src 0
		.amdhsa_exception_fp_ieee_div_zero 0
		.amdhsa_exception_fp_ieee_overflow 0
		.amdhsa_exception_fp_ieee_underflow 0
		.amdhsa_exception_fp_ieee_inexact 0
		.amdhsa_exception_int_div_zero 0
	.end_amdhsa_kernel
	.section	.text._Z16sort_keys_kernelI22helper_blocked_stripedN15benchmark_utils11custom_typeIiiEELj320ELj1ELj10EEvPKT0_PS4_,"axG",@progbits,_Z16sort_keys_kernelI22helper_blocked_stripedN15benchmark_utils11custom_typeIiiEELj320ELj1ELj10EEvPKT0_PS4_,comdat
.Lfunc_end368:
	.size	_Z16sort_keys_kernelI22helper_blocked_stripedN15benchmark_utils11custom_typeIiiEELj320ELj1ELj10EEvPKT0_PS4_, .Lfunc_end368-_Z16sort_keys_kernelI22helper_blocked_stripedN15benchmark_utils11custom_typeIiiEELj320ELj1ELj10EEvPKT0_PS4_
                                        ; -- End function
	.set _Z16sort_keys_kernelI22helper_blocked_stripedN15benchmark_utils11custom_typeIiiEELj320ELj1ELj10EEvPKT0_PS4_.num_vgpr, 29
	.set _Z16sort_keys_kernelI22helper_blocked_stripedN15benchmark_utils11custom_typeIiiEELj320ELj1ELj10EEvPKT0_PS4_.num_agpr, 0
	.set _Z16sort_keys_kernelI22helper_blocked_stripedN15benchmark_utils11custom_typeIiiEELj320ELj1ELj10EEvPKT0_PS4_.numbered_sgpr, 37
	.set _Z16sort_keys_kernelI22helper_blocked_stripedN15benchmark_utils11custom_typeIiiEELj320ELj1ELj10EEvPKT0_PS4_.num_named_barrier, 0
	.set _Z16sort_keys_kernelI22helper_blocked_stripedN15benchmark_utils11custom_typeIiiEELj320ELj1ELj10EEvPKT0_PS4_.private_seg_size, 0
	.set _Z16sort_keys_kernelI22helper_blocked_stripedN15benchmark_utils11custom_typeIiiEELj320ELj1ELj10EEvPKT0_PS4_.uses_vcc, 1
	.set _Z16sort_keys_kernelI22helper_blocked_stripedN15benchmark_utils11custom_typeIiiEELj320ELj1ELj10EEvPKT0_PS4_.uses_flat_scratch, 0
	.set _Z16sort_keys_kernelI22helper_blocked_stripedN15benchmark_utils11custom_typeIiiEELj320ELj1ELj10EEvPKT0_PS4_.has_dyn_sized_stack, 0
	.set _Z16sort_keys_kernelI22helper_blocked_stripedN15benchmark_utils11custom_typeIiiEELj320ELj1ELj10EEvPKT0_PS4_.has_recursion, 0
	.set _Z16sort_keys_kernelI22helper_blocked_stripedN15benchmark_utils11custom_typeIiiEELj320ELj1ELj10EEvPKT0_PS4_.has_indirect_call, 0
	.section	.AMDGPU.csdata,"",@progbits
; Kernel info:
; codeLenInByte = 7604
; TotalNumSgprs: 41
; NumVgprs: 29
; ScratchSize: 0
; MemoryBound: 0
; FloatMode: 240
; IeeeMode: 1
; LDSByteSize: 5152 bytes/workgroup (compile time only)
; SGPRBlocks: 5
; VGPRBlocks: 7
; NumSGPRsForWavesPerEU: 41
; NumVGPRsForWavesPerEU: 29
; Occupancy: 8
; WaveLimiterHint : 0
; COMPUTE_PGM_RSRC2:SCRATCH_EN: 0
; COMPUTE_PGM_RSRC2:USER_SGPR: 6
; COMPUTE_PGM_RSRC2:TRAP_HANDLER: 0
; COMPUTE_PGM_RSRC2:TGID_X_EN: 1
; COMPUTE_PGM_RSRC2:TGID_Y_EN: 0
; COMPUTE_PGM_RSRC2:TGID_Z_EN: 0
; COMPUTE_PGM_RSRC2:TIDIG_COMP_CNT: 2
	.section	.text._Z17sort_pairs_kernelI22helper_blocked_stripedN15benchmark_utils11custom_typeIiiEELj320ELj1ELj10EEvPKT0_PS4_,"axG",@progbits,_Z17sort_pairs_kernelI22helper_blocked_stripedN15benchmark_utils11custom_typeIiiEELj320ELj1ELj10EEvPKT0_PS4_,comdat
	.protected	_Z17sort_pairs_kernelI22helper_blocked_stripedN15benchmark_utils11custom_typeIiiEELj320ELj1ELj10EEvPKT0_PS4_ ; -- Begin function _Z17sort_pairs_kernelI22helper_blocked_stripedN15benchmark_utils11custom_typeIiiEELj320ELj1ELj10EEvPKT0_PS4_
	.globl	_Z17sort_pairs_kernelI22helper_blocked_stripedN15benchmark_utils11custom_typeIiiEELj320ELj1ELj10EEvPKT0_PS4_
	.p2align	8
	.type	_Z17sort_pairs_kernelI22helper_blocked_stripedN15benchmark_utils11custom_typeIiiEELj320ELj1ELj10EEvPKT0_PS4_,@function
_Z17sort_pairs_kernelI22helper_blocked_stripedN15benchmark_utils11custom_typeIiiEELj320ELj1ELj10EEvPKT0_PS4_: ; @_Z17sort_pairs_kernelI22helper_blocked_stripedN15benchmark_utils11custom_typeIiiEELj320ELj1ELj10EEvPKT0_PS4_
; %bb.0:
	s_load_dwordx4 s[28:31], s[4:5], 0x0
	s_load_dword s26, s[4:5], 0x1c
	s_mul_i32 s36, s6, 0x140
	s_mov_b32 s37, 0
	s_lshl_b64 s[34:35], s[36:37], 3
	s_waitcnt lgkmcnt(0)
	s_add_u32 s0, s28, s34
	s_addc_u32 s1, s29, s35
	v_lshlrev_b32_e32 v3, 3, v0
	global_load_dwordx2 v[3:4], v3, s[0:1]
	s_lshr_b32 s27, s26, 16
	s_and_b32 s26, s26, 0xffff
	v_mad_u32_u24 v1, v2, s27, v1
	v_mbcnt_lo_u32_b32 v5, -1, 0
	v_mad_u64_u32 v[1:2], s[26:27], v1, s26, v[0:1]
	v_mbcnt_hi_u32_b32 v5, -1, v5
	v_and_b32_e32 v6, 0x1c0, v0
	v_subrev_co_u32_e64 v19, s[8:9], 1, v5
	v_and_b32_e32 v20, 64, v5
	v_lshlrev_b32_e32 v16, 4, v0
	v_lshrrev_b32_e32 v7, 4, v0
	v_lshlrev_b32_e32 v22, 3, v6
	v_min_u32_e32 v6, 0x100, v6
	v_cmp_lt_i32_e32 vcc, v19, v20
	v_lshlrev_b32_e32 v8, 2, v0
	v_and_b32_e32 v9, 15, v5
	v_and_b32_e32 v10, 16, v5
	v_cmp_lt_u32_e64 s[6:7], 31, v5
	v_and_b32_e32 v21, 7, v5
	v_and_b32_e32 v17, 28, v7
	v_mad_i32_i24 v18, v0, -12, v16
	v_cndmask_b32_e32 v7, v19, v5, vcc
	v_lshl_add_u32 v19, v5, 3, v22
	v_or_b32_e32 v5, 63, v6
	v_lshrrev_b32_e32 v1, 4, v1
	s_movk_i32 s33, 0xff
	v_mov_b32_e32 v11, 20
	v_mov_b32_e32 v12, 27
	;; [unrolled: 1-line block ×5, first 2 shown]
	v_cmp_gt_u32_e64 s[0:1], 5, v0
	v_cmp_lt_u32_e64 s[2:3], 63, v0
	v_cmp_eq_u32_e64 s[4:5], 0, v0
	v_cmp_eq_u32_e64 s[10:11], 0, v9
	v_cmp_lt_u32_e64 s[12:13], 1, v9
	v_cmp_lt_u32_e64 s[14:15], 3, v9
	;; [unrolled: 1-line block ×3, first 2 shown]
	v_cmp_eq_u32_e64 s[18:19], 0, v10
	v_cmp_eq_u32_e64 s[20:21], 0, v21
	v_cmp_lt_u32_e64 s[22:23], 1, v21
	v_cmp_lt_u32_e64 s[24:25], 3, v21
	v_add_u32_e32 v20, v18, v8
	v_add_u32_e32 v21, -4, v17
	v_cmp_eq_u32_e64 s[26:27], v0, v5
	v_lshlrev_b32_e32 v22, 2, v7
	v_and_b32_e32 v23, 0xffffffc, v1
	v_mov_b32_e32 v1, 0
	s_waitcnt vmcnt(0)
	v_add_u32_e32 v6, 1, v4
	v_add_u32_e32 v5, 1, v3
	v_xor_b32_e32 v3, 0x80000000, v3
	v_xor_b32_e32 v4, 0x80000000, v4
	s_branch .LBB369_2
.LBB369_1:                              ;   in Loop: Header=BB369_2 Depth=1
	s_barrier
	ds_write_b64 v2, v[9:10]
	s_waitcnt lgkmcnt(0)
	s_barrier
	ds_read_b64 v[3:4], v20
	s_waitcnt lgkmcnt(0)
	s_barrier
	ds_write_b64 v2, v[7:8]
	s_waitcnt lgkmcnt(0)
	s_barrier
	ds_read_b64 v[5:6], v20
	s_add_i32 s37, s37, 1
	s_cmp_eq_u32 s37, 10
	s_cbranch_scc1 .LBB369_38
.LBB369_2:                              ; =>This Loop Header: Depth=1
                                        ;     Child Loop BB369_28 Depth 2
	v_and_b32_e32 v2, 1, v4
	v_add_co_u32_e32 v7, vcc, -1, v2
	v_addc_co_u32_e64 v8, s[28:29], 0, -1, vcc
	v_cmp_ne_u32_e32 vcc, 0, v2
	v_xor_b32_e32 v2, vcc_hi, v8
	v_and_b32_e32 v8, exec_hi, v2
	v_lshlrev_b32_e32 v2, 30, v4
	v_xor_b32_e32 v7, vcc_lo, v7
	v_cmp_gt_i64_e32 vcc, 0, v[1:2]
	v_not_b32_e32 v2, v2
	v_ashrrev_i32_e32 v2, 31, v2
	v_and_b32_e32 v7, exec_lo, v7
	v_xor_b32_e32 v10, vcc_hi, v2
	v_xor_b32_e32 v2, vcc_lo, v2
	v_and_b32_e32 v7, v7, v2
	v_lshlrev_b32_e32 v2, 29, v4
	v_cmp_gt_i64_e32 vcc, 0, v[1:2]
	v_not_b32_e32 v2, v2
	v_ashrrev_i32_e32 v2, 31, v2
	v_and_b32_e32 v8, v8, v10
	v_xor_b32_e32 v10, vcc_hi, v2
	v_xor_b32_e32 v2, vcc_lo, v2
	v_and_b32_e32 v7, v7, v2
	v_lshlrev_b32_e32 v2, 28, v4
	v_cmp_gt_i64_e32 vcc, 0, v[1:2]
	v_not_b32_e32 v2, v2
	v_ashrrev_i32_e32 v2, 31, v2
	v_and_b32_e32 v8, v8, v10
	v_xor_b32_e32 v10, vcc_hi, v2
	v_xor_b32_e32 v2, vcc_lo, v2
	v_and_b32_e32 v7, v7, v2
	v_lshlrev_b32_e32 v2, 27, v4
	v_cmp_gt_i64_e32 vcc, 0, v[1:2]
	v_not_b32_e32 v2, v2
	v_ashrrev_i32_e32 v2, 31, v2
	v_and_b32_e32 v8, v8, v10
	v_xor_b32_e32 v10, vcc_hi, v2
	v_xor_b32_e32 v2, vcc_lo, v2
	v_and_b32_e32 v7, v7, v2
	v_lshlrev_b32_e32 v2, 26, v4
	v_cmp_gt_i64_e32 vcc, 0, v[1:2]
	v_not_b32_e32 v2, v2
	v_ashrrev_i32_e32 v2, 31, v2
	v_and_b32_e32 v8, v8, v10
	v_xor_b32_e32 v10, vcc_hi, v2
	v_xor_b32_e32 v2, vcc_lo, v2
	v_and_b32_e32 v7, v7, v2
	v_lshlrev_b32_e32 v2, 25, v4
	v_cmp_gt_i64_e32 vcc, 0, v[1:2]
	v_not_b32_e32 v2, v2
	v_ashrrev_i32_e32 v2, 31, v2
	v_and_b32_e32 v8, v8, v10
	v_xor_b32_e32 v10, vcc_hi, v2
	v_xor_b32_e32 v2, vcc_lo, v2
	v_and_b32_e32 v7, v7, v2
	v_lshlrev_b32_e32 v2, 24, v4
	v_cmp_gt_i64_e32 vcc, 0, v[1:2]
	v_not_b32_e32 v2, v2
	v_ashrrev_i32_e32 v2, 31, v2
	v_and_b32_e32 v8, v8, v10
	v_xor_b32_e32 v10, vcc_hi, v2
	v_xor_b32_e32 v2, vcc_lo, v2
	v_and_b32_e32 v7, v7, v2
	v_and_b32_e32 v8, v8, v10
	v_mbcnt_lo_u32_b32 v2, v7, 0
	v_mbcnt_hi_u32_b32 v2, v8, v2
	v_cmp_ne_u64_e32 vcc, 0, v[7:8]
	v_mul_u32_u24_sdwa v9, v4, v11 dst_sel:DWORD dst_unused:UNUSED_PAD src0_sel:BYTE_0 src1_sel:DWORD
	v_cmp_eq_u32_e64 s[28:29], 0, v2
	s_and_b64 s[38:39], s[28:29], vcc
	v_add_u32_e32 v24, v23, v9
	ds_write2_b32 v16, v1, v1 offset0:5 offset1:6
	ds_write2_b32 v16, v1, v1 offset0:7 offset1:8
	s_waitcnt lgkmcnt(0)
	s_barrier
	; wave barrier
	s_and_saveexec_b64 s[28:29], s[38:39]
; %bb.3:                                ;   in Loop: Header=BB369_2 Depth=1
	v_bcnt_u32_b32 v7, v7, 0
	v_bcnt_u32_b32 v7, v8, v7
	ds_write_b32 v24, v7 offset:20
; %bb.4:                                ;   in Loop: Header=BB369_2 Depth=1
	s_or_b64 exec, exec, s[28:29]
	; wave barrier
	s_waitcnt lgkmcnt(0)
	s_barrier
	ds_read2_b32 v[9:10], v16 offset0:5 offset1:6
	ds_read2_b32 v[7:8], v16 offset0:7 offset1:8
	s_waitcnt lgkmcnt(1)
	v_add_u32_e32 v25, v10, v9
	s_waitcnt lgkmcnt(0)
	v_add3_u32 v8, v25, v7, v8
	s_nop 1
	v_mov_b32_dpp v25, v8 row_shr:1 row_mask:0xf bank_mask:0xf
	v_cndmask_b32_e64 v25, v25, 0, s[10:11]
	v_add_u32_e32 v8, v25, v8
	s_nop 1
	v_mov_b32_dpp v25, v8 row_shr:2 row_mask:0xf bank_mask:0xf
	v_cndmask_b32_e64 v25, 0, v25, s[12:13]
	v_add_u32_e32 v8, v8, v25
	;; [unrolled: 4-line block ×4, first 2 shown]
	s_nop 1
	v_mov_b32_dpp v25, v8 row_bcast:15 row_mask:0xf bank_mask:0xf
	v_cndmask_b32_e64 v25, v25, 0, s[18:19]
	v_add_u32_e32 v8, v8, v25
	s_nop 1
	v_mov_b32_dpp v25, v8 row_bcast:31 row_mask:0xf bank_mask:0xf
	v_cndmask_b32_e64 v25, 0, v25, s[6:7]
	v_add_u32_e32 v8, v8, v25
	s_and_saveexec_b64 s[28:29], s[26:27]
; %bb.5:                                ;   in Loop: Header=BB369_2 Depth=1
	ds_write_b32 v17, v8
; %bb.6:                                ;   in Loop: Header=BB369_2 Depth=1
	s_or_b64 exec, exec, s[28:29]
	s_waitcnt lgkmcnt(0)
	s_barrier
	s_and_saveexec_b64 s[28:29], s[0:1]
	s_cbranch_execz .LBB369_8
; %bb.7:                                ;   in Loop: Header=BB369_2 Depth=1
	ds_read_b32 v25, v18
	s_waitcnt lgkmcnt(0)
	s_nop 0
	v_mov_b32_dpp v26, v25 row_shr:1 row_mask:0xf bank_mask:0xf
	v_cndmask_b32_e64 v26, v26, 0, s[20:21]
	v_add_u32_e32 v25, v26, v25
	s_nop 1
	v_mov_b32_dpp v26, v25 row_shr:2 row_mask:0xf bank_mask:0xf
	v_cndmask_b32_e64 v26, 0, v26, s[22:23]
	v_add_u32_e32 v25, v25, v26
	;; [unrolled: 4-line block ×3, first 2 shown]
	ds_write_b32 v18, v25
.LBB369_8:                              ;   in Loop: Header=BB369_2 Depth=1
	s_or_b64 exec, exec, s[28:29]
	v_mov_b32_e32 v25, 0
	s_waitcnt lgkmcnt(0)
	s_barrier
	s_and_saveexec_b64 s[28:29], s[2:3]
; %bb.9:                                ;   in Loop: Header=BB369_2 Depth=1
	ds_read_b32 v25, v21
; %bb.10:                               ;   in Loop: Header=BB369_2 Depth=1
	s_or_b64 exec, exec, s[28:29]
	s_waitcnt lgkmcnt(0)
	v_add_u32_e32 v8, v25, v8
	ds_bpermute_b32 v8, v22, v8
	v_lshlrev_b32_e32 v2, 3, v2
	s_waitcnt lgkmcnt(0)
	v_cndmask_b32_e64 v8, v8, v25, s[8:9]
	v_cndmask_b32_e64 v8, v8, 0, s[4:5]
	v_add_u32_e32 v9, v8, v9
	v_add_u32_e32 v10, v9, v10
	;; [unrolled: 1-line block ×3, first 2 shown]
	ds_write2_b32 v16, v8, v9 offset0:5 offset1:6
	ds_write2_b32 v16, v10, v7 offset0:7 offset1:8
	s_waitcnt lgkmcnt(0)
	s_barrier
	ds_read_b32 v7, v24 offset:20
	s_waitcnt lgkmcnt(0)
	s_barrier
	v_lshl_add_u32 v2, v7, 3, v2
	ds_write_b64 v2, v[3:4]
	s_waitcnt lgkmcnt(0)
	s_barrier
	ds_read_b64 v[3:4], v19
	s_waitcnt lgkmcnt(0)
	s_barrier
	ds_write_b64 v2, v[5:6]
	v_lshrrev_b32_e32 v7, 8, v4
	v_and_b32_e32 v2, 1, v7
	v_add_co_u32_e32 v8, vcc, -1, v2
	v_addc_co_u32_e64 v10, s[28:29], 0, -1, vcc
	v_cmp_ne_u32_e32 vcc, 0, v2
	v_xor_b32_e32 v2, vcc_hi, v10
	v_and_b32_e32 v10, exec_hi, v2
	v_lshlrev_b32_e32 v2, 30, v7
	v_xor_b32_e32 v8, vcc_lo, v8
	v_cmp_gt_i64_e32 vcc, 0, v[1:2]
	v_not_b32_e32 v2, v2
	v_ashrrev_i32_e32 v2, 31, v2
	v_and_b32_e32 v8, exec_lo, v8
	v_xor_b32_e32 v24, vcc_hi, v2
	v_xor_b32_e32 v2, vcc_lo, v2
	v_and_b32_e32 v8, v8, v2
	v_lshlrev_b32_e32 v2, 29, v7
	v_cmp_gt_i64_e32 vcc, 0, v[1:2]
	v_not_b32_e32 v2, v2
	v_ashrrev_i32_e32 v2, 31, v2
	v_and_b32_e32 v10, v10, v24
	v_xor_b32_e32 v24, vcc_hi, v2
	v_xor_b32_e32 v2, vcc_lo, v2
	v_and_b32_e32 v8, v8, v2
	v_lshlrev_b32_e32 v2, 28, v7
	v_cmp_gt_i64_e32 vcc, 0, v[1:2]
	v_not_b32_e32 v2, v2
	v_ashrrev_i32_e32 v2, 31, v2
	v_and_b32_e32 v10, v10, v24
	v_xor_b32_e32 v24, vcc_hi, v2
	v_xor_b32_e32 v2, vcc_lo, v2
	v_and_b32_e32 v8, v8, v2
	v_lshlrev_b32_e32 v2, 27, v7
	v_cmp_gt_i64_e32 vcc, 0, v[1:2]
	v_not_b32_e32 v2, v2
	v_ashrrev_i32_e32 v2, 31, v2
	v_and_b32_e32 v10, v10, v24
	v_xor_b32_e32 v24, vcc_hi, v2
	v_xor_b32_e32 v2, vcc_lo, v2
	v_and_b32_e32 v8, v8, v2
	v_lshlrev_b32_e32 v2, 26, v7
	v_cmp_gt_i64_e32 vcc, 0, v[1:2]
	v_not_b32_e32 v2, v2
	v_ashrrev_i32_e32 v2, 31, v2
	v_and_b32_e32 v10, v10, v24
	v_xor_b32_e32 v24, vcc_hi, v2
	v_xor_b32_e32 v2, vcc_lo, v2
	v_and_b32_e32 v8, v8, v2
	v_lshlrev_b32_e32 v2, 25, v7
	v_cmp_gt_i64_e32 vcc, 0, v[1:2]
	v_not_b32_e32 v2, v2
	v_ashrrev_i32_e32 v2, 31, v2
	v_and_b32_e32 v10, v10, v24
	v_xor_b32_e32 v24, vcc_hi, v2
	v_xor_b32_e32 v2, vcc_lo, v2
	v_and_b32_e32 v10, v10, v24
	v_and_b32_e32 v24, v8, v2
	v_lshlrev_b32_e32 v2, 24, v7
	v_cmp_gt_i64_e32 vcc, 0, v[1:2]
	v_not_b32_e32 v2, v2
	v_ashrrev_i32_e32 v2, 31, v2
	v_mul_u32_u24_sdwa v9, v7, v11 dst_sel:DWORD dst_unused:UNUSED_PAD src0_sel:BYTE_0 src1_sel:DWORD
	v_xor_b32_e32 v7, vcc_hi, v2
	v_xor_b32_e32 v2, vcc_lo, v2
	s_waitcnt lgkmcnt(0)
	s_barrier
	ds_read_b64 v[5:6], v19
	v_and_b32_e32 v8, v10, v7
	v_and_b32_e32 v7, v24, v2
	v_mbcnt_lo_u32_b32 v2, v7, 0
	v_mbcnt_hi_u32_b32 v2, v8, v2
	v_cmp_ne_u64_e32 vcc, 0, v[7:8]
	v_cmp_eq_u32_e64 s[28:29], 0, v2
	s_and_b64 s[38:39], s[28:29], vcc
	v_add_u32_e32 v24, v23, v9
	s_waitcnt lgkmcnt(0)
	s_barrier
	ds_write2_b32 v16, v1, v1 offset0:5 offset1:6
	ds_write2_b32 v16, v1, v1 offset0:7 offset1:8
	s_waitcnt lgkmcnt(0)
	s_barrier
	; wave barrier
	s_and_saveexec_b64 s[28:29], s[38:39]
; %bb.11:                               ;   in Loop: Header=BB369_2 Depth=1
	v_bcnt_u32_b32 v7, v7, 0
	v_bcnt_u32_b32 v7, v8, v7
	ds_write_b32 v24, v7 offset:20
; %bb.12:                               ;   in Loop: Header=BB369_2 Depth=1
	s_or_b64 exec, exec, s[28:29]
	; wave barrier
	s_waitcnt lgkmcnt(0)
	s_barrier
	ds_read2_b32 v[9:10], v16 offset0:5 offset1:6
	ds_read2_b32 v[7:8], v16 offset0:7 offset1:8
	s_waitcnt lgkmcnt(1)
	v_add_u32_e32 v25, v10, v9
	s_waitcnt lgkmcnt(0)
	v_add3_u32 v8, v25, v7, v8
	s_nop 1
	v_mov_b32_dpp v25, v8 row_shr:1 row_mask:0xf bank_mask:0xf
	v_cndmask_b32_e64 v25, v25, 0, s[10:11]
	v_add_u32_e32 v8, v25, v8
	s_nop 1
	v_mov_b32_dpp v25, v8 row_shr:2 row_mask:0xf bank_mask:0xf
	v_cndmask_b32_e64 v25, 0, v25, s[12:13]
	v_add_u32_e32 v8, v8, v25
	;; [unrolled: 4-line block ×4, first 2 shown]
	s_nop 1
	v_mov_b32_dpp v25, v8 row_bcast:15 row_mask:0xf bank_mask:0xf
	v_cndmask_b32_e64 v25, v25, 0, s[18:19]
	v_add_u32_e32 v8, v8, v25
	s_nop 1
	v_mov_b32_dpp v25, v8 row_bcast:31 row_mask:0xf bank_mask:0xf
	v_cndmask_b32_e64 v25, 0, v25, s[6:7]
	v_add_u32_e32 v8, v8, v25
	s_and_saveexec_b64 s[28:29], s[26:27]
; %bb.13:                               ;   in Loop: Header=BB369_2 Depth=1
	ds_write_b32 v17, v8
; %bb.14:                               ;   in Loop: Header=BB369_2 Depth=1
	s_or_b64 exec, exec, s[28:29]
	s_waitcnt lgkmcnt(0)
	s_barrier
	s_and_saveexec_b64 s[28:29], s[0:1]
	s_cbranch_execz .LBB369_16
; %bb.15:                               ;   in Loop: Header=BB369_2 Depth=1
	ds_read_b32 v25, v18
	s_waitcnt lgkmcnt(0)
	s_nop 0
	v_mov_b32_dpp v26, v25 row_shr:1 row_mask:0xf bank_mask:0xf
	v_cndmask_b32_e64 v26, v26, 0, s[20:21]
	v_add_u32_e32 v25, v26, v25
	s_nop 1
	v_mov_b32_dpp v26, v25 row_shr:2 row_mask:0xf bank_mask:0xf
	v_cndmask_b32_e64 v26, 0, v26, s[22:23]
	v_add_u32_e32 v25, v25, v26
	;; [unrolled: 4-line block ×3, first 2 shown]
	ds_write_b32 v18, v25
.LBB369_16:                             ;   in Loop: Header=BB369_2 Depth=1
	s_or_b64 exec, exec, s[28:29]
	v_mov_b32_e32 v25, 0
	s_waitcnt lgkmcnt(0)
	s_barrier
	s_and_saveexec_b64 s[28:29], s[2:3]
; %bb.17:                               ;   in Loop: Header=BB369_2 Depth=1
	ds_read_b32 v25, v21
; %bb.18:                               ;   in Loop: Header=BB369_2 Depth=1
	s_or_b64 exec, exec, s[28:29]
	s_waitcnt lgkmcnt(0)
	v_add_u32_e32 v8, v25, v8
	ds_bpermute_b32 v8, v22, v8
	v_lshlrev_b32_e32 v2, 3, v2
	s_waitcnt lgkmcnt(0)
	v_cndmask_b32_e64 v8, v8, v25, s[8:9]
	v_cndmask_b32_e64 v8, v8, 0, s[4:5]
	v_add_u32_e32 v9, v8, v9
	v_add_u32_e32 v10, v9, v10
	;; [unrolled: 1-line block ×3, first 2 shown]
	ds_write2_b32 v16, v8, v9 offset0:5 offset1:6
	ds_write2_b32 v16, v10, v7 offset0:7 offset1:8
	s_waitcnt lgkmcnt(0)
	s_barrier
	ds_read_b32 v7, v24 offset:20
	s_waitcnt lgkmcnt(0)
	s_barrier
	v_lshl_add_u32 v2, v7, 3, v2
	ds_write_b64 v2, v[3:4]
	s_waitcnt lgkmcnt(0)
	s_barrier
	ds_read_b64 v[3:4], v19
	s_waitcnt lgkmcnt(0)
	s_barrier
	ds_write_b64 v2, v[5:6]
	v_and_b32_sdwa v2, v4, s33 dst_sel:DWORD dst_unused:UNUSED_PAD src0_sel:WORD_1 src1_sel:DWORD
	v_mul_u32_u24_e32 v9, 20, v2
	v_mov_b32_e32 v2, 1
	v_and_b32_sdwa v2, v4, v2 dst_sel:DWORD dst_unused:UNUSED_PAD src0_sel:WORD_1 src1_sel:DWORD
	v_add_co_u32_e32 v7, vcc, -1, v2
	v_addc_co_u32_e64 v8, s[28:29], 0, -1, vcc
	v_cmp_ne_u32_e32 vcc, 0, v2
	v_xor_b32_e32 v2, vcc_hi, v8
	v_and_b32_e32 v8, exec_hi, v2
	v_mov_b32_e32 v2, 30
	v_lshlrev_b32_sdwa v2, v2, v4 dst_sel:DWORD dst_unused:UNUSED_PAD src0_sel:DWORD src1_sel:WORD_1
	v_xor_b32_e32 v7, vcc_lo, v7
	v_cmp_gt_i64_e32 vcc, 0, v[1:2]
	v_not_b32_e32 v2, v2
	v_ashrrev_i32_e32 v2, 31, v2
	v_and_b32_e32 v7, exec_lo, v7
	v_xor_b32_e32 v10, vcc_hi, v2
	v_xor_b32_e32 v2, vcc_lo, v2
	v_and_b32_e32 v7, v7, v2
	v_mov_b32_e32 v2, 29
	v_lshlrev_b32_sdwa v2, v2, v4 dst_sel:DWORD dst_unused:UNUSED_PAD src0_sel:DWORD src1_sel:WORD_1
	v_cmp_gt_i64_e32 vcc, 0, v[1:2]
	v_not_b32_e32 v2, v2
	v_ashrrev_i32_e32 v2, 31, v2
	v_and_b32_e32 v8, v8, v10
	v_xor_b32_e32 v10, vcc_hi, v2
	v_xor_b32_e32 v2, vcc_lo, v2
	v_and_b32_e32 v7, v7, v2
	v_mov_b32_e32 v2, 28
	v_lshlrev_b32_sdwa v2, v2, v4 dst_sel:DWORD dst_unused:UNUSED_PAD src0_sel:DWORD src1_sel:WORD_1
	v_cmp_gt_i64_e32 vcc, 0, v[1:2]
	v_not_b32_e32 v2, v2
	v_ashrrev_i32_e32 v2, 31, v2
	v_and_b32_e32 v8, v8, v10
	v_xor_b32_e32 v10, vcc_hi, v2
	v_xor_b32_e32 v2, vcc_lo, v2
	v_and_b32_e32 v7, v7, v2
	v_lshlrev_b32_sdwa v2, v12, v4 dst_sel:DWORD dst_unused:UNUSED_PAD src0_sel:DWORD src1_sel:WORD_1
	v_cmp_gt_i64_e32 vcc, 0, v[1:2]
	v_not_b32_e32 v2, v2
	v_ashrrev_i32_e32 v2, 31, v2
	v_and_b32_e32 v8, v8, v10
	v_xor_b32_e32 v10, vcc_hi, v2
	v_xor_b32_e32 v2, vcc_lo, v2
	v_and_b32_e32 v7, v7, v2
	;; [unrolled: 8-line block ×4, first 2 shown]
	v_lshlrev_b32_sdwa v2, v15, v4 dst_sel:DWORD dst_unused:UNUSED_PAD src0_sel:DWORD src1_sel:WORD_1
	v_cmp_gt_i64_e32 vcc, 0, v[1:2]
	v_not_b32_e32 v2, v2
	v_ashrrev_i32_e32 v2, 31, v2
	v_and_b32_e32 v8, v8, v10
	v_xor_b32_e32 v10, vcc_hi, v2
	v_xor_b32_e32 v2, vcc_lo, v2
	s_waitcnt lgkmcnt(0)
	s_barrier
	ds_read_b64 v[5:6], v19
	v_and_b32_e32 v7, v7, v2
	v_and_b32_e32 v8, v8, v10
	v_mbcnt_lo_u32_b32 v2, v7, 0
	v_mbcnt_hi_u32_b32 v2, v8, v2
	v_cmp_ne_u64_e32 vcc, 0, v[7:8]
	v_cmp_eq_u32_e64 s[28:29], 0, v2
	s_and_b64 s[38:39], s[28:29], vcc
	v_add_u32_e32 v24, v23, v9
	s_waitcnt lgkmcnt(0)
	s_barrier
	ds_write2_b32 v16, v1, v1 offset0:5 offset1:6
	ds_write2_b32 v16, v1, v1 offset0:7 offset1:8
	s_waitcnt lgkmcnt(0)
	s_barrier
	; wave barrier
	s_and_saveexec_b64 s[28:29], s[38:39]
; %bb.19:                               ;   in Loop: Header=BB369_2 Depth=1
	v_bcnt_u32_b32 v7, v7, 0
	v_bcnt_u32_b32 v7, v8, v7
	ds_write_b32 v24, v7 offset:20
; %bb.20:                               ;   in Loop: Header=BB369_2 Depth=1
	s_or_b64 exec, exec, s[28:29]
	; wave barrier
	s_waitcnt lgkmcnt(0)
	s_barrier
	ds_read2_b32 v[9:10], v16 offset0:5 offset1:6
	ds_read2_b32 v[7:8], v16 offset0:7 offset1:8
	s_waitcnt lgkmcnt(1)
	v_add_u32_e32 v25, v10, v9
	s_waitcnt lgkmcnt(0)
	v_add3_u32 v8, v25, v7, v8
	s_nop 1
	v_mov_b32_dpp v25, v8 row_shr:1 row_mask:0xf bank_mask:0xf
	v_cndmask_b32_e64 v25, v25, 0, s[10:11]
	v_add_u32_e32 v8, v25, v8
	s_nop 1
	v_mov_b32_dpp v25, v8 row_shr:2 row_mask:0xf bank_mask:0xf
	v_cndmask_b32_e64 v25, 0, v25, s[12:13]
	v_add_u32_e32 v8, v8, v25
	;; [unrolled: 4-line block ×4, first 2 shown]
	s_nop 1
	v_mov_b32_dpp v25, v8 row_bcast:15 row_mask:0xf bank_mask:0xf
	v_cndmask_b32_e64 v25, v25, 0, s[18:19]
	v_add_u32_e32 v8, v8, v25
	s_nop 1
	v_mov_b32_dpp v25, v8 row_bcast:31 row_mask:0xf bank_mask:0xf
	v_cndmask_b32_e64 v25, 0, v25, s[6:7]
	v_add_u32_e32 v8, v8, v25
	s_and_saveexec_b64 s[28:29], s[26:27]
; %bb.21:                               ;   in Loop: Header=BB369_2 Depth=1
	ds_write_b32 v17, v8
; %bb.22:                               ;   in Loop: Header=BB369_2 Depth=1
	s_or_b64 exec, exec, s[28:29]
	s_waitcnt lgkmcnt(0)
	s_barrier
	s_and_saveexec_b64 s[28:29], s[0:1]
	s_cbranch_execz .LBB369_24
; %bb.23:                               ;   in Loop: Header=BB369_2 Depth=1
	ds_read_b32 v25, v18
	s_waitcnt lgkmcnt(0)
	s_nop 0
	v_mov_b32_dpp v26, v25 row_shr:1 row_mask:0xf bank_mask:0xf
	v_cndmask_b32_e64 v26, v26, 0, s[20:21]
	v_add_u32_e32 v25, v26, v25
	s_nop 1
	v_mov_b32_dpp v26, v25 row_shr:2 row_mask:0xf bank_mask:0xf
	v_cndmask_b32_e64 v26, 0, v26, s[22:23]
	v_add_u32_e32 v25, v25, v26
	;; [unrolled: 4-line block ×3, first 2 shown]
	ds_write_b32 v18, v25
.LBB369_24:                             ;   in Loop: Header=BB369_2 Depth=1
	s_or_b64 exec, exec, s[28:29]
	v_mov_b32_e32 v25, 0
	s_waitcnt lgkmcnt(0)
	s_barrier
	s_and_saveexec_b64 s[28:29], s[2:3]
; %bb.25:                               ;   in Loop: Header=BB369_2 Depth=1
	ds_read_b32 v25, v21
; %bb.26:                               ;   in Loop: Header=BB369_2 Depth=1
	s_or_b64 exec, exec, s[28:29]
	s_waitcnt lgkmcnt(0)
	v_add_u32_e32 v8, v25, v8
	ds_bpermute_b32 v8, v22, v8
	v_lshlrev_b32_e32 v2, 3, v2
	s_mov_b32 s36, 24
	s_mov_b32 s38, 8
	s_waitcnt lgkmcnt(0)
	v_cndmask_b32_e64 v8, v8, v25, s[8:9]
	v_cndmask_b32_e64 v8, v8, 0, s[4:5]
	v_add_u32_e32 v9, v8, v9
	v_add_u32_e32 v10, v9, v10
	;; [unrolled: 1-line block ×3, first 2 shown]
	ds_write2_b32 v16, v8, v9 offset0:5 offset1:6
	ds_write2_b32 v16, v10, v7 offset0:7 offset1:8
	s_waitcnt lgkmcnt(0)
	s_barrier
	ds_read_b32 v7, v24 offset:20
	s_waitcnt lgkmcnt(0)
	s_barrier
	v_lshl_add_u32 v2, v7, 3, v2
	ds_write_b64 v2, v[3:4]
	s_waitcnt lgkmcnt(0)
	s_barrier
	ds_read_b64 v[3:4], v19
	s_waitcnt lgkmcnt(0)
	s_barrier
	ds_write_b64 v2, v[5:6]
	s_waitcnt lgkmcnt(0)
	s_barrier
	ds_read_b64 v[5:6], v19
	s_waitcnt lgkmcnt(0)
	s_barrier
	s_branch .LBB369_28
.LBB369_27:                             ;   in Loop: Header=BB369_28 Depth=2
	s_barrier
	ds_write_b64 v2, v[9:10]
	s_waitcnt lgkmcnt(0)
	s_barrier
	ds_read_b64 v[3:4], v19
	s_waitcnt lgkmcnt(0)
	s_barrier
	ds_write_b64 v2, v[7:8]
	s_waitcnt lgkmcnt(0)
	s_barrier
	ds_read_b64 v[5:6], v19
	s_add_i32 s38, s38, -8
	s_add_i32 s36, s36, 8
	s_waitcnt lgkmcnt(0)
	s_barrier
	s_cbranch_execz .LBB369_1
.LBB369_28:                             ;   Parent Loop BB369_2 Depth=1
                                        ; =>  This Inner Loop Header: Depth=2
	s_cmp_lt_u32 s36, 32
	s_cselect_b64 vcc, -1, 0
	s_cmp_gt_u32 s36, 31
	s_cselect_b64 s[28:29], -1, 0
	s_max_i32 s39, s38, 0
	s_max_i32 s40, s36, 32
	s_sub_i32 s41, s40, 32
	s_sub_i32 s40, s40, s39
	;; [unrolled: 1-line block ×3, first 2 shown]
	s_min_i32 s40, s40, 32
	s_sub_i32 s40, s40, s41
	s_lshl_b32 s42, -1, s40
	s_not_b32 s42, s42
	s_cmp_lg_u32 s40, 32
	s_cselect_b32 s40, s42, -1
	v_lshrrev_b32_e32 v7, s41, v3
	v_lshrrev_b32_e32 v2, s36, v4
	v_and_b32_e32 v7, s40, v7
	v_bfe_u32 v2, v2, 0, s38
	v_lshlrev_b32_e32 v7, s39, v7
	v_cndmask_b32_e32 v2, 0, v2, vcc
	v_cndmask_b32_e64 v7, 0, v7, s[28:29]
	v_or_b32_e32 v7, v2, v7
	v_and_b32_e32 v2, 1, v7
	v_add_co_u32_e32 v8, vcc, -1, v2
	v_addc_co_u32_e64 v10, s[28:29], 0, -1, vcc
	v_cmp_ne_u32_e32 vcc, 0, v2
	v_xor_b32_e32 v2, vcc_hi, v10
	v_and_b32_e32 v10, exec_hi, v2
	v_lshlrev_b32_e32 v2, 30, v7
	v_xor_b32_e32 v8, vcc_lo, v8
	v_cmp_gt_i64_e32 vcc, 0, v[1:2]
	v_not_b32_e32 v2, v2
	v_ashrrev_i32_e32 v2, 31, v2
	v_and_b32_e32 v8, exec_lo, v8
	v_xor_b32_e32 v24, vcc_hi, v2
	v_xor_b32_e32 v2, vcc_lo, v2
	v_and_b32_e32 v8, v8, v2
	v_lshlrev_b32_e32 v2, 29, v7
	v_cmp_gt_i64_e32 vcc, 0, v[1:2]
	v_not_b32_e32 v2, v2
	v_ashrrev_i32_e32 v2, 31, v2
	v_and_b32_e32 v10, v10, v24
	v_xor_b32_e32 v24, vcc_hi, v2
	v_xor_b32_e32 v2, vcc_lo, v2
	v_and_b32_e32 v8, v8, v2
	v_lshlrev_b32_e32 v2, 28, v7
	v_cmp_gt_i64_e32 vcc, 0, v[1:2]
	v_not_b32_e32 v2, v2
	v_ashrrev_i32_e32 v2, 31, v2
	v_and_b32_e32 v10, v10, v24
	v_xor_b32_e32 v24, vcc_hi, v2
	v_xor_b32_e32 v2, vcc_lo, v2
	v_and_b32_e32 v8, v8, v2
	v_lshlrev_b32_e32 v2, 27, v7
	v_cmp_gt_i64_e32 vcc, 0, v[1:2]
	v_not_b32_e32 v2, v2
	v_ashrrev_i32_e32 v2, 31, v2
	v_and_b32_e32 v10, v10, v24
	v_xor_b32_e32 v24, vcc_hi, v2
	v_xor_b32_e32 v2, vcc_lo, v2
	v_and_b32_e32 v8, v8, v2
	v_lshlrev_b32_e32 v2, 26, v7
	v_cmp_gt_i64_e32 vcc, 0, v[1:2]
	v_not_b32_e32 v2, v2
	v_ashrrev_i32_e32 v2, 31, v2
	v_and_b32_e32 v10, v10, v24
	v_xor_b32_e32 v24, vcc_hi, v2
	v_xor_b32_e32 v2, vcc_lo, v2
	v_and_b32_e32 v8, v8, v2
	v_lshlrev_b32_e32 v2, 25, v7
	v_cmp_gt_i64_e32 vcc, 0, v[1:2]
	v_not_b32_e32 v2, v2
	v_ashrrev_i32_e32 v2, 31, v2
	v_and_b32_e32 v10, v10, v24
	v_xor_b32_e32 v24, vcc_hi, v2
	v_xor_b32_e32 v2, vcc_lo, v2
	v_and_b32_e32 v10, v10, v24
	v_and_b32_e32 v24, v8, v2
	v_lshlrev_b32_e32 v2, 24, v7
	v_cmp_gt_i64_e32 vcc, 0, v[1:2]
	v_not_b32_e32 v2, v2
	v_ashrrev_i32_e32 v2, 31, v2
	v_mul_lo_u32 v9, v7, 20
	v_xor_b32_e32 v7, vcc_hi, v2
	v_xor_b32_e32 v2, vcc_lo, v2
	v_and_b32_e32 v8, v10, v7
	v_and_b32_e32 v7, v24, v2
	v_mbcnt_lo_u32_b32 v2, v7, 0
	v_mbcnt_hi_u32_b32 v2, v8, v2
	v_cmp_ne_u64_e32 vcc, 0, v[7:8]
	v_cmp_eq_u32_e64 s[28:29], 0, v2
	s_and_b64 s[40:41], s[28:29], vcc
	v_add_u32_e32 v24, v23, v9
	ds_write2_b32 v16, v1, v1 offset0:5 offset1:6
	ds_write2_b32 v16, v1, v1 offset0:7 offset1:8
	s_waitcnt lgkmcnt(0)
	s_barrier
	; wave barrier
	s_and_saveexec_b64 s[28:29], s[40:41]
; %bb.29:                               ;   in Loop: Header=BB369_28 Depth=2
	v_bcnt_u32_b32 v7, v7, 0
	v_bcnt_u32_b32 v7, v8, v7
	ds_write_b32 v24, v7 offset:20
; %bb.30:                               ;   in Loop: Header=BB369_28 Depth=2
	s_or_b64 exec, exec, s[28:29]
	; wave barrier
	s_waitcnt lgkmcnt(0)
	s_barrier
	ds_read2_b32 v[9:10], v16 offset0:5 offset1:6
	ds_read2_b32 v[7:8], v16 offset0:7 offset1:8
	s_waitcnt lgkmcnt(1)
	v_add_u32_e32 v25, v10, v9
	s_waitcnt lgkmcnt(0)
	v_add3_u32 v8, v25, v7, v8
	s_nop 1
	v_mov_b32_dpp v25, v8 row_shr:1 row_mask:0xf bank_mask:0xf
	v_cndmask_b32_e64 v25, v25, 0, s[10:11]
	v_add_u32_e32 v8, v25, v8
	s_nop 1
	v_mov_b32_dpp v25, v8 row_shr:2 row_mask:0xf bank_mask:0xf
	v_cndmask_b32_e64 v25, 0, v25, s[12:13]
	v_add_u32_e32 v8, v8, v25
	;; [unrolled: 4-line block ×4, first 2 shown]
	s_nop 1
	v_mov_b32_dpp v25, v8 row_bcast:15 row_mask:0xf bank_mask:0xf
	v_cndmask_b32_e64 v25, v25, 0, s[18:19]
	v_add_u32_e32 v8, v8, v25
	s_nop 1
	v_mov_b32_dpp v25, v8 row_bcast:31 row_mask:0xf bank_mask:0xf
	v_cndmask_b32_e64 v25, 0, v25, s[6:7]
	v_add_u32_e32 v8, v8, v25
	s_and_saveexec_b64 s[28:29], s[26:27]
; %bb.31:                               ;   in Loop: Header=BB369_28 Depth=2
	ds_write_b32 v17, v8
; %bb.32:                               ;   in Loop: Header=BB369_28 Depth=2
	s_or_b64 exec, exec, s[28:29]
	s_waitcnt lgkmcnt(0)
	s_barrier
	s_and_saveexec_b64 s[28:29], s[0:1]
	s_cbranch_execz .LBB369_34
; %bb.33:                               ;   in Loop: Header=BB369_28 Depth=2
	ds_read_b32 v25, v18
	s_waitcnt lgkmcnt(0)
	s_nop 0
	v_mov_b32_dpp v26, v25 row_shr:1 row_mask:0xf bank_mask:0xf
	v_cndmask_b32_e64 v26, v26, 0, s[20:21]
	v_add_u32_e32 v25, v26, v25
	s_nop 1
	v_mov_b32_dpp v26, v25 row_shr:2 row_mask:0xf bank_mask:0xf
	v_cndmask_b32_e64 v26, 0, v26, s[22:23]
	v_add_u32_e32 v25, v25, v26
	;; [unrolled: 4-line block ×3, first 2 shown]
	ds_write_b32 v18, v25
.LBB369_34:                             ;   in Loop: Header=BB369_28 Depth=2
	s_or_b64 exec, exec, s[28:29]
	v_mov_b32_e32 v25, 0
	s_waitcnt lgkmcnt(0)
	s_barrier
	s_and_saveexec_b64 s[28:29], s[2:3]
; %bb.35:                               ;   in Loop: Header=BB369_28 Depth=2
	ds_read_b32 v25, v21
; %bb.36:                               ;   in Loop: Header=BB369_28 Depth=2
	s_or_b64 exec, exec, s[28:29]
	s_waitcnt lgkmcnt(0)
	v_add_u32_e32 v8, v25, v8
	ds_bpermute_b32 v8, v22, v8
	v_lshlrev_b32_e32 v2, 3, v2
	s_cmp_gt_u32 s36, 55
	s_waitcnt lgkmcnt(0)
	v_cndmask_b32_e64 v8, v8, v25, s[8:9]
	v_cndmask_b32_e64 v8, v8, 0, s[4:5]
	v_add_u32_e32 v9, v8, v9
	v_add_u32_e32 v10, v9, v10
	;; [unrolled: 1-line block ×3, first 2 shown]
	ds_write2_b32 v16, v8, v9 offset0:5 offset1:6
	ds_write2_b32 v16, v10, v7 offset0:7 offset1:8
	s_waitcnt lgkmcnt(0)
	s_barrier
	ds_read_b32 v7, v24 offset:20
	v_mov_b32_e32 v9, v3
	v_mov_b32_e32 v10, v4
	;; [unrolled: 1-line block ×3, first 2 shown]
	s_waitcnt lgkmcnt(0)
	v_lshl_add_u32 v2, v7, 3, v2
	v_mov_b32_e32 v7, v5
	s_cbranch_scc0 .LBB369_27
; %bb.37:                               ;   in Loop: Header=BB369_2 Depth=1
                                        ; implicit-def: $sgpr36
                                        ; implicit-def: $vgpr5
                                        ; implicit-def: $vgpr3
                                        ; implicit-def: $sgpr38
	s_branch .LBB369_1
.LBB369_38:
	s_brev_b32 s0, 1
	s_waitcnt lgkmcnt(0)
	v_add3_u32 v1, v5, v3, s0
	v_add3_u32 v2, v6, v4, s0
	s_add_u32 s0, s30, s34
	s_addc_u32 s1, s31, s35
	v_lshlrev_b32_e32 v0, 3, v0
	global_store_dwordx2 v0, v[1:2], s[0:1]
	s_endpgm
	.section	.rodata,"a",@progbits
	.p2align	6, 0x0
	.amdhsa_kernel _Z17sort_pairs_kernelI22helper_blocked_stripedN15benchmark_utils11custom_typeIiiEELj320ELj1ELj10EEvPKT0_PS4_
		.amdhsa_group_segment_fixed_size 5152
		.amdhsa_private_segment_fixed_size 0
		.amdhsa_kernarg_size 272
		.amdhsa_user_sgpr_count 6
		.amdhsa_user_sgpr_private_segment_buffer 1
		.amdhsa_user_sgpr_dispatch_ptr 0
		.amdhsa_user_sgpr_queue_ptr 0
		.amdhsa_user_sgpr_kernarg_segment_ptr 1
		.amdhsa_user_sgpr_dispatch_id 0
		.amdhsa_user_sgpr_flat_scratch_init 0
		.amdhsa_user_sgpr_private_segment_size 0
		.amdhsa_uses_dynamic_stack 0
		.amdhsa_system_sgpr_private_segment_wavefront_offset 0
		.amdhsa_system_sgpr_workgroup_id_x 1
		.amdhsa_system_sgpr_workgroup_id_y 0
		.amdhsa_system_sgpr_workgroup_id_z 0
		.amdhsa_system_sgpr_workgroup_info 0
		.amdhsa_system_vgpr_workitem_id 2
		.amdhsa_next_free_vgpr 27
		.amdhsa_next_free_sgpr 43
		.amdhsa_reserve_vcc 1
		.amdhsa_reserve_flat_scratch 0
		.amdhsa_float_round_mode_32 0
		.amdhsa_float_round_mode_16_64 0
		.amdhsa_float_denorm_mode_32 3
		.amdhsa_float_denorm_mode_16_64 3
		.amdhsa_dx10_clamp 1
		.amdhsa_ieee_mode 1
		.amdhsa_fp16_overflow 0
		.amdhsa_exception_fp_ieee_invalid_op 0
		.amdhsa_exception_fp_denorm_src 0
		.amdhsa_exception_fp_ieee_div_zero 0
		.amdhsa_exception_fp_ieee_overflow 0
		.amdhsa_exception_fp_ieee_underflow 0
		.amdhsa_exception_fp_ieee_inexact 0
		.amdhsa_exception_int_div_zero 0
	.end_amdhsa_kernel
	.section	.text._Z17sort_pairs_kernelI22helper_blocked_stripedN15benchmark_utils11custom_typeIiiEELj320ELj1ELj10EEvPKT0_PS4_,"axG",@progbits,_Z17sort_pairs_kernelI22helper_blocked_stripedN15benchmark_utils11custom_typeIiiEELj320ELj1ELj10EEvPKT0_PS4_,comdat
.Lfunc_end369:
	.size	_Z17sort_pairs_kernelI22helper_blocked_stripedN15benchmark_utils11custom_typeIiiEELj320ELj1ELj10EEvPKT0_PS4_, .Lfunc_end369-_Z17sort_pairs_kernelI22helper_blocked_stripedN15benchmark_utils11custom_typeIiiEELj320ELj1ELj10EEvPKT0_PS4_
                                        ; -- End function
	.set _Z17sort_pairs_kernelI22helper_blocked_stripedN15benchmark_utils11custom_typeIiiEELj320ELj1ELj10EEvPKT0_PS4_.num_vgpr, 27
	.set _Z17sort_pairs_kernelI22helper_blocked_stripedN15benchmark_utils11custom_typeIiiEELj320ELj1ELj10EEvPKT0_PS4_.num_agpr, 0
	.set _Z17sort_pairs_kernelI22helper_blocked_stripedN15benchmark_utils11custom_typeIiiEELj320ELj1ELj10EEvPKT0_PS4_.numbered_sgpr, 43
	.set _Z17sort_pairs_kernelI22helper_blocked_stripedN15benchmark_utils11custom_typeIiiEELj320ELj1ELj10EEvPKT0_PS4_.num_named_barrier, 0
	.set _Z17sort_pairs_kernelI22helper_blocked_stripedN15benchmark_utils11custom_typeIiiEELj320ELj1ELj10EEvPKT0_PS4_.private_seg_size, 0
	.set _Z17sort_pairs_kernelI22helper_blocked_stripedN15benchmark_utils11custom_typeIiiEELj320ELj1ELj10EEvPKT0_PS4_.uses_vcc, 1
	.set _Z17sort_pairs_kernelI22helper_blocked_stripedN15benchmark_utils11custom_typeIiiEELj320ELj1ELj10EEvPKT0_PS4_.uses_flat_scratch, 0
	.set _Z17sort_pairs_kernelI22helper_blocked_stripedN15benchmark_utils11custom_typeIiiEELj320ELj1ELj10EEvPKT0_PS4_.has_dyn_sized_stack, 0
	.set _Z17sort_pairs_kernelI22helper_blocked_stripedN15benchmark_utils11custom_typeIiiEELj320ELj1ELj10EEvPKT0_PS4_.has_recursion, 0
	.set _Z17sort_pairs_kernelI22helper_blocked_stripedN15benchmark_utils11custom_typeIiiEELj320ELj1ELj10EEvPKT0_PS4_.has_indirect_call, 0
	.section	.AMDGPU.csdata,"",@progbits
; Kernel info:
; codeLenInByte = 4176
; TotalNumSgprs: 47
; NumVgprs: 27
; ScratchSize: 0
; MemoryBound: 0
; FloatMode: 240
; IeeeMode: 1
; LDSByteSize: 5152 bytes/workgroup (compile time only)
; SGPRBlocks: 5
; VGPRBlocks: 6
; NumSGPRsForWavesPerEU: 47
; NumVGPRsForWavesPerEU: 27
; Occupancy: 9
; WaveLimiterHint : 0
; COMPUTE_PGM_RSRC2:SCRATCH_EN: 0
; COMPUTE_PGM_RSRC2:USER_SGPR: 6
; COMPUTE_PGM_RSRC2:TRAP_HANDLER: 0
; COMPUTE_PGM_RSRC2:TGID_X_EN: 1
; COMPUTE_PGM_RSRC2:TGID_Y_EN: 0
; COMPUTE_PGM_RSRC2:TGID_Z_EN: 0
; COMPUTE_PGM_RSRC2:TIDIG_COMP_CNT: 2
	.section	.text._Z16sort_keys_kernelI22helper_blocked_stripedN15benchmark_utils11custom_typeIiiEELj320ELj3ELj10EEvPKT0_PS4_,"axG",@progbits,_Z16sort_keys_kernelI22helper_blocked_stripedN15benchmark_utils11custom_typeIiiEELj320ELj3ELj10EEvPKT0_PS4_,comdat
	.protected	_Z16sort_keys_kernelI22helper_blocked_stripedN15benchmark_utils11custom_typeIiiEELj320ELj3ELj10EEvPKT0_PS4_ ; -- Begin function _Z16sort_keys_kernelI22helper_blocked_stripedN15benchmark_utils11custom_typeIiiEELj320ELj3ELj10EEvPKT0_PS4_
	.globl	_Z16sort_keys_kernelI22helper_blocked_stripedN15benchmark_utils11custom_typeIiiEELj320ELj3ELj10EEvPKT0_PS4_
	.p2align	8
	.type	_Z16sort_keys_kernelI22helper_blocked_stripedN15benchmark_utils11custom_typeIiiEELj320ELj3ELj10EEvPKT0_PS4_,@function
_Z16sort_keys_kernelI22helper_blocked_stripedN15benchmark_utils11custom_typeIiiEELj320ELj3ELj10EEvPKT0_PS4_: ; @_Z16sort_keys_kernelI22helper_blocked_stripedN15benchmark_utils11custom_typeIiiEELj320ELj3ELj10EEvPKT0_PS4_
; %bb.0:
	s_load_dwordx4 s[36:39], s[4:5], 0x0
	s_load_dword s2, s[4:5], 0x1c
	s_mul_i32 s40, s6, 0x3c0
	s_mov_b32 s41, 0
	s_lshl_b64 s[42:43], s[40:41], 3
	s_waitcnt lgkmcnt(0)
	s_add_u32 s0, s36, s42
	v_mul_u32_u24_e32 v3, 3, v0
	s_addc_u32 s1, s37, s43
	v_lshlrev_b32_e32 v7, 3, v3
	global_load_dwordx2 v[8:9], v7, s[0:1] offset:16
	global_load_dwordx4 v[3:6], v7, s[0:1]
	global_load_dwordx2 v[3:4], v7, s[0:1]
                                        ; kill: killed $sgpr0 killed $sgpr1
	s_lshr_b32 s0, s2, 16
                                        ; kill: killed $vgpr7
	v_mbcnt_lo_u32_b32 v7, -1, 0
	s_and_b32 s1, s2, 0xffff
	v_mad_u32_u24 v1, v2, s0, v1
	v_mbcnt_hi_u32_b32 v7, -1, v7
	v_mad_u64_u32 v[1:2], s[0:1], v1, s1, v[0:1]
	v_lshrrev_b32_e32 v10, 6, v0
	v_and_b32_e32 v2, 15, v7
	v_mul_u32_u24_e32 v11, 0xc0, v10
	v_cmp_eq_u32_e64 s[0:1], 0, v2
	v_cmp_lt_u32_e64 s[2:3], 1, v2
	v_cmp_lt_u32_e64 s[4:5], 3, v2
	;; [unrolled: 1-line block ×3, first 2 shown]
	v_and_b32_e32 v2, 16, v7
	v_lshlrev_b32_e32 v11, 3, v11
	v_lshlrev_b32_e32 v12, 3, v7
	v_cmp_eq_u32_e64 s[8:9], 0, v2
	v_and_b32_e32 v2, 0x1c0, v0
	v_mad_u32_u24 v15, v7, 24, v11
	v_add_u32_e32 v16, v12, v11
	v_min_u32_e32 v11, 0x100, v2
	v_or_b32_e32 v11, 63, v11
	v_cmp_eq_u32_e64 s[10:11], v0, v11
	v_subrev_co_u32_e64 v11, s[12:13], 1, v7
	v_and_b32_e32 v13, 64, v7
	v_cmp_lt_i32_e32 vcc, v11, v13
	v_lshlrev_b32_e32 v17, 4, v0
	v_lshrrev_b32_e32 v1, 4, v1
	v_cmp_lt_u32_e64 s[14:15], 31, v7
	v_cndmask_b32_e32 v11, v11, v7, vcc
	v_and_b32_e32 v7, 7, v7
	v_mad_i32_i24 v20, v0, -12, v17
	v_mul_u32_u24_e32 v2, 24, v2
	v_and_b32_e32 v21, 0xffffffc, v1
	v_lshlrev_b32_e32 v1, 2, v0
	v_cmp_gt_u32_e64 s[16:17], 5, v0
	v_cmp_lt_u32_e64 s[18:19], 63, v0
	v_lshlrev_b32_e32 v18, 2, v11
	v_cmp_eq_u32_e64 s[20:21], 0, v0
	v_lshlrev_b32_e32 v19, 2, v10
	v_cmp_eq_u32_e64 s[22:23], 0, v7
	v_cmp_lt_u32_e64 s[24:25], 1, v7
	v_cmp_lt_u32_e64 s[26:27], 3, v7
	v_add_u32_e32 v22, v12, v2
	v_add_u32_e32 v23, v20, v1
	v_mov_b32_e32 v7, 0
	s_branch .LBB370_2
.LBB370_1:                              ;   in Loop: Header=BB370_2 Depth=1
	s_barrier
	ds_write_b64 v25, v[11:12]
	ds_write_b64 v24, v[9:10]
	;; [unrolled: 1-line block ×3, first 2 shown]
	s_waitcnt lgkmcnt(0)
	s_barrier
	ds_read2st64_b64 v[3:6], v23 offset1:5
	ds_read_b64 v[1:2], v23 offset:5120
	s_add_i32 s41, s41, 1
	s_cmp_eq_u32 s41, 10
	s_waitcnt lgkmcnt(1)
	v_xor_b32_e32 v3, 0x80000000, v3
	v_xor_b32_e32 v4, 0x80000000, v4
	;; [unrolled: 1-line block ×4, first 2 shown]
	s_waitcnt lgkmcnt(0)
	v_xor_b32_e32 v8, 0x80000000, v1
	v_xor_b32_e32 v9, 0x80000000, v2
	s_cbranch_scc1 .LBB370_18
.LBB370_2:                              ; =>This Loop Header: Depth=1
                                        ;     Child Loop BB370_4 Depth 2
	s_waitcnt vmcnt(0)
	v_xor_b32_e32 v2, 0x80000000, v4
	v_xor_b32_e32 v1, 0x80000000, v3
	;; [unrolled: 1-line block ×6, first 2 shown]
	ds_write2_b64 v15, v[1:2], v[3:4] offset1:1
	ds_write_b64 v15, v[5:6] offset:16
	; wave barrier
	ds_read2st64_b64 v[1:4], v16 offset1:1
	ds_read_b64 v[13:14], v16 offset:1024
	s_mov_b32 s33, 8
	s_mov_b32 s36, 32
	;; [unrolled: 1-line block ×3, first 2 shown]
	s_waitcnt lgkmcnt(0)
	s_barrier
	; wave barrier
	s_barrier
	s_branch .LBB370_4
.LBB370_3:                              ;   in Loop: Header=BB370_4 Depth=2
	s_andn2_b64 vcc, exec, s[28:29]
	s_cbranch_vccz .LBB370_1
.LBB370_4:                              ;   Parent Loop BB370_2 Depth=1
                                        ; =>  This Inner Loop Header: Depth=2
	s_min_i32 s30, s33, 32
	s_cmp_lt_u32 s37, 32
	s_cselect_b64 s[28:29], -1, 0
	s_cmp_gt_u32 s37, 31
	s_cselect_b64 vcc, -1, 0
	s_sub_i32 s30, s30, 32
	s_add_i32 s31, s30, s36
	s_lshl_b32 s31, -1, s31
	s_not_b32 s31, s31
	s_cmp_lg_u32 s30, s37
	s_cselect_b32 s44, s31, -1
	s_max_i32 s40, s36, 0
	s_max_i32 s30, s37, 32
	s_sub_i32 s45, s30, 32
	s_sub_i32 s30, s30, s40
	;; [unrolled: 1-line block ×3, first 2 shown]
	s_min_i32 s30, s30, 32
	s_sub_i32 s30, s30, s45
	s_lshl_b32 s31, -1, s30
	v_mov_b32_e32 v12, v2
	s_not_b32 s31, s31
	v_mov_b32_e32 v11, v1
	s_cmp_lg_u32 s30, 32
	s_cselect_b32 s46, s31, -1
	v_lshrrev_b32_e32 v2, s45, v11
	v_lshrrev_b32_e32 v1, s37, v12
	v_and_b32_e32 v2, s46, v2
	v_and_b32_e32 v1, s44, v1
	v_lshlrev_b32_e32 v2, s40, v2
	v_cndmask_b32_e64 v1, 0, v1, s[28:29]
	v_cndmask_b32_e32 v2, 0, v2, vcc
	v_or_b32_e32 v1, v1, v2
	v_mov_b32_e32 v10, v4
	v_and_b32_e32 v2, 1, v1
	v_mov_b32_e32 v9, v3
	v_add_co_u32_e64 v4, s[30:31], -1, v2
	v_addc_co_u32_e64 v8, s[30:31], 0, -1, s[30:31]
	v_cmp_ne_u32_e64 s[30:31], 0, v2
	v_xor_b32_e32 v2, s31, v8
	v_lshlrev_b32_e32 v8, 30, v1
	v_xor_b32_e32 v4, s30, v4
	v_cmp_gt_i64_e64 s[30:31], 0, v[7:8]
	v_not_b32_e32 v8, v8
	v_mov_b32_e32 v5, v13
	v_ashrrev_i32_e32 v8, 31, v8
	v_mov_b32_e32 v6, v14
	v_and_b32_e32 v4, exec_lo, v4
	v_xor_b32_e32 v13, s31, v8
	v_xor_b32_e32 v8, s30, v8
	v_and_b32_e32 v4, v4, v8
	v_lshlrev_b32_e32 v8, 29, v1
	v_cmp_gt_i64_e64 s[30:31], 0, v[7:8]
	v_not_b32_e32 v8, v8
	v_and_b32_e32 v2, exec_hi, v2
	v_ashrrev_i32_e32 v8, 31, v8
	v_and_b32_e32 v2, v2, v13
	v_xor_b32_e32 v13, s31, v8
	v_xor_b32_e32 v8, s30, v8
	v_and_b32_e32 v4, v4, v8
	v_lshlrev_b32_e32 v8, 28, v1
	v_cmp_gt_i64_e64 s[30:31], 0, v[7:8]
	v_not_b32_e32 v8, v8
	v_ashrrev_i32_e32 v8, 31, v8
	v_and_b32_e32 v2, v2, v13
	v_xor_b32_e32 v13, s31, v8
	v_xor_b32_e32 v8, s30, v8
	v_and_b32_e32 v4, v4, v8
	v_lshlrev_b32_e32 v8, 27, v1
	v_cmp_gt_i64_e64 s[30:31], 0, v[7:8]
	v_not_b32_e32 v8, v8
	;; [unrolled: 8-line block ×4, first 2 shown]
	v_ashrrev_i32_e32 v8, 31, v8
	v_and_b32_e32 v2, v2, v13
	v_xor_b32_e32 v13, s31, v8
	v_xor_b32_e32 v8, s30, v8
	v_and_b32_e32 v4, v4, v8
	v_lshlrev_b32_e32 v8, 24, v1
	v_mul_lo_u32 v3, v1, 20
	v_cmp_gt_i64_e64 s[30:31], 0, v[7:8]
	v_not_b32_e32 v1, v8
	v_ashrrev_i32_e32 v1, 31, v1
	v_xor_b32_e32 v8, s31, v1
	v_xor_b32_e32 v1, s30, v1
	v_and_b32_e32 v2, v2, v13
	v_and_b32_e32 v1, v4, v1
	;; [unrolled: 1-line block ×3, first 2 shown]
	v_mbcnt_lo_u32_b32 v4, v1, 0
	v_mbcnt_hi_u32_b32 v13, v2, v4
	v_cmp_ne_u64_e64 s[30:31], 0, v[1:2]
	v_cmp_eq_u32_e64 s[34:35], 0, v13
	s_and_b64 s[34:35], s[34:35], s[30:31]
	v_add_u32_e32 v14, v21, v3
	ds_write2_b32 v17, v7, v7 offset0:5 offset1:6
	ds_write2_b32 v17, v7, v7 offset0:7 offset1:8
	s_waitcnt lgkmcnt(0)
	s_barrier
	; wave barrier
	s_and_saveexec_b64 s[30:31], s[34:35]
; %bb.5:                                ;   in Loop: Header=BB370_4 Depth=2
	v_bcnt_u32_b32 v1, v1, 0
	v_bcnt_u32_b32 v1, v2, v1
	ds_write_b32 v14, v1 offset:20
; %bb.6:                                ;   in Loop: Header=BB370_4 Depth=2
	s_or_b64 exec, exec, s[30:31]
	v_lshrrev_b32_e32 v2, s45, v9
	v_lshrrev_b32_e32 v1, s37, v10
	v_and_b32_e32 v2, s46, v2
	v_and_b32_e32 v1, s44, v1
	v_lshlrev_b32_e32 v2, s40, v2
	v_cndmask_b32_e64 v1, 0, v1, s[28:29]
	v_cndmask_b32_e32 v2, 0, v2, vcc
	v_or_b32_e32 v1, v1, v2
	v_mul_lo_u32 v2, v1, 20
	v_lshlrev_b32_e32 v8, 30, v1
	; wave barrier
	v_add_u32_e32 v25, v21, v2
	v_and_b32_e32 v2, 1, v1
	v_add_co_u32_e64 v3, s[30:31], -1, v2
	v_addc_co_u32_e64 v4, s[30:31], 0, -1, s[30:31]
	v_cmp_ne_u32_e64 s[30:31], 0, v2
	v_xor_b32_e32 v2, s31, v4
	v_xor_b32_e32 v3, s30, v3
	v_cmp_gt_i64_e64 s[30:31], 0, v[7:8]
	v_not_b32_e32 v4, v8
	v_ashrrev_i32_e32 v4, 31, v4
	v_and_b32_e32 v2, exec_hi, v2
	v_xor_b32_e32 v8, s31, v4
	v_and_b32_e32 v3, exec_lo, v3
	v_xor_b32_e32 v4, s30, v4
	v_and_b32_e32 v2, v2, v8
	v_lshlrev_b32_e32 v8, 29, v1
	v_and_b32_e32 v3, v3, v4
	v_cmp_gt_i64_e64 s[30:31], 0, v[7:8]
	v_not_b32_e32 v4, v8
	v_ashrrev_i32_e32 v4, 31, v4
	v_xor_b32_e32 v8, s31, v4
	v_xor_b32_e32 v4, s30, v4
	v_and_b32_e32 v2, v2, v8
	v_lshlrev_b32_e32 v8, 28, v1
	v_and_b32_e32 v3, v3, v4
	v_cmp_gt_i64_e64 s[30:31], 0, v[7:8]
	v_not_b32_e32 v4, v8
	v_ashrrev_i32_e32 v4, 31, v4
	v_xor_b32_e32 v8, s31, v4
	;; [unrolled: 8-line block ×5, first 2 shown]
	v_and_b32_e32 v2, v2, v8
	v_lshlrev_b32_e32 v8, 24, v1
	v_xor_b32_e32 v4, s30, v4
	v_cmp_gt_i64_e64 s[30:31], 0, v[7:8]
	v_not_b32_e32 v1, v8
	v_ashrrev_i32_e32 v1, 31, v1
	v_and_b32_e32 v3, v3, v4
	v_xor_b32_e32 v4, s31, v1
	v_xor_b32_e32 v1, s30, v1
	ds_read_b32 v24, v25 offset:20
	v_and_b32_e32 v1, v3, v1
	v_and_b32_e32 v2, v2, v4
	v_mbcnt_lo_u32_b32 v3, v1, 0
	v_mbcnt_hi_u32_b32 v26, v2, v3
	v_cmp_ne_u64_e64 s[30:31], 0, v[1:2]
	v_cmp_eq_u32_e64 s[34:35], 0, v26
	s_and_b64 s[34:35], s[34:35], s[30:31]
	; wave barrier
	s_and_saveexec_b64 s[30:31], s[34:35]
	s_cbranch_execz .LBB370_8
; %bb.7:                                ;   in Loop: Header=BB370_4 Depth=2
	v_bcnt_u32_b32 v1, v1, 0
	v_bcnt_u32_b32 v1, v2, v1
	s_waitcnt lgkmcnt(0)
	v_add_u32_e32 v1, v24, v1
	ds_write_b32 v25, v1 offset:20
.LBB370_8:                              ;   in Loop: Header=BB370_4 Depth=2
	s_or_b64 exec, exec, s[30:31]
	v_lshrrev_b32_e32 v2, s45, v5
	v_lshrrev_b32_e32 v1, s37, v6
	v_and_b32_e32 v2, s46, v2
	v_and_b32_e32 v1, s44, v1
	v_lshlrev_b32_e32 v2, s40, v2
	v_cndmask_b32_e64 v1, 0, v1, s[28:29]
	v_cndmask_b32_e32 v2, 0, v2, vcc
	v_or_b32_e32 v1, v1, v2
	v_mul_lo_u32 v2, v1, 20
	v_lshlrev_b32_e32 v8, 30, v1
	; wave barrier
	v_add_u32_e32 v28, v21, v2
	v_and_b32_e32 v2, 1, v1
	v_add_co_u32_e32 v3, vcc, -1, v2
	v_addc_co_u32_e64 v4, s[28:29], 0, -1, vcc
	v_cmp_ne_u32_e32 vcc, 0, v2
	v_xor_b32_e32 v2, vcc_hi, v4
	v_xor_b32_e32 v3, vcc_lo, v3
	v_cmp_gt_i64_e32 vcc, 0, v[7:8]
	v_not_b32_e32 v4, v8
	v_ashrrev_i32_e32 v4, 31, v4
	v_and_b32_e32 v2, exec_hi, v2
	v_xor_b32_e32 v8, vcc_hi, v4
	v_and_b32_e32 v3, exec_lo, v3
	v_xor_b32_e32 v4, vcc_lo, v4
	v_and_b32_e32 v2, v2, v8
	v_lshlrev_b32_e32 v8, 29, v1
	v_and_b32_e32 v3, v3, v4
	v_cmp_gt_i64_e32 vcc, 0, v[7:8]
	v_not_b32_e32 v4, v8
	v_ashrrev_i32_e32 v4, 31, v4
	v_xor_b32_e32 v8, vcc_hi, v4
	v_xor_b32_e32 v4, vcc_lo, v4
	v_and_b32_e32 v2, v2, v8
	v_lshlrev_b32_e32 v8, 28, v1
	v_and_b32_e32 v3, v3, v4
	v_cmp_gt_i64_e32 vcc, 0, v[7:8]
	v_not_b32_e32 v4, v8
	v_ashrrev_i32_e32 v4, 31, v4
	v_xor_b32_e32 v8, vcc_hi, v4
	;; [unrolled: 8-line block ×5, first 2 shown]
	v_and_b32_e32 v2, v2, v8
	v_lshlrev_b32_e32 v8, 24, v1
	v_xor_b32_e32 v4, vcc_lo, v4
	v_cmp_gt_i64_e32 vcc, 0, v[7:8]
	v_not_b32_e32 v1, v8
	v_ashrrev_i32_e32 v1, 31, v1
	v_and_b32_e32 v3, v3, v4
	v_xor_b32_e32 v4, vcc_hi, v1
	v_xor_b32_e32 v1, vcc_lo, v1
	ds_read_b32 v27, v28 offset:20
	v_and_b32_e32 v1, v3, v1
	v_and_b32_e32 v2, v2, v4
	v_mbcnt_lo_u32_b32 v3, v1, 0
	v_mbcnt_hi_u32_b32 v8, v2, v3
	v_cmp_ne_u64_e32 vcc, 0, v[1:2]
	v_cmp_eq_u32_e64 s[28:29], 0, v8
	s_and_b64 s[30:31], s[28:29], vcc
	; wave barrier
	s_and_saveexec_b64 s[28:29], s[30:31]
	s_cbranch_execz .LBB370_10
; %bb.9:                                ;   in Loop: Header=BB370_4 Depth=2
	v_bcnt_u32_b32 v1, v1, 0
	v_bcnt_u32_b32 v1, v2, v1
	s_waitcnt lgkmcnt(0)
	v_add_u32_e32 v1, v27, v1
	ds_write_b32 v28, v1 offset:20
.LBB370_10:                             ;   in Loop: Header=BB370_4 Depth=2
	s_or_b64 exec, exec, s[28:29]
	; wave barrier
	s_waitcnt lgkmcnt(0)
	s_barrier
	ds_read2_b32 v[3:4], v17 offset0:5 offset1:6
	ds_read2_b32 v[1:2], v17 offset0:7 offset1:8
	s_waitcnt lgkmcnt(1)
	v_add_u32_e32 v29, v4, v3
	s_waitcnt lgkmcnt(0)
	v_add3_u32 v2, v29, v1, v2
	s_nop 1
	v_mov_b32_dpp v29, v2 row_shr:1 row_mask:0xf bank_mask:0xf
	v_cndmask_b32_e64 v29, v29, 0, s[0:1]
	v_add_u32_e32 v2, v29, v2
	s_nop 1
	v_mov_b32_dpp v29, v2 row_shr:2 row_mask:0xf bank_mask:0xf
	v_cndmask_b32_e64 v29, 0, v29, s[2:3]
	v_add_u32_e32 v2, v2, v29
	;; [unrolled: 4-line block ×4, first 2 shown]
	s_nop 1
	v_mov_b32_dpp v29, v2 row_bcast:15 row_mask:0xf bank_mask:0xf
	v_cndmask_b32_e64 v29, v29, 0, s[8:9]
	v_add_u32_e32 v2, v2, v29
	s_nop 1
	v_mov_b32_dpp v29, v2 row_bcast:31 row_mask:0xf bank_mask:0xf
	v_cndmask_b32_e64 v29, 0, v29, s[14:15]
	v_add_u32_e32 v2, v2, v29
	s_and_saveexec_b64 s[28:29], s[10:11]
; %bb.11:                               ;   in Loop: Header=BB370_4 Depth=2
	ds_write_b32 v19, v2
; %bb.12:                               ;   in Loop: Header=BB370_4 Depth=2
	s_or_b64 exec, exec, s[28:29]
	s_waitcnt lgkmcnt(0)
	s_barrier
	s_and_saveexec_b64 s[28:29], s[16:17]
	s_cbranch_execz .LBB370_14
; %bb.13:                               ;   in Loop: Header=BB370_4 Depth=2
	ds_read_b32 v29, v20
	s_waitcnt lgkmcnt(0)
	s_nop 0
	v_mov_b32_dpp v30, v29 row_shr:1 row_mask:0xf bank_mask:0xf
	v_cndmask_b32_e64 v30, v30, 0, s[22:23]
	v_add_u32_e32 v29, v30, v29
	s_nop 1
	v_mov_b32_dpp v30, v29 row_shr:2 row_mask:0xf bank_mask:0xf
	v_cndmask_b32_e64 v30, 0, v30, s[24:25]
	v_add_u32_e32 v29, v29, v30
	;; [unrolled: 4-line block ×3, first 2 shown]
	ds_write_b32 v20, v29
.LBB370_14:                             ;   in Loop: Header=BB370_4 Depth=2
	s_or_b64 exec, exec, s[28:29]
	v_mov_b32_e32 v29, 0
	s_waitcnt lgkmcnt(0)
	s_barrier
	s_and_saveexec_b64 s[28:29], s[18:19]
; %bb.15:                               ;   in Loop: Header=BB370_4 Depth=2
	v_add_u32_e32 v29, -4, v19
	ds_read_b32 v29, v29
; %bb.16:                               ;   in Loop: Header=BB370_4 Depth=2
	s_or_b64 exec, exec, s[28:29]
	s_waitcnt lgkmcnt(0)
	v_add_u32_e32 v2, v29, v2
	ds_bpermute_b32 v2, v18, v2
	s_cmp_gt_u32 s37, 55
	s_mov_b64 s[28:29], -1
	s_waitcnt lgkmcnt(0)
	v_cndmask_b32_e64 v2, v2, v29, s[12:13]
	v_cndmask_b32_e64 v2, v2, 0, s[20:21]
	v_add_u32_e32 v3, v2, v3
	v_add_u32_e32 v4, v3, v4
	;; [unrolled: 1-line block ×3, first 2 shown]
	ds_write2_b32 v17, v2, v3 offset0:5 offset1:6
	ds_write2_b32 v17, v4, v1 offset0:7 offset1:8
	s_waitcnt lgkmcnt(0)
	s_barrier
	ds_read_b32 v1, v14 offset:20
	ds_read_b32 v2, v25 offset:20
	ds_read_b32 v3, v28 offset:20
	v_lshlrev_b32_e32 v4, 3, v13
	s_waitcnt lgkmcnt(0)
	v_lshl_add_u32 v25, v1, 3, v4
	v_lshlrev_b32_e32 v1, 3, v26
	v_lshlrev_b32_e32 v4, 3, v24
	;; [unrolled: 1-line block ×3, first 2 shown]
	v_add3_u32 v24, v1, v4, v2
	v_lshlrev_b32_e32 v1, 3, v8
	v_lshlrev_b32_e32 v2, 3, v27
	;; [unrolled: 1-line block ×3, first 2 shown]
	v_add3_u32 v8, v1, v2, v3
                                        ; implicit-def: $vgpr1_vgpr2
                                        ; implicit-def: $vgpr13_vgpr14
	s_cbranch_scc1 .LBB370_3
; %bb.17:                               ;   in Loop: Header=BB370_4 Depth=2
	s_barrier
	ds_write_b64 v25, v[11:12]
	ds_write_b64 v24, v[9:10]
	;; [unrolled: 1-line block ×3, first 2 shown]
	s_waitcnt lgkmcnt(0)
	s_barrier
	ds_read2st64_b64 v[1:4], v22 offset1:1
	ds_read_b64 v[13:14], v22 offset:1024
	s_add_i32 s36, s36, -8
	s_add_i32 s33, s33, 8
	s_add_i32 s37, s37, 8
	s_mov_b64 s[28:29], 0
	s_waitcnt lgkmcnt(0)
	s_barrier
	s_branch .LBB370_3
.LBB370_18:
	s_add_u32 s0, s38, s42
	s_addc_u32 s1, s39, s43
	v_lshlrev_b32_e32 v0, 3, v0
	v_mov_b32_e32 v1, s1
	v_add_co_u32_e32 v2, vcc, s0, v0
	v_addc_co_u32_e32 v1, vcc, 0, v1, vcc
	global_store_dwordx2 v0, v[3:4], s[0:1]
	global_store_dwordx2 v0, v[5:6], s[0:1] offset:2560
	v_add_co_u32_e32 v0, vcc, 0x1000, v2
	v_addc_co_u32_e32 v1, vcc, 0, v1, vcc
	global_store_dwordx2 v[0:1], v[8:9], off offset:1024
	s_endpgm
	.section	.rodata,"a",@progbits
	.p2align	6, 0x0
	.amdhsa_kernel _Z16sort_keys_kernelI22helper_blocked_stripedN15benchmark_utils11custom_typeIiiEELj320ELj3ELj10EEvPKT0_PS4_
		.amdhsa_group_segment_fixed_size 7680
		.amdhsa_private_segment_fixed_size 0
		.amdhsa_kernarg_size 272
		.amdhsa_user_sgpr_count 6
		.amdhsa_user_sgpr_private_segment_buffer 1
		.amdhsa_user_sgpr_dispatch_ptr 0
		.amdhsa_user_sgpr_queue_ptr 0
		.amdhsa_user_sgpr_kernarg_segment_ptr 1
		.amdhsa_user_sgpr_dispatch_id 0
		.amdhsa_user_sgpr_flat_scratch_init 0
		.amdhsa_user_sgpr_private_segment_size 0
		.amdhsa_uses_dynamic_stack 0
		.amdhsa_system_sgpr_private_segment_wavefront_offset 0
		.amdhsa_system_sgpr_workgroup_id_x 1
		.amdhsa_system_sgpr_workgroup_id_y 0
		.amdhsa_system_sgpr_workgroup_id_z 0
		.amdhsa_system_sgpr_workgroup_info 0
		.amdhsa_system_vgpr_workitem_id 2
		.amdhsa_next_free_vgpr 31
		.amdhsa_next_free_sgpr 47
		.amdhsa_reserve_vcc 1
		.amdhsa_reserve_flat_scratch 0
		.amdhsa_float_round_mode_32 0
		.amdhsa_float_round_mode_16_64 0
		.amdhsa_float_denorm_mode_32 3
		.amdhsa_float_denorm_mode_16_64 3
		.amdhsa_dx10_clamp 1
		.amdhsa_ieee_mode 1
		.amdhsa_fp16_overflow 0
		.amdhsa_exception_fp_ieee_invalid_op 0
		.amdhsa_exception_fp_denorm_src 0
		.amdhsa_exception_fp_ieee_div_zero 0
		.amdhsa_exception_fp_ieee_overflow 0
		.amdhsa_exception_fp_ieee_underflow 0
		.amdhsa_exception_fp_ieee_inexact 0
		.amdhsa_exception_int_div_zero 0
	.end_amdhsa_kernel
	.section	.text._Z16sort_keys_kernelI22helper_blocked_stripedN15benchmark_utils11custom_typeIiiEELj320ELj3ELj10EEvPKT0_PS4_,"axG",@progbits,_Z16sort_keys_kernelI22helper_blocked_stripedN15benchmark_utils11custom_typeIiiEELj320ELj3ELj10EEvPKT0_PS4_,comdat
.Lfunc_end370:
	.size	_Z16sort_keys_kernelI22helper_blocked_stripedN15benchmark_utils11custom_typeIiiEELj320ELj3ELj10EEvPKT0_PS4_, .Lfunc_end370-_Z16sort_keys_kernelI22helper_blocked_stripedN15benchmark_utils11custom_typeIiiEELj320ELj3ELj10EEvPKT0_PS4_
                                        ; -- End function
	.set _Z16sort_keys_kernelI22helper_blocked_stripedN15benchmark_utils11custom_typeIiiEELj320ELj3ELj10EEvPKT0_PS4_.num_vgpr, 31
	.set _Z16sort_keys_kernelI22helper_blocked_stripedN15benchmark_utils11custom_typeIiiEELj320ELj3ELj10EEvPKT0_PS4_.num_agpr, 0
	.set _Z16sort_keys_kernelI22helper_blocked_stripedN15benchmark_utils11custom_typeIiiEELj320ELj3ELj10EEvPKT0_PS4_.numbered_sgpr, 47
	.set _Z16sort_keys_kernelI22helper_blocked_stripedN15benchmark_utils11custom_typeIiiEELj320ELj3ELj10EEvPKT0_PS4_.num_named_barrier, 0
	.set _Z16sort_keys_kernelI22helper_blocked_stripedN15benchmark_utils11custom_typeIiiEELj320ELj3ELj10EEvPKT0_PS4_.private_seg_size, 0
	.set _Z16sort_keys_kernelI22helper_blocked_stripedN15benchmark_utils11custom_typeIiiEELj320ELj3ELj10EEvPKT0_PS4_.uses_vcc, 1
	.set _Z16sort_keys_kernelI22helper_blocked_stripedN15benchmark_utils11custom_typeIiiEELj320ELj3ELj10EEvPKT0_PS4_.uses_flat_scratch, 0
	.set _Z16sort_keys_kernelI22helper_blocked_stripedN15benchmark_utils11custom_typeIiiEELj320ELj3ELj10EEvPKT0_PS4_.has_dyn_sized_stack, 0
	.set _Z16sort_keys_kernelI22helper_blocked_stripedN15benchmark_utils11custom_typeIiiEELj320ELj3ELj10EEvPKT0_PS4_.has_recursion, 0
	.set _Z16sort_keys_kernelI22helper_blocked_stripedN15benchmark_utils11custom_typeIiiEELj320ELj3ELj10EEvPKT0_PS4_.has_indirect_call, 0
	.section	.AMDGPU.csdata,"",@progbits
; Kernel info:
; codeLenInByte = 2632
; TotalNumSgprs: 51
; NumVgprs: 31
; ScratchSize: 0
; MemoryBound: 0
; FloatMode: 240
; IeeeMode: 1
; LDSByteSize: 7680 bytes/workgroup (compile time only)
; SGPRBlocks: 6
; VGPRBlocks: 7
; NumSGPRsForWavesPerEU: 51
; NumVGPRsForWavesPerEU: 31
; Occupancy: 8
; WaveLimiterHint : 1
; COMPUTE_PGM_RSRC2:SCRATCH_EN: 0
; COMPUTE_PGM_RSRC2:USER_SGPR: 6
; COMPUTE_PGM_RSRC2:TRAP_HANDLER: 0
; COMPUTE_PGM_RSRC2:TGID_X_EN: 1
; COMPUTE_PGM_RSRC2:TGID_Y_EN: 0
; COMPUTE_PGM_RSRC2:TGID_Z_EN: 0
; COMPUTE_PGM_RSRC2:TIDIG_COMP_CNT: 2
	.section	.text._Z17sort_pairs_kernelI22helper_blocked_stripedN15benchmark_utils11custom_typeIiiEELj320ELj3ELj10EEvPKT0_PS4_,"axG",@progbits,_Z17sort_pairs_kernelI22helper_blocked_stripedN15benchmark_utils11custom_typeIiiEELj320ELj3ELj10EEvPKT0_PS4_,comdat
	.protected	_Z17sort_pairs_kernelI22helper_blocked_stripedN15benchmark_utils11custom_typeIiiEELj320ELj3ELj10EEvPKT0_PS4_ ; -- Begin function _Z17sort_pairs_kernelI22helper_blocked_stripedN15benchmark_utils11custom_typeIiiEELj320ELj3ELj10EEvPKT0_PS4_
	.globl	_Z17sort_pairs_kernelI22helper_blocked_stripedN15benchmark_utils11custom_typeIiiEELj320ELj3ELj10EEvPKT0_PS4_
	.p2align	8
	.type	_Z17sort_pairs_kernelI22helper_blocked_stripedN15benchmark_utils11custom_typeIiiEELj320ELj3ELj10EEvPKT0_PS4_,@function
_Z17sort_pairs_kernelI22helper_blocked_stripedN15benchmark_utils11custom_typeIiiEELj320ELj3ELj10EEvPKT0_PS4_: ; @_Z17sort_pairs_kernelI22helper_blocked_stripedN15benchmark_utils11custom_typeIiiEELj320ELj3ELj10EEvPKT0_PS4_
; %bb.0:
	s_load_dwordx4 s[36:39], s[4:5], 0x0
	s_load_dword s26, s[4:5], 0x1c
	s_mul_i32 s42, s6, 0x3c0
	s_mov_b32 s43, 0
	s_lshl_b64 s[40:41], s[42:43], 3
	s_waitcnt lgkmcnt(0)
	s_add_u32 s0, s36, s40
	v_mul_u32_u24_e32 v3, 3, v0
	s_addc_u32 s1, s37, s41
	v_lshlrev_b32_e32 v7, 3, v3
	global_load_dwordx4 v[3:6], v7, s[0:1]
	global_load_dwordx2 v[12:13], v7, s[0:1] offset:16
	s_lshr_b32 s27, s26, 16
	s_and_b32 s26, s26, 0xffff
	v_mad_u32_u24 v1, v2, s27, v1
	v_mbcnt_lo_u32_b32 v7, -1, 0
	v_mad_u64_u32 v[1:2], s[26:27], v1, s26, v[0:1]
	v_mbcnt_hi_u32_b32 v7, -1, v7
	v_lshrrev_b32_e32 v8, 6, v0
	v_and_b32_e32 v9, 0x1c0, v0
	v_subrev_co_u32_e64 v18, s[8:9], 1, v7
	v_and_b32_e32 v19, 64, v7
	v_lshlrev_b32_e32 v27, 4, v0
	v_mul_u32_u24_e32 v11, 0xc0, v8
	v_and_b32_e32 v15, 15, v7
	v_and_b32_e32 v16, 16, v7
	v_min_u32_e32 v17, 0x100, v9
	v_cmp_lt_i32_e32 vcc, v18, v19
	v_lshlrev_b32_e32 v10, 2, v0
	v_lshlrev_b32_e32 v14, 3, v7
	;; [unrolled: 1-line block ×3, first 2 shown]
	v_mad_i32_i24 v29, v0, -12, v27
	v_and_b32_e32 v8, 7, v7
	v_mul_u32_u24_e32 v9, 24, v9
	v_cmp_eq_u32_e64 s[10:11], 0, v15
	v_cmp_lt_u32_e64 s[12:13], 1, v15
	v_cmp_lt_u32_e64 s[14:15], 3, v15
	;; [unrolled: 1-line block ×3, first 2 shown]
	v_cmp_eq_u32_e64 s[18:19], 0, v16
	v_lshlrev_b32_e32 v11, 3, v11
	v_or_b32_e32 v15, 63, v17
	v_cndmask_b32_e32 v16, v18, v7, vcc
	v_lshrrev_b32_e32 v1, 4, v1
	v_cmp_gt_u32_e64 s[0:1], 5, v0
	v_cmp_lt_u32_e64 s[2:3], 63, v0
	v_cmp_eq_u32_e64 s[4:5], 0, v0
	v_cmp_lt_u32_e64 s[6:7], 31, v7
	v_cmp_eq_u32_e64 s[20:21], 0, v8
	v_cmp_lt_u32_e64 s[22:23], 1, v8
	v_cmp_lt_u32_e64 s[24:25], 3, v8
	v_add_u32_e32 v30, v14, v9
	v_add_u32_e32 v31, v29, v10
	v_add_u32_e32 v32, -4, v28
	v_mad_u32_u24 v33, v7, 24, v11
	v_add_u32_e32 v34, v14, v11
	v_cmp_eq_u32_e64 s[26:27], v0, v15
	v_lshlrev_b32_e32 v35, 2, v16
	v_and_b32_e32 v36, 0xffffffc, v1
	v_mov_b32_e32 v11, 0
	s_waitcnt vmcnt(1)
	v_add_u32_e32 v8, 1, v4
	v_add_u32_e32 v7, 1, v3
	;; [unrolled: 1-line block ×4, first 2 shown]
	s_waitcnt vmcnt(0)
	v_add_u32_e32 v15, 1, v13
	v_add_u32_e32 v14, 1, v12
	s_branch .LBB371_2
.LBB371_1:                              ;   in Loop: Header=BB371_2 Depth=1
	s_barrier
	ds_write_b64 v37, v[21:22]
	ds_write_b64 v38, v[19:20]
	ds_write_b64 v12, v[17:18]
	s_waitcnt lgkmcnt(0)
	s_barrier
	ds_read2st64_b64 v[3:6], v31 offset1:5
	ds_read_b64 v[1:2], v31 offset:5120
	s_waitcnt lgkmcnt(0)
	s_barrier
	ds_write_b64 v37, v[15:16]
	ds_write_b64 v38, v[13:14]
	;; [unrolled: 1-line block ×3, first 2 shown]
	s_waitcnt lgkmcnt(0)
	s_barrier
	ds_read2st64_b64 v[7:10], v31 offset1:5
	ds_read_b64 v[14:15], v31 offset:5120
	s_add_i32 s43, s43, 1
	v_xor_b32_e32 v3, 0x80000000, v3
	v_xor_b32_e32 v4, 0x80000000, v4
	;; [unrolled: 1-line block ×5, first 2 shown]
	s_cmp_lg_u32 s43, 10
	v_xor_b32_e32 v13, 0x80000000, v2
	s_cbranch_scc0 .LBB371_18
.LBB371_2:                              ; =>This Loop Header: Depth=1
                                        ;     Child Loop BB371_4 Depth 2
	v_xor_b32_e32 v2, 0x80000000, v4
	v_xor_b32_e32 v1, 0x80000000, v3
	;; [unrolled: 1-line block ×6, first 2 shown]
	ds_write2_b64 v33, v[1:2], v[3:4] offset1:1
	ds_write_b64 v33, v[5:6] offset:16
	; wave barrier
	ds_read2st64_b64 v[1:4], v34 offset1:1
	ds_read_b64 v[23:24], v34 offset:1024
	; wave barrier
	s_waitcnt lgkmcnt(5)
	ds_write2_b64 v33, v[7:8], v[9:10] offset1:1
	s_waitcnt lgkmcnt(5)
	ds_write_b64 v33, v[14:15] offset:16
	; wave barrier
	ds_read2st64_b64 v[5:8], v34 offset1:1
	ds_read_b64 v[25:26], v34 offset:1024
	s_mov_b32 s33, 8
	s_mov_b32 s36, 32
	;; [unrolled: 1-line block ×3, first 2 shown]
	s_waitcnt lgkmcnt(0)
	s_barrier
	s_branch .LBB371_4
.LBB371_3:                              ;   in Loop: Header=BB371_4 Depth=2
	s_andn2_b64 vcc, exec, s[28:29]
	s_cbranch_vccz .LBB371_1
.LBB371_4:                              ;   Parent Loop BB371_2 Depth=1
                                        ; =>  This Inner Loop Header: Depth=2
	s_min_i32 s30, s33, 32
	s_cmp_lt_u32 s37, 32
	s_cselect_b64 s[28:29], -1, 0
	s_cmp_gt_u32 s37, 31
	s_cselect_b64 vcc, -1, 0
	s_sub_i32 s30, s30, 32
	s_add_i32 s31, s30, s36
	s_lshl_b32 s31, -1, s31
	s_not_b32 s31, s31
	s_cmp_lg_u32 s30, s37
	s_cselect_b32 s44, s31, -1
	s_max_i32 s42, s36, 0
	s_max_i32 s30, s37, 32
	s_sub_i32 s45, s30, 32
	s_sub_i32 s30, s30, s42
	;; [unrolled: 1-line block ×3, first 2 shown]
	s_min_i32 s30, s30, 32
	s_sub_i32 s30, s30, s45
	s_lshl_b32 s31, -1, s30
	v_mov_b32_e32 v22, v2
	s_not_b32 s31, s31
	v_mov_b32_e32 v21, v1
	s_cmp_lg_u32 s30, 32
	s_cselect_b32 s46, s31, -1
	v_lshrrev_b32_e32 v2, s45, v21
	v_lshrrev_b32_e32 v1, s37, v22
	v_and_b32_e32 v2, s46, v2
	v_and_b32_e32 v1, s44, v1
	v_lshlrev_b32_e32 v2, s42, v2
	v_cndmask_b32_e64 v1, 0, v1, s[28:29]
	v_cndmask_b32_e32 v2, 0, v2, vcc
	v_or_b32_e32 v1, v1, v2
	v_mov_b32_e32 v20, v4
	v_and_b32_e32 v2, 1, v1
	v_mov_b32_e32 v16, v6
	v_mov_b32_e32 v19, v3
	v_add_co_u32_e64 v4, s[30:31], -1, v2
	v_mov_b32_e32 v15, v5
	v_addc_co_u32_e64 v5, s[30:31], 0, -1, s[30:31]
	v_cmp_ne_u32_e64 s[30:31], 0, v2
	v_lshlrev_b32_e32 v12, 30, v1
	v_xor_b32_e32 v2, s31, v5
	v_xor_b32_e32 v4, s30, v4
	v_cmp_gt_i64_e64 s[30:31], 0, v[11:12]
	v_not_b32_e32 v5, v12
	v_ashrrev_i32_e32 v5, 31, v5
	v_and_b32_e32 v4, exec_lo, v4
	v_xor_b32_e32 v6, s31, v5
	v_xor_b32_e32 v5, s30, v5
	v_lshlrev_b32_e32 v12, 29, v1
	v_and_b32_e32 v4, v4, v5
	v_cmp_gt_i64_e64 s[30:31], 0, v[11:12]
	v_not_b32_e32 v5, v12
	v_and_b32_e32 v2, exec_hi, v2
	v_ashrrev_i32_e32 v5, 31, v5
	v_and_b32_e32 v2, v2, v6
	v_xor_b32_e32 v6, s31, v5
	v_xor_b32_e32 v5, s30, v5
	v_lshlrev_b32_e32 v12, 28, v1
	v_and_b32_e32 v4, v4, v5
	v_cmp_gt_i64_e64 s[30:31], 0, v[11:12]
	v_not_b32_e32 v5, v12
	v_ashrrev_i32_e32 v5, 31, v5
	v_and_b32_e32 v2, v2, v6
	v_xor_b32_e32 v6, s31, v5
	v_xor_b32_e32 v5, s30, v5
	v_lshlrev_b32_e32 v12, 27, v1
	v_and_b32_e32 v4, v4, v5
	v_cmp_gt_i64_e64 s[30:31], 0, v[11:12]
	v_not_b32_e32 v5, v12
	;; [unrolled: 8-line block ×4, first 2 shown]
	v_ashrrev_i32_e32 v5, 31, v5
	v_lshlrev_b32_e32 v12, 24, v1
	v_mul_lo_u32 v3, v1, 20
	v_and_b32_e32 v2, v2, v6
	v_xor_b32_e32 v6, s31, v5
	v_xor_b32_e32 v5, s30, v5
	v_cmp_gt_i64_e64 s[30:31], 0, v[11:12]
	v_not_b32_e32 v1, v12
	v_ashrrev_i32_e32 v1, 31, v1
	v_and_b32_e32 v4, v4, v5
	v_xor_b32_e32 v5, s31, v1
	v_xor_b32_e32 v1, s30, v1
	v_and_b32_e32 v2, v2, v6
	v_and_b32_e32 v1, v4, v1
	;; [unrolled: 1-line block ×3, first 2 shown]
	v_mbcnt_lo_u32_b32 v4, v1, 0
	v_mbcnt_hi_u32_b32 v5, v2, v4
	v_cmp_ne_u64_e64 s[30:31], 0, v[1:2]
	v_mov_b32_e32 v14, v8
	v_mov_b32_e32 v9, v25
	;; [unrolled: 1-line block ×3, first 2 shown]
	v_cmp_eq_u32_e64 s[34:35], 0, v5
	v_mov_b32_e32 v13, v7
	v_mov_b32_e32 v10, v26
	;; [unrolled: 1-line block ×3, first 2 shown]
	s_and_b64 s[34:35], s[34:35], s[30:31]
	v_add_u32_e32 v6, v36, v3
	ds_write2_b32 v27, v11, v11 offset0:5 offset1:6
	ds_write2_b32 v27, v11, v11 offset0:7 offset1:8
	s_waitcnt lgkmcnt(0)
	s_barrier
	; wave barrier
	s_and_saveexec_b64 s[30:31], s[34:35]
; %bb.5:                                ;   in Loop: Header=BB371_4 Depth=2
	v_bcnt_u32_b32 v1, v1, 0
	v_bcnt_u32_b32 v1, v2, v1
	ds_write_b32 v6, v1 offset:20
; %bb.6:                                ;   in Loop: Header=BB371_4 Depth=2
	s_or_b64 exec, exec, s[30:31]
	v_lshrrev_b32_e32 v2, s45, v19
	v_lshrrev_b32_e32 v1, s37, v20
	v_and_b32_e32 v2, s46, v2
	v_and_b32_e32 v1, s44, v1
	v_lshlrev_b32_e32 v2, s42, v2
	v_cndmask_b32_e64 v1, 0, v1, s[28:29]
	v_cndmask_b32_e32 v2, 0, v2, vcc
	v_or_b32_e32 v1, v1, v2
	v_mul_lo_u32 v2, v1, 20
	v_lshlrev_b32_e32 v12, 30, v1
	; wave barrier
	v_add_u32_e32 v8, v36, v2
	v_and_b32_e32 v2, 1, v1
	v_add_co_u32_e64 v3, s[30:31], -1, v2
	v_addc_co_u32_e64 v4, s[30:31], 0, -1, s[30:31]
	v_cmp_ne_u32_e64 s[30:31], 0, v2
	v_xor_b32_e32 v2, s31, v4
	v_xor_b32_e32 v3, s30, v3
	v_cmp_gt_i64_e64 s[30:31], 0, v[11:12]
	v_not_b32_e32 v4, v12
	v_ashrrev_i32_e32 v4, 31, v4
	v_and_b32_e32 v2, exec_hi, v2
	v_xor_b32_e32 v12, s31, v4
	v_and_b32_e32 v3, exec_lo, v3
	v_xor_b32_e32 v4, s30, v4
	v_and_b32_e32 v2, v2, v12
	v_lshlrev_b32_e32 v12, 29, v1
	v_and_b32_e32 v3, v3, v4
	v_cmp_gt_i64_e64 s[30:31], 0, v[11:12]
	v_not_b32_e32 v4, v12
	v_ashrrev_i32_e32 v4, 31, v4
	v_xor_b32_e32 v12, s31, v4
	v_xor_b32_e32 v4, s30, v4
	v_and_b32_e32 v2, v2, v12
	v_lshlrev_b32_e32 v12, 28, v1
	v_and_b32_e32 v3, v3, v4
	v_cmp_gt_i64_e64 s[30:31], 0, v[11:12]
	v_not_b32_e32 v4, v12
	v_ashrrev_i32_e32 v4, 31, v4
	v_xor_b32_e32 v12, s31, v4
	;; [unrolled: 8-line block ×5, first 2 shown]
	v_and_b32_e32 v2, v2, v12
	v_lshlrev_b32_e32 v12, 24, v1
	v_xor_b32_e32 v4, s30, v4
	v_cmp_gt_i64_e64 s[30:31], 0, v[11:12]
	v_not_b32_e32 v1, v12
	v_ashrrev_i32_e32 v1, 31, v1
	v_and_b32_e32 v3, v3, v4
	v_xor_b32_e32 v4, s31, v1
	v_xor_b32_e32 v1, s30, v1
	ds_read_b32 v7, v8 offset:20
	v_and_b32_e32 v1, v3, v1
	v_and_b32_e32 v2, v2, v4
	v_mbcnt_lo_u32_b32 v3, v1, 0
	v_mbcnt_hi_u32_b32 v23, v2, v3
	v_cmp_ne_u64_e64 s[30:31], 0, v[1:2]
	v_cmp_eq_u32_e64 s[34:35], 0, v23
	s_and_b64 s[34:35], s[34:35], s[30:31]
	; wave barrier
	s_and_saveexec_b64 s[30:31], s[34:35]
	s_cbranch_execz .LBB371_8
; %bb.7:                                ;   in Loop: Header=BB371_4 Depth=2
	v_bcnt_u32_b32 v1, v1, 0
	v_bcnt_u32_b32 v1, v2, v1
	s_waitcnt lgkmcnt(0)
	v_add_u32_e32 v1, v7, v1
	ds_write_b32 v8, v1 offset:20
.LBB371_8:                              ;   in Loop: Header=BB371_4 Depth=2
	s_or_b64 exec, exec, s[30:31]
	v_lshrrev_b32_e32 v2, s45, v17
	v_lshrrev_b32_e32 v1, s37, v18
	v_and_b32_e32 v2, s46, v2
	v_and_b32_e32 v1, s44, v1
	v_lshlrev_b32_e32 v2, s42, v2
	v_cndmask_b32_e64 v1, 0, v1, s[28:29]
	v_cndmask_b32_e32 v2, 0, v2, vcc
	v_or_b32_e32 v1, v1, v2
	v_mul_lo_u32 v2, v1, 20
	v_lshlrev_b32_e32 v12, 30, v1
	; wave barrier
	v_add_u32_e32 v25, v36, v2
	v_and_b32_e32 v2, 1, v1
	v_add_co_u32_e32 v3, vcc, -1, v2
	v_addc_co_u32_e64 v4, s[28:29], 0, -1, vcc
	v_cmp_ne_u32_e32 vcc, 0, v2
	v_xor_b32_e32 v2, vcc_hi, v4
	v_xor_b32_e32 v3, vcc_lo, v3
	v_cmp_gt_i64_e32 vcc, 0, v[11:12]
	v_not_b32_e32 v4, v12
	v_ashrrev_i32_e32 v4, 31, v4
	v_and_b32_e32 v2, exec_hi, v2
	v_xor_b32_e32 v12, vcc_hi, v4
	v_and_b32_e32 v3, exec_lo, v3
	v_xor_b32_e32 v4, vcc_lo, v4
	v_and_b32_e32 v2, v2, v12
	v_lshlrev_b32_e32 v12, 29, v1
	v_and_b32_e32 v3, v3, v4
	v_cmp_gt_i64_e32 vcc, 0, v[11:12]
	v_not_b32_e32 v4, v12
	v_ashrrev_i32_e32 v4, 31, v4
	v_xor_b32_e32 v12, vcc_hi, v4
	v_xor_b32_e32 v4, vcc_lo, v4
	v_and_b32_e32 v2, v2, v12
	v_lshlrev_b32_e32 v12, 28, v1
	v_and_b32_e32 v3, v3, v4
	v_cmp_gt_i64_e32 vcc, 0, v[11:12]
	v_not_b32_e32 v4, v12
	v_ashrrev_i32_e32 v4, 31, v4
	v_xor_b32_e32 v12, vcc_hi, v4
	v_xor_b32_e32 v4, vcc_lo, v4
	v_and_b32_e32 v2, v2, v12
	v_lshlrev_b32_e32 v12, 27, v1
	v_and_b32_e32 v3, v3, v4
	v_cmp_gt_i64_e32 vcc, 0, v[11:12]
	v_not_b32_e32 v4, v12
	v_ashrrev_i32_e32 v4, 31, v4
	v_xor_b32_e32 v12, vcc_hi, v4
	v_xor_b32_e32 v4, vcc_lo, v4
	v_and_b32_e32 v2, v2, v12
	v_lshlrev_b32_e32 v12, 26, v1
	v_and_b32_e32 v3, v3, v4
	v_cmp_gt_i64_e32 vcc, 0, v[11:12]
	v_not_b32_e32 v4, v12
	v_ashrrev_i32_e32 v4, 31, v4
	v_xor_b32_e32 v12, vcc_hi, v4
	v_xor_b32_e32 v4, vcc_lo, v4
	v_and_b32_e32 v2, v2, v12
	v_lshlrev_b32_e32 v12, 25, v1
	v_and_b32_e32 v3, v3, v4
	v_cmp_gt_i64_e32 vcc, 0, v[11:12]
	v_not_b32_e32 v4, v12
	v_ashrrev_i32_e32 v4, 31, v4
	v_xor_b32_e32 v12, vcc_hi, v4
	v_and_b32_e32 v2, v2, v12
	v_lshlrev_b32_e32 v12, 24, v1
	v_xor_b32_e32 v4, vcc_lo, v4
	v_cmp_gt_i64_e32 vcc, 0, v[11:12]
	v_not_b32_e32 v1, v12
	v_ashrrev_i32_e32 v1, 31, v1
	v_and_b32_e32 v3, v3, v4
	v_xor_b32_e32 v4, vcc_hi, v1
	v_xor_b32_e32 v1, vcc_lo, v1
	ds_read_b32 v24, v25 offset:20
	v_and_b32_e32 v1, v3, v1
	v_and_b32_e32 v2, v2, v4
	v_mbcnt_lo_u32_b32 v3, v1, 0
	v_mbcnt_hi_u32_b32 v12, v2, v3
	v_cmp_ne_u64_e32 vcc, 0, v[1:2]
	v_cmp_eq_u32_e64 s[28:29], 0, v12
	s_and_b64 s[30:31], s[28:29], vcc
	; wave barrier
	s_and_saveexec_b64 s[28:29], s[30:31]
	s_cbranch_execz .LBB371_10
; %bb.9:                                ;   in Loop: Header=BB371_4 Depth=2
	v_bcnt_u32_b32 v1, v1, 0
	v_bcnt_u32_b32 v1, v2, v1
	s_waitcnt lgkmcnt(0)
	v_add_u32_e32 v1, v24, v1
	ds_write_b32 v25, v1 offset:20
.LBB371_10:                             ;   in Loop: Header=BB371_4 Depth=2
	s_or_b64 exec, exec, s[28:29]
	; wave barrier
	s_waitcnt lgkmcnt(0)
	s_barrier
	ds_read2_b32 v[3:4], v27 offset0:5 offset1:6
	ds_read2_b32 v[1:2], v27 offset0:7 offset1:8
	s_waitcnt lgkmcnt(1)
	v_add_u32_e32 v26, v4, v3
	s_waitcnt lgkmcnt(0)
	v_add3_u32 v2, v26, v1, v2
	s_nop 1
	v_mov_b32_dpp v26, v2 row_shr:1 row_mask:0xf bank_mask:0xf
	v_cndmask_b32_e64 v26, v26, 0, s[10:11]
	v_add_u32_e32 v2, v26, v2
	s_nop 1
	v_mov_b32_dpp v26, v2 row_shr:2 row_mask:0xf bank_mask:0xf
	v_cndmask_b32_e64 v26, 0, v26, s[12:13]
	v_add_u32_e32 v2, v2, v26
	;; [unrolled: 4-line block ×4, first 2 shown]
	s_nop 1
	v_mov_b32_dpp v26, v2 row_bcast:15 row_mask:0xf bank_mask:0xf
	v_cndmask_b32_e64 v26, v26, 0, s[18:19]
	v_add_u32_e32 v2, v2, v26
	s_nop 1
	v_mov_b32_dpp v26, v2 row_bcast:31 row_mask:0xf bank_mask:0xf
	v_cndmask_b32_e64 v26, 0, v26, s[6:7]
	v_add_u32_e32 v2, v2, v26
	s_and_saveexec_b64 s[28:29], s[26:27]
; %bb.11:                               ;   in Loop: Header=BB371_4 Depth=2
	ds_write_b32 v28, v2
; %bb.12:                               ;   in Loop: Header=BB371_4 Depth=2
	s_or_b64 exec, exec, s[28:29]
	s_waitcnt lgkmcnt(0)
	s_barrier
	s_and_saveexec_b64 s[28:29], s[0:1]
	s_cbranch_execz .LBB371_14
; %bb.13:                               ;   in Loop: Header=BB371_4 Depth=2
	ds_read_b32 v26, v29
	s_waitcnt lgkmcnt(0)
	s_nop 0
	v_mov_b32_dpp v37, v26 row_shr:1 row_mask:0xf bank_mask:0xf
	v_cndmask_b32_e64 v37, v37, 0, s[20:21]
	v_add_u32_e32 v26, v37, v26
	s_nop 1
	v_mov_b32_dpp v37, v26 row_shr:2 row_mask:0xf bank_mask:0xf
	v_cndmask_b32_e64 v37, 0, v37, s[22:23]
	v_add_u32_e32 v26, v26, v37
	;; [unrolled: 4-line block ×3, first 2 shown]
	ds_write_b32 v29, v26
.LBB371_14:                             ;   in Loop: Header=BB371_4 Depth=2
	s_or_b64 exec, exec, s[28:29]
	v_mov_b32_e32 v26, 0
	s_waitcnt lgkmcnt(0)
	s_barrier
	s_and_saveexec_b64 s[28:29], s[2:3]
; %bb.15:                               ;   in Loop: Header=BB371_4 Depth=2
	ds_read_b32 v26, v32
; %bb.16:                               ;   in Loop: Header=BB371_4 Depth=2
	s_or_b64 exec, exec, s[28:29]
	s_waitcnt lgkmcnt(0)
	v_add_u32_e32 v2, v26, v2
	ds_bpermute_b32 v2, v35, v2
	s_cmp_gt_u32 s37, 55
	s_mov_b64 s[28:29], -1
	s_waitcnt lgkmcnt(0)
	v_cndmask_b32_e64 v2, v2, v26, s[8:9]
	v_cndmask_b32_e64 v2, v2, 0, s[4:5]
	v_add_u32_e32 v3, v2, v3
	v_add_u32_e32 v4, v3, v4
	;; [unrolled: 1-line block ×3, first 2 shown]
	ds_write2_b32 v27, v2, v3 offset0:5 offset1:6
	ds_write2_b32 v27, v4, v1 offset0:7 offset1:8
	s_waitcnt lgkmcnt(0)
	s_barrier
	ds_read_b32 v1, v6 offset:20
	ds_read_b32 v2, v8 offset:20
	;; [unrolled: 1-line block ×3, first 2 shown]
	v_lshlrev_b32_e32 v4, 3, v5
	s_waitcnt lgkmcnt(0)
	v_lshl_add_u32 v37, v1, 3, v4
	v_lshlrev_b32_e32 v1, 3, v23
	v_lshlrev_b32_e32 v4, 3, v7
	;; [unrolled: 1-line block ×3, first 2 shown]
	v_add3_u32 v38, v1, v4, v2
	v_lshlrev_b32_e32 v1, 3, v12
	v_lshlrev_b32_e32 v2, 3, v24
	;; [unrolled: 1-line block ×3, first 2 shown]
	v_add3_u32 v12, v1, v2, v3
                                        ; implicit-def: $vgpr5_vgpr6
                                        ; implicit-def: $vgpr25_vgpr26
                                        ; implicit-def: $vgpr1_vgpr2
                                        ; implicit-def: $vgpr23_vgpr24
	s_cbranch_scc1 .LBB371_3
; %bb.17:                               ;   in Loop: Header=BB371_4 Depth=2
	s_barrier
	ds_write_b64 v37, v[21:22]
	ds_write_b64 v38, v[19:20]
	;; [unrolled: 1-line block ×3, first 2 shown]
	s_waitcnt lgkmcnt(0)
	s_barrier
	ds_read2st64_b64 v[1:4], v30 offset1:1
	ds_read_b64 v[23:24], v30 offset:1024
	s_waitcnt lgkmcnt(0)
	s_barrier
	ds_write_b64 v37, v[15:16]
	ds_write_b64 v38, v[13:14]
	;; [unrolled: 1-line block ×3, first 2 shown]
	s_waitcnt lgkmcnt(0)
	s_barrier
	ds_read2st64_b64 v[5:8], v30 offset1:1
	ds_read_b64 v[25:26], v30 offset:1024
	s_add_i32 s36, s36, -8
	s_add_i32 s33, s33, 8
	s_add_i32 s37, s37, 8
	s_mov_b64 s[28:29], 0
	s_waitcnt lgkmcnt(0)
	s_barrier
	s_branch .LBB371_3
.LBB371_18:
	s_add_u32 s0, s38, s40
	s_addc_u32 s1, s39, s41
	v_lshlrev_b32_e32 v0, 3, v0
	s_waitcnt lgkmcnt(1)
	v_add_u32_e32 v1, v3, v7
	v_add_u32_e32 v2, v4, v8
	v_mov_b32_e32 v7, s1
	v_add_co_u32_e32 v8, vcc, s0, v0
	v_addc_co_u32_e32 v7, vcc, 0, v7, vcc
	v_add_u32_e32 v3, v5, v9
	v_add_u32_e32 v4, v6, v10
	global_store_dwordx2 v0, v[1:2], s[0:1]
	global_store_dwordx2 v0, v[3:4], s[0:1] offset:2560
	v_add_co_u32_e32 v0, vcc, 0x1000, v8
	s_waitcnt lgkmcnt(0)
	v_add_u32_e32 v5, v12, v14
	v_add_u32_e32 v6, v13, v15
	v_addc_co_u32_e32 v1, vcc, 0, v7, vcc
	global_store_dwordx2 v[0:1], v[5:6], off offset:1024
	s_endpgm
	.section	.rodata,"a",@progbits
	.p2align	6, 0x0
	.amdhsa_kernel _Z17sort_pairs_kernelI22helper_blocked_stripedN15benchmark_utils11custom_typeIiiEELj320ELj3ELj10EEvPKT0_PS4_
		.amdhsa_group_segment_fixed_size 7680
		.amdhsa_private_segment_fixed_size 0
		.amdhsa_kernarg_size 272
		.amdhsa_user_sgpr_count 6
		.amdhsa_user_sgpr_private_segment_buffer 1
		.amdhsa_user_sgpr_dispatch_ptr 0
		.amdhsa_user_sgpr_queue_ptr 0
		.amdhsa_user_sgpr_kernarg_segment_ptr 1
		.amdhsa_user_sgpr_dispatch_id 0
		.amdhsa_user_sgpr_flat_scratch_init 0
		.amdhsa_user_sgpr_private_segment_size 0
		.amdhsa_uses_dynamic_stack 0
		.amdhsa_system_sgpr_private_segment_wavefront_offset 0
		.amdhsa_system_sgpr_workgroup_id_x 1
		.amdhsa_system_sgpr_workgroup_id_y 0
		.amdhsa_system_sgpr_workgroup_id_z 0
		.amdhsa_system_sgpr_workgroup_info 0
		.amdhsa_system_vgpr_workitem_id 2
		.amdhsa_next_free_vgpr 39
		.amdhsa_next_free_sgpr 47
		.amdhsa_reserve_vcc 1
		.amdhsa_reserve_flat_scratch 0
		.amdhsa_float_round_mode_32 0
		.amdhsa_float_round_mode_16_64 0
		.amdhsa_float_denorm_mode_32 3
		.amdhsa_float_denorm_mode_16_64 3
		.amdhsa_dx10_clamp 1
		.amdhsa_ieee_mode 1
		.amdhsa_fp16_overflow 0
		.amdhsa_exception_fp_ieee_invalid_op 0
		.amdhsa_exception_fp_denorm_src 0
		.amdhsa_exception_fp_ieee_div_zero 0
		.amdhsa_exception_fp_ieee_overflow 0
		.amdhsa_exception_fp_ieee_underflow 0
		.amdhsa_exception_fp_ieee_inexact 0
		.amdhsa_exception_int_div_zero 0
	.end_amdhsa_kernel
	.section	.text._Z17sort_pairs_kernelI22helper_blocked_stripedN15benchmark_utils11custom_typeIiiEELj320ELj3ELj10EEvPKT0_PS4_,"axG",@progbits,_Z17sort_pairs_kernelI22helper_blocked_stripedN15benchmark_utils11custom_typeIiiEELj320ELj3ELj10EEvPKT0_PS4_,comdat
.Lfunc_end371:
	.size	_Z17sort_pairs_kernelI22helper_blocked_stripedN15benchmark_utils11custom_typeIiiEELj320ELj3ELj10EEvPKT0_PS4_, .Lfunc_end371-_Z17sort_pairs_kernelI22helper_blocked_stripedN15benchmark_utils11custom_typeIiiEELj320ELj3ELj10EEvPKT0_PS4_
                                        ; -- End function
	.set _Z17sort_pairs_kernelI22helper_blocked_stripedN15benchmark_utils11custom_typeIiiEELj320ELj3ELj10EEvPKT0_PS4_.num_vgpr, 39
	.set _Z17sort_pairs_kernelI22helper_blocked_stripedN15benchmark_utils11custom_typeIiiEELj320ELj3ELj10EEvPKT0_PS4_.num_agpr, 0
	.set _Z17sort_pairs_kernelI22helper_blocked_stripedN15benchmark_utils11custom_typeIiiEELj320ELj3ELj10EEvPKT0_PS4_.numbered_sgpr, 47
	.set _Z17sort_pairs_kernelI22helper_blocked_stripedN15benchmark_utils11custom_typeIiiEELj320ELj3ELj10EEvPKT0_PS4_.num_named_barrier, 0
	.set _Z17sort_pairs_kernelI22helper_blocked_stripedN15benchmark_utils11custom_typeIiiEELj320ELj3ELj10EEvPKT0_PS4_.private_seg_size, 0
	.set _Z17sort_pairs_kernelI22helper_blocked_stripedN15benchmark_utils11custom_typeIiiEELj320ELj3ELj10EEvPKT0_PS4_.uses_vcc, 1
	.set _Z17sort_pairs_kernelI22helper_blocked_stripedN15benchmark_utils11custom_typeIiiEELj320ELj3ELj10EEvPKT0_PS4_.uses_flat_scratch, 0
	.set _Z17sort_pairs_kernelI22helper_blocked_stripedN15benchmark_utils11custom_typeIiiEELj320ELj3ELj10EEvPKT0_PS4_.has_dyn_sized_stack, 0
	.set _Z17sort_pairs_kernelI22helper_blocked_stripedN15benchmark_utils11custom_typeIiiEELj320ELj3ELj10EEvPKT0_PS4_.has_recursion, 0
	.set _Z17sort_pairs_kernelI22helper_blocked_stripedN15benchmark_utils11custom_typeIiiEELj320ELj3ELj10EEvPKT0_PS4_.has_indirect_call, 0
	.section	.AMDGPU.csdata,"",@progbits
; Kernel info:
; codeLenInByte = 2848
; TotalNumSgprs: 51
; NumVgprs: 39
; ScratchSize: 0
; MemoryBound: 0
; FloatMode: 240
; IeeeMode: 1
; LDSByteSize: 7680 bytes/workgroup (compile time only)
; SGPRBlocks: 6
; VGPRBlocks: 9
; NumSGPRsForWavesPerEU: 51
; NumVGPRsForWavesPerEU: 39
; Occupancy: 6
; WaveLimiterHint : 1
; COMPUTE_PGM_RSRC2:SCRATCH_EN: 0
; COMPUTE_PGM_RSRC2:USER_SGPR: 6
; COMPUTE_PGM_RSRC2:TRAP_HANDLER: 0
; COMPUTE_PGM_RSRC2:TGID_X_EN: 1
; COMPUTE_PGM_RSRC2:TGID_Y_EN: 0
; COMPUTE_PGM_RSRC2:TGID_Z_EN: 0
; COMPUTE_PGM_RSRC2:TIDIG_COMP_CNT: 2
	.section	.text._Z16sort_keys_kernelI22helper_blocked_stripedN15benchmark_utils11custom_typeIiiEELj320ELj4ELj10EEvPKT0_PS4_,"axG",@progbits,_Z16sort_keys_kernelI22helper_blocked_stripedN15benchmark_utils11custom_typeIiiEELj320ELj4ELj10EEvPKT0_PS4_,comdat
	.protected	_Z16sort_keys_kernelI22helper_blocked_stripedN15benchmark_utils11custom_typeIiiEELj320ELj4ELj10EEvPKT0_PS4_ ; -- Begin function _Z16sort_keys_kernelI22helper_blocked_stripedN15benchmark_utils11custom_typeIiiEELj320ELj4ELj10EEvPKT0_PS4_
	.globl	_Z16sort_keys_kernelI22helper_blocked_stripedN15benchmark_utils11custom_typeIiiEELj320ELj4ELj10EEvPKT0_PS4_
	.p2align	8
	.type	_Z16sort_keys_kernelI22helper_blocked_stripedN15benchmark_utils11custom_typeIiiEELj320ELj4ELj10EEvPKT0_PS4_,@function
_Z16sort_keys_kernelI22helper_blocked_stripedN15benchmark_utils11custom_typeIiiEELj320ELj4ELj10EEvPKT0_PS4_: ; @_Z16sort_keys_kernelI22helper_blocked_stripedN15benchmark_utils11custom_typeIiiEELj320ELj4ELj10EEvPKT0_PS4_
; %bb.0:
	s_load_dwordx4 s[44:47], s[4:5], 0x0
	s_load_dword s8, s[4:5], 0x1c
	s_mul_i32 s48, s6, 0x500
	s_mov_b32 s49, 0
	s_lshl_b64 s[50:51], s[48:49], 3
	s_waitcnt lgkmcnt(0)
	s_add_u32 s0, s44, s50
	s_addc_u32 s1, s45, s51
	v_lshlrev_b32_e32 v11, 5, v0
	global_load_dwordx4 v[3:6], v11, s[0:1] offset:16
	global_load_dwordx4 v[7:10], v11, s[0:1]
	global_load_dwordx2 v[7:8], v11, s[0:1]
	s_lshr_b32 s9, s8, 16
                                        ; kill: killed $vgpr11
	v_mbcnt_lo_u32_b32 v11, -1, 0
	s_and_b32 s8, s8, 0xffff
	v_mad_u32_u24 v1, v2, s9, v1
	v_mbcnt_hi_u32_b32 v11, -1, v11
	v_mad_u64_u32 v[1:2], s[8:9], v1, s8, v[0:1]
	v_and_b32_e32 v2, 15, v11
	v_cmp_eq_u32_e64 s[8:9], 0, v2
	v_cmp_lt_u32_e64 s[10:11], 1, v2
	v_cmp_lt_u32_e64 s[12:13], 3, v2
	v_cmp_lt_u32_e64 s[14:15], 7, v2
	v_and_b32_e32 v2, 16, v11
	v_cmp_eq_u32_e64 s[16:17], 0, v2
	v_and_b32_e32 v2, 0x1c0, v0
	v_min_u32_e32 v2, 0x100, v2
	v_or_b32_e32 v2, 63, v2
	v_and_b32_e32 v14, 64, v11
	v_cmp_eq_u32_e64 s[20:21], v0, v2
	v_subrev_co_u32_e64 v2, s[26:27], 1, v11
	v_cmp_lt_i32_e32 vcc, v2, v14
	v_cndmask_b32_e32 v2, v2, v11, vcc
	v_lshlrev_b32_e32 v25, 2, v2
	v_lshrrev_b32_e32 v2, 4, v0
	v_lshlrev_b32_e32 v19, 2, v0
	v_lshrrev_b32_e32 v12, 2, v11
	v_and_b32_e32 v26, 28, v2
	v_and_b32_e32 v2, 7, v11
	s_movk_i32 s33, 0x700
	v_or_b32_e32 v15, v12, v14
	v_add_u32_e32 v12, 48, v12
	v_cmp_eq_u32_e64 s[30:31], 0, v2
	v_cmp_lt_u32_e64 s[34:35], 1, v2
	v_cmp_lt_u32_e64 s[36:37], 3, v2
	v_and_or_b32 v2, v19, s33, v11
	v_and_b32_e32 v13, 3, v11
	v_and_or_b32 v12, v12, 63, v14
	v_cmp_lt_u32_e64 s[18:19], 31, v11
	v_lshrrev_b32_e32 v11, 2, v2
	v_lshlrev_b32_e32 v23, 2, v12
	v_and_b32_e32 v11, 0x1d8, v11
	v_lshlrev_b32_e32 v12, 3, v2
	v_add_u32_e32 v28, v11, v12
	v_add_u32_e32 v11, 64, v2
	v_lshrrev_b32_e32 v11, 2, v11
	v_and_b32_e32 v11, 0x1f8, v11
	v_add_u32_e32 v29, v11, v12
	v_or_b32_e32 v11, 0x80, v2
	v_add_u32_e32 v2, 0xc0, v2
	v_lshrrev_b32_e32 v11, 2, v11
	v_lshrrev_b32_e32 v2, 2, v2
	v_lshlrev_b32_e32 v20, 2, v15
	v_lshlrev_b32_e32 v24, 4, v0
	v_and_b32_e32 v11, 0x1f8, v11
	v_and_b32_e32 v2, 0x3f8, v2
	v_lshrrev_b32_e32 v1, 4, v1
                                        ; kill: killed $sgpr0 killed $sgpr1
	v_cmp_eq_u32_e64 s[0:1], 0, v13
	v_cmp_eq_u32_e64 s[2:3], 1, v13
	;; [unrolled: 1-line block ×4, first 2 shown]
	v_add_u32_e32 v21, 64, v20
	v_or_b32_e32 v22, 0x80, v20
	v_cmp_gt_u32_e64 s[22:23], 5, v0
	v_cmp_lt_u32_e64 s[24:25], 63, v0
	v_cmp_eq_u32_e64 s[28:29], 0, v0
	v_mad_i32_i24 v27, v0, -12, v24
	v_add_u32_e32 v30, v11, v12
	v_add_u32_e32 v31, v2, v12
	v_add_u32_e32 v32, -4, v26
	v_and_b32_e32 v33, 0xffffffc, v1
	v_mov_b32_e32 v1, 0
	s_branch .LBB372_2
.LBB372_1:                              ;   in Loop: Header=BB372_2 Depth=1
	v_lshlrev_b32_e32 v11, 3, v39
	s_barrier
	ds_write_b64 v11, v[9:10]
	v_lshlrev_b32_e32 v9, 3, v36
	ds_write_b64 v9, v[7:8]
	v_lshlrev_b32_e32 v7, 3, v34
	;; [unrolled: 2-line block ×3, first 2 shown]
	v_add_u32_e32 v6, v27, v19
	ds_write_b64 v2, v[3:4]
	s_waitcnt lgkmcnt(0)
	s_barrier
	ds_read2st64_b64 v[2:5], v6 offset1:5
	ds_read2st64_b64 v[11:14], v6 offset0:10 offset1:15
	s_add_i32 s49, s49, 1
	s_cmp_eq_u32 s49, 10
	s_waitcnt lgkmcnt(1)
	v_xor_b32_e32 v7, 0x80000000, v2
	v_xor_b32_e32 v8, 0x80000000, v3
	;; [unrolled: 1-line block ×4, first 2 shown]
	s_waitcnt lgkmcnt(0)
	v_xor_b32_e32 v3, 0x80000000, v11
	v_xor_b32_e32 v4, 0x80000000, v12
	;; [unrolled: 1-line block ×4, first 2 shown]
	s_cbranch_scc1 .LBB372_20
.LBB372_2:                              ; =>This Loop Header: Depth=1
                                        ;     Child Loop BB372_4 Depth 2
	s_waitcnt vmcnt(0)
	v_xor_b32_e32 v2, 0x80000000, v7
	v_xor_b32_e32 v7, 0x80000000, v8
	;; [unrolled: 1-line block ×4, first 2 shown]
	ds_bpermute_b32 v10, v20, v7
	ds_bpermute_b32 v12, v20, v9
	;; [unrolled: 1-line block ×4, first 2 shown]
	v_xor_b32_e32 v4, 0x80000000, v4
	v_xor_b32_e32 v6, 0x80000000, v6
	s_waitcnt lgkmcnt(3)
	v_cndmask_b32_e64 v10, 0, v10, s[0:1]
	ds_bpermute_b32 v14, v20, v4
	v_xor_b32_e32 v3, 0x80000000, v3
	s_waitcnt lgkmcnt(3)
	v_cndmask_b32_e64 v10, v10, v12, s[2:3]
	ds_bpermute_b32 v12, v20, v6
	;; [unrolled: 4-line block ×3, first 2 shown]
	s_waitcnt lgkmcnt(3)
	v_cndmask_b32_e64 v11, v11, v13, s[2:3]
	ds_bpermute_b32 v13, v20, v5
	s_waitcnt lgkmcnt(3)
	v_cndmask_b32_e64 v10, v10, v14, s[4:5]
	s_waitcnt lgkmcnt(2)
	v_cndmask_b32_e64 v12, v10, v12, s[6:7]
	ds_bpermute_b32 v10, v21, v7
	s_waitcnt lgkmcnt(2)
	v_cndmask_b32_e64 v11, v11, v15, s[4:5]
	ds_bpermute_b32 v14, v21, v2
	ds_bpermute_b32 v15, v21, v9
	s_waitcnt lgkmcnt(3)
	v_cndmask_b32_e64 v11, v11, v13, s[6:7]
	ds_bpermute_b32 v13, v21, v8
	s_waitcnt lgkmcnt(3)
	v_cndmask_b32_e64 v10, 0, v10, s[0:1]
	s_waitcnt lgkmcnt(2)
	v_cndmask_b32_e64 v14, 0, v14, s[0:1]
	;; [unrolled: 2-line block ×3, first 2 shown]
	ds_bpermute_b32 v15, v21, v4
	s_waitcnt lgkmcnt(1)
	v_cndmask_b32_e64 v13, v14, v13, s[2:3]
	ds_bpermute_b32 v14, v21, v3
	ds_bpermute_b32 v16, v21, v6
	;; [unrolled: 1-line block ×3, first 2 shown]
	s_waitcnt lgkmcnt(3)
	v_cndmask_b32_e64 v10, v10, v15, s[4:5]
	ds_bpermute_b32 v15, v22, v7
	s_waitcnt lgkmcnt(3)
	v_cndmask_b32_e64 v13, v13, v14, s[4:5]
	s_waitcnt lgkmcnt(2)
	v_cndmask_b32_e64 v14, v10, v16, s[6:7]
	ds_bpermute_b32 v10, v22, v2
	s_waitcnt lgkmcnt(2)
	v_cndmask_b32_e64 v13, v13, v17, s[6:7]
	ds_bpermute_b32 v16, v22, v9
	ds_bpermute_b32 v17, v22, v8
	;; [unrolled: 1-line block ×6, first 2 shown]
	s_waitcnt lgkmcnt(7)
	v_cndmask_b32_e64 v15, 0, v15, s[0:1]
	ds_bpermute_b32 v18, v22, v4
	s_waitcnt lgkmcnt(7)
	v_cndmask_b32_e64 v10, 0, v10, s[0:1]
	ds_bpermute_b32 v34, v22, v3
	ds_bpermute_b32 v4, v23, v4
	;; [unrolled: 1-line block ×3, first 2 shown]
	s_waitcnt lgkmcnt(9)
	v_cndmask_b32_e64 v15, v15, v16, s[2:3]
	s_waitcnt lgkmcnt(8)
	v_cndmask_b32_e64 v10, v10, v17, s[2:3]
	ds_bpermute_b32 v16, v22, v6
	ds_bpermute_b32 v17, v22, v5
	ds_bpermute_b32 v6, v23, v6
	ds_bpermute_b32 v5, v23, v5
	s_waitcnt lgkmcnt(11)
	v_cndmask_b32_e64 v7, 0, v7, s[0:1]
	s_waitcnt lgkmcnt(10)
	v_cndmask_b32_e64 v2, 0, v2, s[0:1]
	;; [unrolled: 2-line block ×12, first 2 shown]
	s_mov_b32 s33, 8
	s_mov_b32 s44, 32
	;; [unrolled: 1-line block ×3, first 2 shown]
	s_barrier
	s_branch .LBB372_4
.LBB372_3:                              ;   in Loop: Header=BB372_4 Depth=2
	s_andn2_b64 vcc, exec, s[38:39]
	s_cbranch_vccz .LBB372_1
.LBB372_4:                              ;   Parent Loop BB372_2 Depth=1
                                        ; =>  This Inner Loop Header: Depth=2
	s_min_i32 s40, s33, 32
	s_cmp_lt_u32 s45, 32
	s_cselect_b64 s[38:39], -1, 0
	s_cmp_gt_u32 s45, 31
	s_cselect_b64 vcc, -1, 0
	s_sub_i32 s40, s40, 32
	s_add_i32 s41, s40, s44
	s_lshl_b32 s41, -1, s41
	s_not_b32 s41, s41
	s_cmp_lg_u32 s40, s45
	s_cselect_b32 s52, s41, -1
	s_max_i32 s48, s44, 0
	s_max_i32 s40, s45, 32
	s_sub_i32 s53, s40, 32
	s_sub_i32 s40, s40, s48
	;; [unrolled: 1-line block ×3, first 2 shown]
	s_min_i32 s40, s40, 32
	s_sub_i32 s40, s40, s53
	s_lshl_b32 s41, -1, s40
	s_not_b32 s41, s41
	v_mov_b32_e32 v9, v11
	s_cmp_lg_u32 s40, 32
	v_mov_b32_e32 v10, v12
	s_cselect_b32 s54, s41, -1
	v_lshrrev_b32_e32 v11, s53, v9
	v_lshrrev_b32_e32 v2, s45, v10
	v_and_b32_e32 v11, s54, v11
	v_and_b32_e32 v2, s52, v2
	v_lshlrev_b32_e32 v11, s48, v11
	v_cndmask_b32_e64 v2, 0, v2, s[38:39]
	v_cndmask_b32_e32 v11, 0, v11, vcc
	v_or_b32_e32 v11, v2, v11
	v_and_b32_e32 v2, 1, v11
	v_mov_b32_e32 v7, v13
	v_add_co_u32_e64 v12, s[40:41], -1, v2
	v_mov_b32_e32 v8, v14
	v_addc_co_u32_e64 v14, s[40:41], 0, -1, s[40:41]
	v_cmp_ne_u32_e64 s[40:41], 0, v2
	v_xor_b32_e32 v2, s41, v14
	v_and_b32_e32 v14, exec_hi, v2
	v_lshlrev_b32_e32 v2, 30, v11
	v_xor_b32_e32 v12, s40, v12
	v_cmp_gt_i64_e64 s[40:41], 0, v[1:2]
	v_not_b32_e32 v2, v2
	v_mov_b32_e32 v5, v15
	v_ashrrev_i32_e32 v2, 31, v2
	v_mov_b32_e32 v6, v16
	v_and_b32_e32 v12, exec_lo, v12
	v_xor_b32_e32 v15, s41, v2
	v_xor_b32_e32 v2, s40, v2
	v_and_b32_e32 v12, v12, v2
	v_lshlrev_b32_e32 v2, 29, v11
	v_cmp_gt_i64_e64 s[40:41], 0, v[1:2]
	v_not_b32_e32 v2, v2
	v_ashrrev_i32_e32 v2, 31, v2
	v_and_b32_e32 v14, v14, v15
	v_xor_b32_e32 v15, s41, v2
	v_xor_b32_e32 v2, s40, v2
	v_and_b32_e32 v12, v12, v2
	v_lshlrev_b32_e32 v2, 28, v11
	v_cmp_gt_i64_e64 s[40:41], 0, v[1:2]
	v_not_b32_e32 v2, v2
	v_ashrrev_i32_e32 v2, 31, v2
	v_and_b32_e32 v14, v14, v15
	v_xor_b32_e32 v15, s41, v2
	v_xor_b32_e32 v2, s40, v2
	v_and_b32_e32 v12, v12, v2
	v_lshlrev_b32_e32 v2, 27, v11
	v_cmp_gt_i64_e64 s[40:41], 0, v[1:2]
	v_not_b32_e32 v2, v2
	v_ashrrev_i32_e32 v2, 31, v2
	v_and_b32_e32 v14, v14, v15
	v_xor_b32_e32 v15, s41, v2
	v_xor_b32_e32 v2, s40, v2
	v_and_b32_e32 v12, v12, v2
	v_lshlrev_b32_e32 v2, 26, v11
	v_cmp_gt_i64_e64 s[40:41], 0, v[1:2]
	v_not_b32_e32 v2, v2
	v_ashrrev_i32_e32 v2, 31, v2
	v_and_b32_e32 v14, v14, v15
	v_xor_b32_e32 v15, s41, v2
	v_xor_b32_e32 v2, s40, v2
	v_and_b32_e32 v12, v12, v2
	v_lshlrev_b32_e32 v2, 25, v11
	v_cmp_gt_i64_e64 s[40:41], 0, v[1:2]
	v_not_b32_e32 v2, v2
	v_ashrrev_i32_e32 v2, 31, v2
	v_and_b32_e32 v14, v14, v15
	v_xor_b32_e32 v15, s41, v2
	v_xor_b32_e32 v2, s40, v2
	v_and_b32_e32 v14, v14, v15
	v_and_b32_e32 v15, v12, v2
	v_lshlrev_b32_e32 v2, 24, v11
	v_cmp_gt_i64_e64 s[40:41], 0, v[1:2]
	v_not_b32_e32 v2, v2
	v_ashrrev_i32_e32 v2, 31, v2
	v_mul_lo_u32 v13, v11, 20
	v_xor_b32_e32 v11, s41, v2
	v_xor_b32_e32 v2, s40, v2
	v_and_b32_e32 v12, v14, v11
	v_and_b32_e32 v11, v15, v2
	v_mbcnt_lo_u32_b32 v2, v11, 0
	v_mbcnt_hi_u32_b32 v15, v12, v2
	v_cmp_ne_u64_e64 s[40:41], 0, v[11:12]
	v_mov_b32_e32 v3, v17
	v_cmp_eq_u32_e64 s[42:43], 0, v15
	v_mov_b32_e32 v4, v18
	s_and_b64 s[42:43], s[42:43], s[40:41]
	v_add_u32_e32 v16, v33, v13
	ds_write2_b32 v24, v1, v1 offset0:5 offset1:6
	ds_write2_b32 v24, v1, v1 offset0:7 offset1:8
	s_waitcnt lgkmcnt(0)
	s_barrier
	; wave barrier
	s_and_saveexec_b64 s[40:41], s[42:43]
; %bb.5:                                ;   in Loop: Header=BB372_4 Depth=2
	v_bcnt_u32_b32 v2, v11, 0
	v_bcnt_u32_b32 v2, v12, v2
	ds_write_b32 v16, v2 offset:20
; %bb.6:                                ;   in Loop: Header=BB372_4 Depth=2
	s_or_b64 exec, exec, s[40:41]
	v_lshrrev_b32_e32 v11, s53, v7
	v_lshrrev_b32_e32 v2, s45, v8
	v_and_b32_e32 v11, s54, v11
	v_and_b32_e32 v2, s52, v2
	v_lshlrev_b32_e32 v11, s48, v11
	v_cndmask_b32_e64 v2, 0, v2, s[38:39]
	v_cndmask_b32_e32 v11, 0, v11, vcc
	v_or_b32_e32 v11, v2, v11
	v_mul_lo_u32 v2, v11, 20
	; wave barrier
	v_add_u32_e32 v18, v33, v2
	v_and_b32_e32 v2, 1, v11
	v_add_co_u32_e64 v12, s[40:41], -1, v2
	v_addc_co_u32_e64 v13, s[40:41], 0, -1, s[40:41]
	v_cmp_ne_u32_e64 s[40:41], 0, v2
	v_xor_b32_e32 v2, s41, v13
	v_and_b32_e32 v13, exec_hi, v2
	v_lshlrev_b32_e32 v2, 30, v11
	v_xor_b32_e32 v12, s40, v12
	v_cmp_gt_i64_e64 s[40:41], 0, v[1:2]
	v_not_b32_e32 v2, v2
	v_ashrrev_i32_e32 v2, 31, v2
	v_and_b32_e32 v12, exec_lo, v12
	v_xor_b32_e32 v14, s41, v2
	v_xor_b32_e32 v2, s40, v2
	v_and_b32_e32 v12, v12, v2
	v_lshlrev_b32_e32 v2, 29, v11
	v_cmp_gt_i64_e64 s[40:41], 0, v[1:2]
	v_not_b32_e32 v2, v2
	v_ashrrev_i32_e32 v2, 31, v2
	v_and_b32_e32 v13, v13, v14
	v_xor_b32_e32 v14, s41, v2
	v_xor_b32_e32 v2, s40, v2
	v_and_b32_e32 v12, v12, v2
	v_lshlrev_b32_e32 v2, 28, v11
	v_cmp_gt_i64_e64 s[40:41], 0, v[1:2]
	v_not_b32_e32 v2, v2
	v_ashrrev_i32_e32 v2, 31, v2
	v_and_b32_e32 v13, v13, v14
	;; [unrolled: 8-line block ×5, first 2 shown]
	v_xor_b32_e32 v14, s41, v2
	v_xor_b32_e32 v2, s40, v2
	v_and_b32_e32 v13, v13, v14
	v_and_b32_e32 v14, v12, v2
	v_lshlrev_b32_e32 v2, 24, v11
	v_cmp_gt_i64_e64 s[40:41], 0, v[1:2]
	v_not_b32_e32 v2, v2
	v_ashrrev_i32_e32 v2, 31, v2
	v_xor_b32_e32 v11, s41, v2
	v_xor_b32_e32 v2, s40, v2
	ds_read_b32 v17, v18 offset:20
	v_and_b32_e32 v12, v13, v11
	v_and_b32_e32 v11, v14, v2
	v_mbcnt_lo_u32_b32 v2, v11, 0
	v_mbcnt_hi_u32_b32 v34, v12, v2
	v_cmp_ne_u64_e64 s[40:41], 0, v[11:12]
	v_cmp_eq_u32_e64 s[42:43], 0, v34
	s_and_b64 s[42:43], s[42:43], s[40:41]
	; wave barrier
	s_and_saveexec_b64 s[40:41], s[42:43]
	s_cbranch_execz .LBB372_8
; %bb.7:                                ;   in Loop: Header=BB372_4 Depth=2
	v_bcnt_u32_b32 v2, v11, 0
	v_bcnt_u32_b32 v2, v12, v2
	s_waitcnt lgkmcnt(0)
	v_add_u32_e32 v2, v17, v2
	ds_write_b32 v18, v2 offset:20
.LBB372_8:                              ;   in Loop: Header=BB372_4 Depth=2
	s_or_b64 exec, exec, s[40:41]
	v_lshrrev_b32_e32 v11, s53, v5
	v_lshrrev_b32_e32 v2, s45, v6
	v_and_b32_e32 v11, s54, v11
	v_and_b32_e32 v2, s52, v2
	v_lshlrev_b32_e32 v11, s48, v11
	v_cndmask_b32_e64 v2, 0, v2, s[38:39]
	v_cndmask_b32_e32 v11, 0, v11, vcc
	v_or_b32_e32 v11, v2, v11
	v_mul_lo_u32 v2, v11, 20
	; wave barrier
	v_add_u32_e32 v36, v33, v2
	v_and_b32_e32 v2, 1, v11
	v_add_co_u32_e64 v12, s[40:41], -1, v2
	v_addc_co_u32_e64 v13, s[40:41], 0, -1, s[40:41]
	v_cmp_ne_u32_e64 s[40:41], 0, v2
	v_xor_b32_e32 v2, s41, v13
	v_and_b32_e32 v13, exec_hi, v2
	v_lshlrev_b32_e32 v2, 30, v11
	v_xor_b32_e32 v12, s40, v12
	v_cmp_gt_i64_e64 s[40:41], 0, v[1:2]
	v_not_b32_e32 v2, v2
	v_ashrrev_i32_e32 v2, 31, v2
	v_and_b32_e32 v12, exec_lo, v12
	v_xor_b32_e32 v14, s41, v2
	v_xor_b32_e32 v2, s40, v2
	v_and_b32_e32 v12, v12, v2
	v_lshlrev_b32_e32 v2, 29, v11
	v_cmp_gt_i64_e64 s[40:41], 0, v[1:2]
	v_not_b32_e32 v2, v2
	v_ashrrev_i32_e32 v2, 31, v2
	v_and_b32_e32 v13, v13, v14
	v_xor_b32_e32 v14, s41, v2
	v_xor_b32_e32 v2, s40, v2
	v_and_b32_e32 v12, v12, v2
	v_lshlrev_b32_e32 v2, 28, v11
	v_cmp_gt_i64_e64 s[40:41], 0, v[1:2]
	v_not_b32_e32 v2, v2
	v_ashrrev_i32_e32 v2, 31, v2
	v_and_b32_e32 v13, v13, v14
	;; [unrolled: 8-line block ×5, first 2 shown]
	v_xor_b32_e32 v14, s41, v2
	v_xor_b32_e32 v2, s40, v2
	v_and_b32_e32 v13, v13, v14
	v_and_b32_e32 v14, v12, v2
	v_lshlrev_b32_e32 v2, 24, v11
	v_cmp_gt_i64_e64 s[40:41], 0, v[1:2]
	v_not_b32_e32 v2, v2
	v_ashrrev_i32_e32 v2, 31, v2
	v_xor_b32_e32 v11, s41, v2
	v_xor_b32_e32 v2, s40, v2
	ds_read_b32 v35, v36 offset:20
	v_and_b32_e32 v12, v13, v11
	v_and_b32_e32 v11, v14, v2
	v_mbcnt_lo_u32_b32 v2, v11, 0
	v_mbcnt_hi_u32_b32 v37, v12, v2
	v_cmp_ne_u64_e64 s[40:41], 0, v[11:12]
	v_cmp_eq_u32_e64 s[42:43], 0, v37
	s_and_b64 s[42:43], s[42:43], s[40:41]
	; wave barrier
	s_and_saveexec_b64 s[40:41], s[42:43]
	s_cbranch_execz .LBB372_10
; %bb.9:                                ;   in Loop: Header=BB372_4 Depth=2
	v_bcnt_u32_b32 v2, v11, 0
	v_bcnt_u32_b32 v2, v12, v2
	s_waitcnt lgkmcnt(0)
	v_add_u32_e32 v2, v35, v2
	ds_write_b32 v36, v2 offset:20
.LBB372_10:                             ;   in Loop: Header=BB372_4 Depth=2
	s_or_b64 exec, exec, s[40:41]
	v_lshrrev_b32_e32 v11, s53, v3
	v_lshrrev_b32_e32 v2, s45, v4
	v_and_b32_e32 v11, s54, v11
	v_and_b32_e32 v2, s52, v2
	v_lshlrev_b32_e32 v11, s48, v11
	v_cndmask_b32_e64 v2, 0, v2, s[38:39]
	v_cndmask_b32_e32 v11, 0, v11, vcc
	v_or_b32_e32 v11, v2, v11
	v_mul_lo_u32 v2, v11, 20
	; wave barrier
	v_add_u32_e32 v39, v33, v2
	v_and_b32_e32 v2, 1, v11
	v_add_co_u32_e32 v12, vcc, -1, v2
	v_addc_co_u32_e64 v13, s[38:39], 0, -1, vcc
	v_cmp_ne_u32_e32 vcc, 0, v2
	v_xor_b32_e32 v2, vcc_hi, v13
	v_and_b32_e32 v13, exec_hi, v2
	v_lshlrev_b32_e32 v2, 30, v11
	v_xor_b32_e32 v12, vcc_lo, v12
	v_cmp_gt_i64_e32 vcc, 0, v[1:2]
	v_not_b32_e32 v2, v2
	v_ashrrev_i32_e32 v2, 31, v2
	v_and_b32_e32 v12, exec_lo, v12
	v_xor_b32_e32 v14, vcc_hi, v2
	v_xor_b32_e32 v2, vcc_lo, v2
	v_and_b32_e32 v12, v12, v2
	v_lshlrev_b32_e32 v2, 29, v11
	v_cmp_gt_i64_e32 vcc, 0, v[1:2]
	v_not_b32_e32 v2, v2
	v_ashrrev_i32_e32 v2, 31, v2
	v_and_b32_e32 v13, v13, v14
	v_xor_b32_e32 v14, vcc_hi, v2
	v_xor_b32_e32 v2, vcc_lo, v2
	v_and_b32_e32 v12, v12, v2
	v_lshlrev_b32_e32 v2, 28, v11
	v_cmp_gt_i64_e32 vcc, 0, v[1:2]
	v_not_b32_e32 v2, v2
	v_ashrrev_i32_e32 v2, 31, v2
	v_and_b32_e32 v13, v13, v14
	;; [unrolled: 8-line block ×5, first 2 shown]
	v_xor_b32_e32 v14, vcc_hi, v2
	v_xor_b32_e32 v2, vcc_lo, v2
	v_and_b32_e32 v13, v13, v14
	v_and_b32_e32 v14, v12, v2
	v_lshlrev_b32_e32 v2, 24, v11
	v_cmp_gt_i64_e32 vcc, 0, v[1:2]
	v_not_b32_e32 v2, v2
	v_ashrrev_i32_e32 v2, 31, v2
	v_xor_b32_e32 v11, vcc_hi, v2
	v_xor_b32_e32 v2, vcc_lo, v2
	ds_read_b32 v38, v39 offset:20
	v_and_b32_e32 v12, v13, v11
	v_and_b32_e32 v11, v14, v2
	v_mbcnt_lo_u32_b32 v2, v11, 0
	v_mbcnt_hi_u32_b32 v2, v12, v2
	v_cmp_ne_u64_e32 vcc, 0, v[11:12]
	v_cmp_eq_u32_e64 s[38:39], 0, v2
	s_and_b64 s[40:41], s[38:39], vcc
	; wave barrier
	s_and_saveexec_b64 s[38:39], s[40:41]
	s_cbranch_execz .LBB372_12
; %bb.11:                               ;   in Loop: Header=BB372_4 Depth=2
	v_bcnt_u32_b32 v11, v11, 0
	v_bcnt_u32_b32 v11, v12, v11
	s_waitcnt lgkmcnt(0)
	v_add_u32_e32 v11, v38, v11
	ds_write_b32 v39, v11 offset:20
.LBB372_12:                             ;   in Loop: Header=BB372_4 Depth=2
	s_or_b64 exec, exec, s[38:39]
	; wave barrier
	s_waitcnt lgkmcnt(0)
	s_barrier
	ds_read2_b32 v[13:14], v24 offset0:5 offset1:6
	ds_read2_b32 v[11:12], v24 offset0:7 offset1:8
	s_waitcnt lgkmcnt(1)
	v_add_u32_e32 v40, v14, v13
	s_waitcnt lgkmcnt(0)
	v_add3_u32 v12, v40, v11, v12
	s_nop 1
	v_mov_b32_dpp v40, v12 row_shr:1 row_mask:0xf bank_mask:0xf
	v_cndmask_b32_e64 v40, v40, 0, s[8:9]
	v_add_u32_e32 v12, v40, v12
	s_nop 1
	v_mov_b32_dpp v40, v12 row_shr:2 row_mask:0xf bank_mask:0xf
	v_cndmask_b32_e64 v40, 0, v40, s[10:11]
	v_add_u32_e32 v12, v12, v40
	;; [unrolled: 4-line block ×4, first 2 shown]
	s_nop 1
	v_mov_b32_dpp v40, v12 row_bcast:15 row_mask:0xf bank_mask:0xf
	v_cndmask_b32_e64 v40, v40, 0, s[16:17]
	v_add_u32_e32 v12, v12, v40
	s_nop 1
	v_mov_b32_dpp v40, v12 row_bcast:31 row_mask:0xf bank_mask:0xf
	v_cndmask_b32_e64 v40, 0, v40, s[18:19]
	v_add_u32_e32 v12, v12, v40
	s_and_saveexec_b64 s[38:39], s[20:21]
; %bb.13:                               ;   in Loop: Header=BB372_4 Depth=2
	ds_write_b32 v26, v12
; %bb.14:                               ;   in Loop: Header=BB372_4 Depth=2
	s_or_b64 exec, exec, s[38:39]
	s_waitcnt lgkmcnt(0)
	s_barrier
	s_and_saveexec_b64 s[38:39], s[22:23]
	s_cbranch_execz .LBB372_16
; %bb.15:                               ;   in Loop: Header=BB372_4 Depth=2
	ds_read_b32 v40, v27
	s_waitcnt lgkmcnt(0)
	s_nop 0
	v_mov_b32_dpp v41, v40 row_shr:1 row_mask:0xf bank_mask:0xf
	v_cndmask_b32_e64 v41, v41, 0, s[30:31]
	v_add_u32_e32 v40, v41, v40
	s_nop 1
	v_mov_b32_dpp v41, v40 row_shr:2 row_mask:0xf bank_mask:0xf
	v_cndmask_b32_e64 v41, 0, v41, s[34:35]
	v_add_u32_e32 v40, v40, v41
	;; [unrolled: 4-line block ×3, first 2 shown]
	ds_write_b32 v27, v40
.LBB372_16:                             ;   in Loop: Header=BB372_4 Depth=2
	s_or_b64 exec, exec, s[38:39]
	v_mov_b32_e32 v40, 0
	s_waitcnt lgkmcnt(0)
	s_barrier
	s_and_saveexec_b64 s[38:39], s[24:25]
; %bb.17:                               ;   in Loop: Header=BB372_4 Depth=2
	ds_read_b32 v40, v32
; %bb.18:                               ;   in Loop: Header=BB372_4 Depth=2
	s_or_b64 exec, exec, s[38:39]
	s_waitcnt lgkmcnt(0)
	v_add_u32_e32 v12, v40, v12
	ds_bpermute_b32 v12, v25, v12
	s_cmp_gt_u32 s45, 55
	s_mov_b64 s[38:39], -1
	s_waitcnt lgkmcnt(0)
	v_cndmask_b32_e64 v12, v12, v40, s[26:27]
	v_cndmask_b32_e64 v12, v12, 0, s[28:29]
	v_add_u32_e32 v13, v12, v13
	v_add_u32_e32 v14, v13, v14
	;; [unrolled: 1-line block ×3, first 2 shown]
	ds_write2_b32 v24, v12, v13 offset0:5 offset1:6
	ds_write2_b32 v24, v14, v11 offset0:7 offset1:8
	s_waitcnt lgkmcnt(0)
	s_barrier
	ds_read_b32 v11, v16 offset:20
	ds_read_b32 v12, v18 offset:20
	;; [unrolled: 1-line block ×4, first 2 shown]
	s_waitcnt lgkmcnt(0)
	v_add_u32_e32 v39, v11, v15
	v_add3_u32 v36, v34, v17, v12
	v_add3_u32 v34, v37, v35, v13
	;; [unrolled: 1-line block ×3, first 2 shown]
                                        ; implicit-def: $vgpr11_vgpr12
                                        ; implicit-def: $vgpr13_vgpr14
                                        ; implicit-def: $vgpr15_vgpr16
                                        ; implicit-def: $vgpr17_vgpr18
	s_cbranch_scc1 .LBB372_3
; %bb.19:                               ;   in Loop: Header=BB372_4 Depth=2
	v_lshrrev_b32_e32 v11, 2, v39
	v_and_b32_e32 v11, 0x3ffffff8, v11
	v_lshl_add_u32 v11, v39, 3, v11
	s_barrier
	ds_write_b64 v11, v[9:10]
	v_lshrrev_b32_e32 v11, 2, v36
	v_and_b32_e32 v11, 0x3ffffff8, v11
	v_lshl_add_u32 v11, v36, 3, v11
	ds_write_b64 v11, v[7:8]
	v_lshrrev_b32_e32 v11, 2, v34
	v_and_b32_e32 v11, 0x3ffffff8, v11
	v_lshl_add_u32 v11, v34, 3, v11
	;; [unrolled: 4-line block ×3, first 2 shown]
	ds_write_b64 v11, v[3:4]
	s_waitcnt lgkmcnt(0)
	s_barrier
	ds_read_b64 v[11:12], v28
	ds_read_b64 v[13:14], v29 offset:512
	ds_read_b64 v[15:16], v30 offset:1024
	ds_read_b64 v[17:18], v31 offset:1536
	s_add_i32 s44, s44, -8
	s_add_i32 s33, s33, 8
	s_add_i32 s45, s45, 8
	s_mov_b64 s[38:39], 0
	s_waitcnt lgkmcnt(0)
	s_barrier
	s_branch .LBB372_3
.LBB372_20:
	s_add_u32 s0, s46, s50
	s_addc_u32 s1, s47, s51
	v_lshlrev_b32_e32 v0, 3, v0
	v_mov_b32_e32 v1, s1
	v_add_co_u32_e32 v2, vcc, s0, v0
	v_addc_co_u32_e32 v1, vcc, 0, v1, vcc
	global_store_dwordx2 v0, v[7:8], s[0:1]
	global_store_dwordx2 v0, v[9:10], s[0:1] offset:2560
	v_add_co_u32_e32 v0, vcc, 0x1000, v2
	v_addc_co_u32_e32 v1, vcc, 0, v1, vcc
	global_store_dwordx2 v[0:1], v[3:4], off offset:1024
	global_store_dwordx2 v[0:1], v[5:6], off offset:3584
	s_endpgm
	.section	.rodata,"a",@progbits
	.p2align	6, 0x0
	.amdhsa_kernel _Z16sort_keys_kernelI22helper_blocked_stripedN15benchmark_utils11custom_typeIiiEELj320ELj4ELj10EEvPKT0_PS4_
		.amdhsa_group_segment_fixed_size 10560
		.amdhsa_private_segment_fixed_size 0
		.amdhsa_kernarg_size 272
		.amdhsa_user_sgpr_count 6
		.amdhsa_user_sgpr_private_segment_buffer 1
		.amdhsa_user_sgpr_dispatch_ptr 0
		.amdhsa_user_sgpr_queue_ptr 0
		.amdhsa_user_sgpr_kernarg_segment_ptr 1
		.amdhsa_user_sgpr_dispatch_id 0
		.amdhsa_user_sgpr_flat_scratch_init 0
		.amdhsa_user_sgpr_private_segment_size 0
		.amdhsa_uses_dynamic_stack 0
		.amdhsa_system_sgpr_private_segment_wavefront_offset 0
		.amdhsa_system_sgpr_workgroup_id_x 1
		.amdhsa_system_sgpr_workgroup_id_y 0
		.amdhsa_system_sgpr_workgroup_id_z 0
		.amdhsa_system_sgpr_workgroup_info 0
		.amdhsa_system_vgpr_workitem_id 2
		.amdhsa_next_free_vgpr 42
		.amdhsa_next_free_sgpr 61
		.amdhsa_reserve_vcc 1
		.amdhsa_reserve_flat_scratch 0
		.amdhsa_float_round_mode_32 0
		.amdhsa_float_round_mode_16_64 0
		.amdhsa_float_denorm_mode_32 3
		.amdhsa_float_denorm_mode_16_64 3
		.amdhsa_dx10_clamp 1
		.amdhsa_ieee_mode 1
		.amdhsa_fp16_overflow 0
		.amdhsa_exception_fp_ieee_invalid_op 0
		.amdhsa_exception_fp_denorm_src 0
		.amdhsa_exception_fp_ieee_div_zero 0
		.amdhsa_exception_fp_ieee_overflow 0
		.amdhsa_exception_fp_ieee_underflow 0
		.amdhsa_exception_fp_ieee_inexact 0
		.amdhsa_exception_int_div_zero 0
	.end_amdhsa_kernel
	.section	.text._Z16sort_keys_kernelI22helper_blocked_stripedN15benchmark_utils11custom_typeIiiEELj320ELj4ELj10EEvPKT0_PS4_,"axG",@progbits,_Z16sort_keys_kernelI22helper_blocked_stripedN15benchmark_utils11custom_typeIiiEELj320ELj4ELj10EEvPKT0_PS4_,comdat
.Lfunc_end372:
	.size	_Z16sort_keys_kernelI22helper_blocked_stripedN15benchmark_utils11custom_typeIiiEELj320ELj4ELj10EEvPKT0_PS4_, .Lfunc_end372-_Z16sort_keys_kernelI22helper_blocked_stripedN15benchmark_utils11custom_typeIiiEELj320ELj4ELj10EEvPKT0_PS4_
                                        ; -- End function
	.set _Z16sort_keys_kernelI22helper_blocked_stripedN15benchmark_utils11custom_typeIiiEELj320ELj4ELj10EEvPKT0_PS4_.num_vgpr, 42
	.set _Z16sort_keys_kernelI22helper_blocked_stripedN15benchmark_utils11custom_typeIiiEELj320ELj4ELj10EEvPKT0_PS4_.num_agpr, 0
	.set _Z16sort_keys_kernelI22helper_blocked_stripedN15benchmark_utils11custom_typeIiiEELj320ELj4ELj10EEvPKT0_PS4_.numbered_sgpr, 55
	.set _Z16sort_keys_kernelI22helper_blocked_stripedN15benchmark_utils11custom_typeIiiEELj320ELj4ELj10EEvPKT0_PS4_.num_named_barrier, 0
	.set _Z16sort_keys_kernelI22helper_blocked_stripedN15benchmark_utils11custom_typeIiiEELj320ELj4ELj10EEvPKT0_PS4_.private_seg_size, 0
	.set _Z16sort_keys_kernelI22helper_blocked_stripedN15benchmark_utils11custom_typeIiiEELj320ELj4ELj10EEvPKT0_PS4_.uses_vcc, 1
	.set _Z16sort_keys_kernelI22helper_blocked_stripedN15benchmark_utils11custom_typeIiiEELj320ELj4ELj10EEvPKT0_PS4_.uses_flat_scratch, 0
	.set _Z16sort_keys_kernelI22helper_blocked_stripedN15benchmark_utils11custom_typeIiiEELj320ELj4ELj10EEvPKT0_PS4_.has_dyn_sized_stack, 0
	.set _Z16sort_keys_kernelI22helper_blocked_stripedN15benchmark_utils11custom_typeIiiEELj320ELj4ELj10EEvPKT0_PS4_.has_recursion, 0
	.set _Z16sort_keys_kernelI22helper_blocked_stripedN15benchmark_utils11custom_typeIiiEELj320ELj4ELj10EEvPKT0_PS4_.has_indirect_call, 0
	.section	.AMDGPU.csdata,"",@progbits
; Kernel info:
; codeLenInByte = 3960
; TotalNumSgprs: 59
; NumVgprs: 42
; ScratchSize: 0
; MemoryBound: 0
; FloatMode: 240
; IeeeMode: 1
; LDSByteSize: 10560 bytes/workgroup (compile time only)
; SGPRBlocks: 8
; VGPRBlocks: 10
; NumSGPRsForWavesPerEU: 65
; NumVGPRsForWavesPerEU: 42
; Occupancy: 5
; WaveLimiterHint : 1
; COMPUTE_PGM_RSRC2:SCRATCH_EN: 0
; COMPUTE_PGM_RSRC2:USER_SGPR: 6
; COMPUTE_PGM_RSRC2:TRAP_HANDLER: 0
; COMPUTE_PGM_RSRC2:TGID_X_EN: 1
; COMPUTE_PGM_RSRC2:TGID_Y_EN: 0
; COMPUTE_PGM_RSRC2:TGID_Z_EN: 0
; COMPUTE_PGM_RSRC2:TIDIG_COMP_CNT: 2
	.section	.text._Z17sort_pairs_kernelI22helper_blocked_stripedN15benchmark_utils11custom_typeIiiEELj320ELj4ELj10EEvPKT0_PS4_,"axG",@progbits,_Z17sort_pairs_kernelI22helper_blocked_stripedN15benchmark_utils11custom_typeIiiEELj320ELj4ELj10EEvPKT0_PS4_,comdat
	.protected	_Z17sort_pairs_kernelI22helper_blocked_stripedN15benchmark_utils11custom_typeIiiEELj320ELj4ELj10EEvPKT0_PS4_ ; -- Begin function _Z17sort_pairs_kernelI22helper_blocked_stripedN15benchmark_utils11custom_typeIiiEELj320ELj4ELj10EEvPKT0_PS4_
	.globl	_Z17sort_pairs_kernelI22helper_blocked_stripedN15benchmark_utils11custom_typeIiiEELj320ELj4ELj10EEvPKT0_PS4_
	.p2align	8
	.type	_Z17sort_pairs_kernelI22helper_blocked_stripedN15benchmark_utils11custom_typeIiiEELj320ELj4ELj10EEvPKT0_PS4_,@function
_Z17sort_pairs_kernelI22helper_blocked_stripedN15benchmark_utils11custom_typeIiiEELj320ELj4ELj10EEvPKT0_PS4_: ; @_Z17sort_pairs_kernelI22helper_blocked_stripedN15benchmark_utils11custom_typeIiiEELj320ELj4ELj10EEvPKT0_PS4_
; %bb.0:
	s_load_dwordx4 s[44:47], s[4:5], 0x0
	s_load_dword s33, s[4:5], 0x1c
	s_mul_i32 s50, s6, 0x500
	s_mov_b32 s51, 0
	s_lshl_b64 s[48:49], s[50:51], 3
	s_waitcnt lgkmcnt(0)
	s_add_u32 s0, s44, s48
	s_addc_u32 s1, s45, s49
	v_lshlrev_b32_e32 v3, 5, v0
	global_load_dwordx4 v[13:16], v3, s[0:1]
	global_load_dwordx4 v[9:12], v3, s[0:1] offset:16
	v_mbcnt_lo_u32_b32 v3, -1, 0
	s_lshr_b32 s38, s33, 16
	v_mbcnt_hi_u32_b32 v3, -1, v3
	s_and_b32 s33, s33, 0xffff
	v_mad_u32_u24 v1, v2, s38, v1
	s_movk_i32 s10, 0x700
	v_lshlrev_b32_e32 v34, 2, v0
	v_and_b32_e32 v4, 0x1c0, v0
	v_lshrrev_b32_e32 v5, 4, v0
	v_and_b32_e32 v8, 64, v3
	v_subrev_co_u32_e64 v19, s[8:9], 1, v3
	v_mad_u64_u32 v[1:2], s[38:39], v1, s33, v[0:1]
	v_lshrrev_b32_e32 v6, 2, v3
	v_and_b32_e32 v17, 15, v3
	v_and_b32_e32 v18, 16, v3
	v_min_u32_e32 v4, 0x100, v4
	v_and_b32_e32 v35, 28, v5
	v_and_b32_e32 v5, 7, v3
	v_and_or_b32 v20, v34, s10, v3
	v_cmp_lt_i32_e32 vcc, v19, v8
	v_and_b32_e32 v7, 3, v3
	v_cmp_lt_u32_e64 s[6:7], 31, v3
	v_or_b32_e32 v21, v6, v8
	v_add_u32_e32 v6, 48, v6
	v_cmp_eq_u32_e64 s[18:19], 0, v17
	v_cmp_lt_u32_e64 s[20:21], 1, v17
	v_cmp_lt_u32_e64 s[22:23], 3, v17
	;; [unrolled: 1-line block ×3, first 2 shown]
	v_cmp_eq_u32_e64 s[26:27], 0, v18
	v_or_b32_e32 v4, 63, v4
	v_cndmask_b32_e32 v3, v19, v3, vcc
	v_cmp_eq_u32_e64 s[28:29], 0, v5
	v_cmp_lt_u32_e64 s[30:31], 1, v5
	v_cmp_lt_u32_e64 s[34:35], 3, v5
	v_lshrrev_b32_e32 v5, 2, v20
	v_add_u32_e32 v17, 64, v20
	v_or_b32_e32 v18, 0x80, v20
	v_add_u32_e32 v19, 0xc0, v20
	v_cmp_eq_u32_e64 s[10:11], 0, v7
	v_cmp_eq_u32_e64 s[12:13], 1, v7
	;; [unrolled: 1-line block ×4, first 2 shown]
	v_lshlrev_b32_e32 v7, 3, v20
	v_and_or_b32 v6, v6, 63, v8
	v_cmp_eq_u32_e64 s[36:37], v0, v4
	v_lshlrev_b32_e32 v37, 2, v3
	v_and_b32_e32 v3, 0x1d8, v5
	v_lshrrev_b32_e32 v4, 2, v17
	v_lshrrev_b32_e32 v5, 2, v18
	;; [unrolled: 1-line block ×3, first 2 shown]
	v_lshlrev_b32_e32 v36, 2, v21
	v_add_u32_e32 v39, v3, v7
	v_and_b32_e32 v3, 0x1f8, v4
	v_and_b32_e32 v4, 0x1f8, v5
	;; [unrolled: 1-line block ×3, first 2 shown]
	v_lshrrev_b32_e32 v1, 4, v1
	v_lshlrev_b32_e32 v46, 4, v0
	v_cmp_gt_u32_e64 s[0:1], 5, v0
	v_cmp_lt_u32_e64 s[2:3], 63, v0
	v_cmp_eq_u32_e64 s[4:5], 0, v0
	v_lshlrev_b32_e32 v38, 2, v6
	v_add_u32_e32 v40, v3, v7
	v_add_u32_e32 v41, v4, v7
	;; [unrolled: 1-line block ×3, first 2 shown]
	v_and_b32_e32 v43, 0xffffffc, v1
	v_add_u32_e32 v44, 64, v36
	v_or_b32_e32 v45, 0x80, v36
	v_mad_i32_i24 v47, v0, -12, v46
	v_add_u32_e32 v48, -4, v35
	v_mov_b32_e32 v17, 0
	s_waitcnt vmcnt(1)
	v_add_u32_e32 v6, 1, v14
	v_add_u32_e32 v5, 1, v13
	v_add_u32_e32 v8, 1, v16
	v_add_u32_e32 v7, 1, v15
	s_waitcnt vmcnt(0)
	v_add_u32_e32 v2, 1, v10
	v_add_u32_e32 v1, 1, v9
	v_add_u32_e32 v4, 1, v12
	v_add_u32_e32 v3, 1, v11
	s_branch .LBB373_2
.LBB373_1:                              ;   in Loop: Header=BB373_2 Depth=1
	v_lshlrev_b32_e32 v22, 3, v52
	s_barrier
	ds_write_b64 v22, v[15:16]
	v_lshlrev_b32_e32 v15, 3, v51
	ds_write_b64 v15, v[13:14]
	v_lshlrev_b32_e32 v13, 3, v50
	v_lshlrev_b32_e32 v14, 3, v49
	v_add_u32_e32 v16, v47, v34
	ds_write_b64 v13, v[11:12]
	ds_write_b64 v14, v[9:10]
	s_waitcnt lgkmcnt(0)
	s_barrier
	ds_read2st64_b64 v[9:12], v16 offset1:5
	ds_read2st64_b64 v[18:21], v16 offset0:10 offset1:15
	s_waitcnt lgkmcnt(0)
	s_barrier
	ds_write_b64 v22, v[7:8]
	ds_write_b64 v15, v[5:6]
	;; [unrolled: 1-line block ×4, first 2 shown]
	s_waitcnt lgkmcnt(0)
	s_barrier
	ds_read2st64_b64 v[5:8], v16 offset1:5
	ds_read2st64_b64 v[1:4], v16 offset0:10 offset1:15
	s_add_i32 s51, s51, 1
	v_xor_b32_e32 v13, 0x80000000, v9
	v_xor_b32_e32 v14, 0x80000000, v10
	v_xor_b32_e32 v15, 0x80000000, v11
	v_xor_b32_e32 v16, 0x80000000, v12
	v_xor_b32_e32 v9, 0x80000000, v18
	v_xor_b32_e32 v10, 0x80000000, v19
	v_xor_b32_e32 v11, 0x80000000, v20
	s_cmp_lg_u32 s51, 10
	v_xor_b32_e32 v12, 0x80000000, v21
	s_cbranch_scc0 .LBB373_20
.LBB373_2:                              ; =>This Loop Header: Depth=1
                                        ;     Child Loop BB373_4 Depth 2
	v_xor_b32_e32 v13, 0x80000000, v13
	v_xor_b32_e32 v14, 0x80000000, v14
	;; [unrolled: 1-line block ×4, first 2 shown]
	ds_bpermute_b32 v18, v36, v14
	ds_bpermute_b32 v19, v36, v13
	;; [unrolled: 1-line block ×4, first 2 shown]
	v_xor_b32_e32 v9, 0x80000000, v9
	v_xor_b32_e32 v10, 0x80000000, v10
	s_waitcnt lgkmcnt(3)
	v_cndmask_b32_e64 v18, 0, v18, s[10:11]
	s_waitcnt lgkmcnt(2)
	v_cndmask_b32_e64 v19, 0, v19, s[10:11]
	v_xor_b32_e32 v11, 0x80000000, v11
	v_xor_b32_e32 v12, 0x80000000, v12
	s_waitcnt lgkmcnt(1)
	v_cndmask_b32_e64 v18, v18, v20, s[12:13]
	ds_bpermute_b32 v20, v36, v10
	s_waitcnt lgkmcnt(1)
	v_cndmask_b32_e64 v19, v19, v21, s[12:13]
	ds_bpermute_b32 v21, v36, v9
	ds_bpermute_b32 v22, v36, v12
	;; [unrolled: 1-line block ×3, first 2 shown]
	s_waitcnt lgkmcnt(3)
	v_cndmask_b32_e64 v18, v18, v20, s[14:15]
	ds_bpermute_b32 v20, v44, v14
	s_waitcnt lgkmcnt(3)
	v_cndmask_b32_e64 v21, v19, v21, s[14:15]
	s_waitcnt lgkmcnt(2)
	v_cndmask_b32_e64 v19, v18, v22, s[16:17]
	;; [unrolled: 2-line block ×3, first 2 shown]
	ds_bpermute_b32 v21, v44, v13
	ds_bpermute_b32 v22, v44, v16
	ds_bpermute_b32 v23, v44, v15
	ds_bpermute_b32 v24, v44, v10
	ds_bpermute_b32 v25, v44, v9
	s_waitcnt lgkmcnt(5)
	v_cndmask_b32_e64 v20, 0, v20, s[10:11]
	s_waitcnt lgkmcnt(4)
	v_cndmask_b32_e64 v21, 0, v21, s[10:11]
	;; [unrolled: 2-line block ×4, first 2 shown]
	ds_bpermute_b32 v22, v44, v12
	s_waitcnt lgkmcnt(2)
	v_cndmask_b32_e64 v20, v20, v24, s[14:15]
	s_waitcnt lgkmcnt(1)
	v_cndmask_b32_e64 v23, v21, v25, s[14:15]
	ds_bpermute_b32 v24, v44, v11
	ds_bpermute_b32 v25, v45, v14
	;; [unrolled: 1-line block ×3, first 2 shown]
	s_waitcnt lgkmcnt(3)
	v_cndmask_b32_e64 v21, v20, v22, s[16:17]
	ds_bpermute_b32 v22, v45, v16
	s_waitcnt lgkmcnt(3)
	v_cndmask_b32_e64 v20, v23, v24, s[16:17]
	s_waitcnt lgkmcnt(2)
	v_cndmask_b32_e64 v23, 0, v25, s[10:11]
	ds_bpermute_b32 v25, v45, v15
	ds_bpermute_b32 v14, v38, v14
	;; [unrolled: 1-line block ×5, first 2 shown]
	s_waitcnt lgkmcnt(6)
	v_cndmask_b32_e64 v24, 0, v26, s[10:11]
	s_waitcnt lgkmcnt(5)
	v_cndmask_b32_e64 v22, v23, v22, s[12:13]
	ds_bpermute_b32 v23, v45, v10
	ds_bpermute_b32 v26, v45, v9
	;; [unrolled: 1-line block ×5, first 2 shown]
	s_waitcnt lgkmcnt(9)
	v_cndmask_b32_e64 v24, v24, v25, s[12:13]
	ds_bpermute_b32 v25, v45, v11
	ds_bpermute_b32 v12, v38, v12
	s_waitcnt lgkmcnt(10)
	v_cndmask_b32_e64 v14, 0, v14, s[10:11]
	s_waitcnt lgkmcnt(9)
	v_cndmask_b32_e64 v13, 0, v13, s[10:11]
	;; [unrolled: 2-line block ×7, first 2 shown]
	ds_bpermute_b32 v11, v38, v11
	ds_bpermute_b32 v14, v36, v6
	s_waitcnt lgkmcnt(5)
	v_cndmask_b32_e64 v9, v13, v9, s[14:15]
	ds_bpermute_b32 v13, v36, v5
	s_waitcnt lgkmcnt(5)
	v_cndmask_b32_e64 v23, v22, v27, s[16:17]
	s_waitcnt lgkmcnt(4)
	v_cndmask_b32_e64 v22, v24, v25, s[16:17]
	s_waitcnt lgkmcnt(3)
	v_cndmask_b32_e64 v25, v10, v12, s[16:17]
	ds_bpermute_b32 v10, v36, v8
	ds_bpermute_b32 v12, v36, v7
	s_waitcnt lgkmcnt(4)
	v_cndmask_b32_e64 v24, v9, v11, s[16:17]
	s_waitcnt lgkmcnt(3)
	v_cndmask_b32_e64 v9, 0, v14, s[10:11]
	;; [unrolled: 2-line block ×3, first 2 shown]
	ds_bpermute_b32 v13, v36, v2
	ds_bpermute_b32 v14, v36, v1
	s_waitcnt lgkmcnt(3)
	v_cndmask_b32_e64 v9, v9, v10, s[12:13]
	ds_bpermute_b32 v10, v36, v4
	s_waitcnt lgkmcnt(3)
	v_cndmask_b32_e64 v11, v11, v12, s[12:13]
	;; [unrolled: 3-line block ×3, first 2 shown]
	s_waitcnt lgkmcnt(2)
	v_cndmask_b32_e64 v11, v11, v14, s[14:15]
	s_waitcnt lgkmcnt(1)
	v_cndmask_b32_e64 v27, v9, v10, s[16:17]
	ds_bpermute_b32 v9, v44, v6
	ds_bpermute_b32 v10, v44, v5
	ds_bpermute_b32 v13, v44, v8
	s_waitcnt lgkmcnt(3)
	v_cndmask_b32_e64 v26, v11, v12, s[16:17]
	ds_bpermute_b32 v11, v44, v7
	ds_bpermute_b32 v12, v44, v2
	s_waitcnt lgkmcnt(4)
	v_cndmask_b32_e64 v9, 0, v9, s[10:11]
	s_waitcnt lgkmcnt(3)
	v_cndmask_b32_e64 v10, 0, v10, s[10:11]
	;; [unrolled: 2-line block ×4, first 2 shown]
	ds_bpermute_b32 v11, v44, v1
	ds_bpermute_b32 v13, v44, v4
	;; [unrolled: 1-line block ×3, first 2 shown]
	s_waitcnt lgkmcnt(3)
	v_cndmask_b32_e64 v9, v9, v12, s[14:15]
	ds_bpermute_b32 v12, v45, v6
	s_waitcnt lgkmcnt(3)
	v_cndmask_b32_e64 v10, v10, v11, s[14:15]
	s_waitcnt lgkmcnt(2)
	v_cndmask_b32_e64 v29, v9, v13, s[16:17]
	ds_bpermute_b32 v9, v45, v5
	s_waitcnt lgkmcnt(2)
	v_cndmask_b32_e64 v28, v10, v14, s[16:17]
	s_waitcnt lgkmcnt(1)
	v_cndmask_b32_e64 v10, 0, v12, s[10:11]
	ds_bpermute_b32 v11, v45, v8
	ds_bpermute_b32 v12, v45, v7
	;; [unrolled: 1-line block ×7, first 2 shown]
	s_waitcnt lgkmcnt(7)
	v_cndmask_b32_e64 v9, 0, v9, s[10:11]
	ds_bpermute_b32 v14, v45, v1
	ds_bpermute_b32 v2, v38, v2
	;; [unrolled: 1-line block ×3, first 2 shown]
	s_waitcnt lgkmcnt(9)
	v_cndmask_b32_e64 v10, v10, v11, s[12:13]
	s_waitcnt lgkmcnt(8)
	v_cndmask_b32_e64 v9, v9, v12, s[12:13]
	ds_bpermute_b32 v11, v45, v4
	ds_bpermute_b32 v12, v45, v3
	;; [unrolled: 1-line block ×4, first 2 shown]
	s_waitcnt lgkmcnt(11)
	v_cndmask_b32_e64 v6, 0, v6, s[10:11]
	s_waitcnt lgkmcnt(10)
	v_cndmask_b32_e64 v5, 0, v5, s[10:11]
	;; [unrolled: 2-line block ×12, first 2 shown]
	s_mov_b32 s33, 8
	s_mov_b32 s44, 32
	;; [unrolled: 1-line block ×3, first 2 shown]
	s_barrier
	s_branch .LBB373_4
.LBB373_3:                              ;   in Loop: Header=BB373_4 Depth=2
	s_andn2_b64 vcc, exec, s[38:39]
	s_cbranch_vccz .LBB373_1
.LBB373_4:                              ;   Parent Loop BB373_2 Depth=1
                                        ; =>  This Inner Loop Header: Depth=2
	s_min_i32 s40, s33, 32
	s_cmp_lt_u32 s45, 32
	s_cselect_b64 s[38:39], -1, 0
	s_cmp_gt_u32 s45, 31
	s_cselect_b64 vcc, -1, 0
	s_sub_i32 s40, s40, 32
	s_add_i32 s41, s40, s44
	s_lshl_b32 s41, -1, s41
	s_not_b32 s41, s41
	s_cmp_lg_u32 s40, s45
	s_cselect_b32 s52, s41, -1
	s_max_i32 s50, s44, 0
	s_max_i32 s40, s45, 32
	s_sub_i32 s53, s40, 32
	s_sub_i32 s40, s40, s50
	;; [unrolled: 1-line block ×3, first 2 shown]
	s_min_i32 s40, s40, 32
	s_sub_i32 s40, s40, s53
	s_lshl_b32 s41, -1, s40
	s_not_b32 s41, s41
	v_mov_b32_e32 v15, v18
	s_cmp_lg_u32 s40, 32
	v_mov_b32_e32 v16, v19
	s_cselect_b32 s54, s41, -1
	v_lshrrev_b32_e32 v19, s53, v15
	v_lshrrev_b32_e32 v18, s45, v16
	v_and_b32_e32 v19, s54, v19
	v_and_b32_e32 v18, s52, v18
	v_lshlrev_b32_e32 v19, s50, v19
	v_cndmask_b32_e64 v18, 0, v18, s[38:39]
	v_cndmask_b32_e32 v19, 0, v19, vcc
	v_or_b32_e32 v19, v18, v19
	v_mov_b32_e32 v13, v20
	v_and_b32_e32 v18, 1, v19
	v_mov_b32_e32 v14, v21
	v_mov_b32_e32 v11, v22
	v_add_co_u32_e64 v21, s[40:41], -1, v18
	v_mov_b32_e32 v12, v23
	v_addc_co_u32_e64 v22, s[40:41], 0, -1, s[40:41]
	v_cmp_ne_u32_e64 s[40:41], 0, v18
	v_xor_b32_e32 v18, s41, v22
	v_and_b32_e32 v22, exec_hi, v18
	v_lshlrev_b32_e32 v18, 30, v19
	v_xor_b32_e32 v21, s40, v21
	v_cmp_gt_i64_e64 s[40:41], 0, v[17:18]
	v_not_b32_e32 v18, v18
	v_ashrrev_i32_e32 v18, 31, v18
	v_and_b32_e32 v21, exec_lo, v21
	v_xor_b32_e32 v23, s41, v18
	v_xor_b32_e32 v18, s40, v18
	v_and_b32_e32 v21, v21, v18
	v_lshlrev_b32_e32 v18, 29, v19
	v_cmp_gt_i64_e64 s[40:41], 0, v[17:18]
	v_not_b32_e32 v18, v18
	v_ashrrev_i32_e32 v18, 31, v18
	v_and_b32_e32 v22, v22, v23
	v_xor_b32_e32 v23, s41, v18
	v_xor_b32_e32 v18, s40, v18
	v_and_b32_e32 v21, v21, v18
	v_lshlrev_b32_e32 v18, 28, v19
	v_cmp_gt_i64_e64 s[40:41], 0, v[17:18]
	v_not_b32_e32 v18, v18
	v_ashrrev_i32_e32 v18, 31, v18
	v_and_b32_e32 v22, v22, v23
	;; [unrolled: 8-line block ×5, first 2 shown]
	v_xor_b32_e32 v23, s41, v18
	v_xor_b32_e32 v18, s40, v18
	v_and_b32_e32 v21, v21, v18
	v_lshlrev_b32_e32 v18, 24, v19
	v_cmp_gt_i64_e64 s[40:41], 0, v[17:18]
	v_not_b32_e32 v18, v18
	v_ashrrev_i32_e32 v18, 31, v18
	v_mul_lo_u32 v20, v19, 20
	v_xor_b32_e32 v19, s41, v18
	v_xor_b32_e32 v18, s40, v18
	v_and_b32_e32 v22, v22, v23
	v_and_b32_e32 v18, v21, v18
	;; [unrolled: 1-line block ×3, first 2 shown]
	v_mbcnt_lo_u32_b32 v21, v18, 0
	v_mbcnt_hi_u32_b32 v22, v19, v21
	v_cmp_ne_u64_e64 s[40:41], 0, v[18:19]
	v_mov_b32_e32 v7, v26
	v_mov_b32_e32 v5, v28
	;; [unrolled: 1-line block ×5, first 2 shown]
	v_cmp_eq_u32_e64 s[42:43], 0, v22
	v_mov_b32_e32 v8, v27
	v_mov_b32_e32 v6, v29
	;; [unrolled: 1-line block ×5, first 2 shown]
	s_and_b64 s[42:43], s[42:43], s[40:41]
	v_add_u32_e32 v23, v43, v20
	ds_write2_b32 v46, v17, v17 offset0:5 offset1:6
	ds_write2_b32 v46, v17, v17 offset0:7 offset1:8
	s_waitcnt lgkmcnt(0)
	s_barrier
	; wave barrier
	s_and_saveexec_b64 s[40:41], s[42:43]
; %bb.5:                                ;   in Loop: Header=BB373_4 Depth=2
	v_bcnt_u32_b32 v18, v18, 0
	v_bcnt_u32_b32 v18, v19, v18
	ds_write_b32 v23, v18 offset:20
; %bb.6:                                ;   in Loop: Header=BB373_4 Depth=2
	s_or_b64 exec, exec, s[40:41]
	v_lshrrev_b32_e32 v19, s53, v13
	v_lshrrev_b32_e32 v18, s45, v14
	v_and_b32_e32 v19, s54, v19
	v_and_b32_e32 v18, s52, v18
	v_lshlrev_b32_e32 v19, s50, v19
	v_cndmask_b32_e64 v18, 0, v18, s[38:39]
	v_cndmask_b32_e32 v19, 0, v19, vcc
	v_or_b32_e32 v19, v18, v19
	v_mul_lo_u32 v18, v19, 20
	; wave barrier
	v_add_u32_e32 v25, v43, v18
	v_and_b32_e32 v18, 1, v19
	v_add_co_u32_e64 v20, s[40:41], -1, v18
	v_addc_co_u32_e64 v21, s[40:41], 0, -1, s[40:41]
	v_cmp_ne_u32_e64 s[40:41], 0, v18
	v_xor_b32_e32 v18, s41, v21
	v_and_b32_e32 v21, exec_hi, v18
	v_lshlrev_b32_e32 v18, 30, v19
	v_xor_b32_e32 v20, s40, v20
	v_cmp_gt_i64_e64 s[40:41], 0, v[17:18]
	v_not_b32_e32 v18, v18
	v_ashrrev_i32_e32 v18, 31, v18
	v_and_b32_e32 v20, exec_lo, v20
	v_xor_b32_e32 v26, s41, v18
	v_xor_b32_e32 v18, s40, v18
	v_and_b32_e32 v20, v20, v18
	v_lshlrev_b32_e32 v18, 29, v19
	v_cmp_gt_i64_e64 s[40:41], 0, v[17:18]
	v_not_b32_e32 v18, v18
	v_ashrrev_i32_e32 v18, 31, v18
	v_and_b32_e32 v21, v21, v26
	v_xor_b32_e32 v26, s41, v18
	v_xor_b32_e32 v18, s40, v18
	v_and_b32_e32 v20, v20, v18
	v_lshlrev_b32_e32 v18, 28, v19
	v_cmp_gt_i64_e64 s[40:41], 0, v[17:18]
	v_not_b32_e32 v18, v18
	v_ashrrev_i32_e32 v18, 31, v18
	v_and_b32_e32 v21, v21, v26
	;; [unrolled: 8-line block ×5, first 2 shown]
	v_xor_b32_e32 v26, s41, v18
	v_xor_b32_e32 v18, s40, v18
	v_and_b32_e32 v20, v20, v18
	v_lshlrev_b32_e32 v18, 24, v19
	v_cmp_gt_i64_e64 s[40:41], 0, v[17:18]
	v_not_b32_e32 v18, v18
	v_ashrrev_i32_e32 v18, 31, v18
	v_xor_b32_e32 v19, s41, v18
	v_xor_b32_e32 v18, s40, v18
	ds_read_b32 v24, v25 offset:20
	v_and_b32_e32 v21, v21, v26
	v_and_b32_e32 v18, v20, v18
	;; [unrolled: 1-line block ×3, first 2 shown]
	v_mbcnt_lo_u32_b32 v20, v18, 0
	v_mbcnt_hi_u32_b32 v26, v19, v20
	v_cmp_ne_u64_e64 s[40:41], 0, v[18:19]
	v_cmp_eq_u32_e64 s[42:43], 0, v26
	s_and_b64 s[42:43], s[42:43], s[40:41]
	; wave barrier
	s_and_saveexec_b64 s[40:41], s[42:43]
	s_cbranch_execz .LBB373_8
; %bb.7:                                ;   in Loop: Header=BB373_4 Depth=2
	v_bcnt_u32_b32 v18, v18, 0
	v_bcnt_u32_b32 v18, v19, v18
	s_waitcnt lgkmcnt(0)
	v_add_u32_e32 v18, v24, v18
	ds_write_b32 v25, v18 offset:20
.LBB373_8:                              ;   in Loop: Header=BB373_4 Depth=2
	s_or_b64 exec, exec, s[40:41]
	v_lshrrev_b32_e32 v19, s53, v11
	v_lshrrev_b32_e32 v18, s45, v12
	v_and_b32_e32 v19, s54, v19
	v_and_b32_e32 v18, s52, v18
	v_lshlrev_b32_e32 v19, s50, v19
	v_cndmask_b32_e64 v18, 0, v18, s[38:39]
	v_cndmask_b32_e32 v19, 0, v19, vcc
	v_or_b32_e32 v19, v18, v19
	v_mul_lo_u32 v18, v19, 20
	; wave barrier
	v_add_u32_e32 v28, v43, v18
	v_and_b32_e32 v18, 1, v19
	v_add_co_u32_e64 v20, s[40:41], -1, v18
	v_addc_co_u32_e64 v21, s[40:41], 0, -1, s[40:41]
	v_cmp_ne_u32_e64 s[40:41], 0, v18
	v_xor_b32_e32 v18, s41, v21
	v_and_b32_e32 v21, exec_hi, v18
	v_lshlrev_b32_e32 v18, 30, v19
	v_xor_b32_e32 v20, s40, v20
	v_cmp_gt_i64_e64 s[40:41], 0, v[17:18]
	v_not_b32_e32 v18, v18
	v_ashrrev_i32_e32 v18, 31, v18
	v_and_b32_e32 v20, exec_lo, v20
	v_xor_b32_e32 v29, s41, v18
	v_xor_b32_e32 v18, s40, v18
	v_and_b32_e32 v20, v20, v18
	v_lshlrev_b32_e32 v18, 29, v19
	v_cmp_gt_i64_e64 s[40:41], 0, v[17:18]
	v_not_b32_e32 v18, v18
	v_ashrrev_i32_e32 v18, 31, v18
	v_and_b32_e32 v21, v21, v29
	v_xor_b32_e32 v29, s41, v18
	v_xor_b32_e32 v18, s40, v18
	v_and_b32_e32 v20, v20, v18
	v_lshlrev_b32_e32 v18, 28, v19
	v_cmp_gt_i64_e64 s[40:41], 0, v[17:18]
	v_not_b32_e32 v18, v18
	v_ashrrev_i32_e32 v18, 31, v18
	v_and_b32_e32 v21, v21, v29
	;; [unrolled: 8-line block ×5, first 2 shown]
	v_xor_b32_e32 v29, s41, v18
	v_xor_b32_e32 v18, s40, v18
	v_and_b32_e32 v20, v20, v18
	v_lshlrev_b32_e32 v18, 24, v19
	v_cmp_gt_i64_e64 s[40:41], 0, v[17:18]
	v_not_b32_e32 v18, v18
	v_ashrrev_i32_e32 v18, 31, v18
	v_xor_b32_e32 v19, s41, v18
	v_xor_b32_e32 v18, s40, v18
	ds_read_b32 v27, v28 offset:20
	v_and_b32_e32 v21, v21, v29
	v_and_b32_e32 v18, v20, v18
	;; [unrolled: 1-line block ×3, first 2 shown]
	v_mbcnt_lo_u32_b32 v20, v18, 0
	v_mbcnt_hi_u32_b32 v29, v19, v20
	v_cmp_ne_u64_e64 s[40:41], 0, v[18:19]
	v_cmp_eq_u32_e64 s[42:43], 0, v29
	s_and_b64 s[42:43], s[42:43], s[40:41]
	; wave barrier
	s_and_saveexec_b64 s[40:41], s[42:43]
	s_cbranch_execz .LBB373_10
; %bb.9:                                ;   in Loop: Header=BB373_4 Depth=2
	v_bcnt_u32_b32 v18, v18, 0
	v_bcnt_u32_b32 v18, v19, v18
	s_waitcnt lgkmcnt(0)
	v_add_u32_e32 v18, v27, v18
	ds_write_b32 v28, v18 offset:20
.LBB373_10:                             ;   in Loop: Header=BB373_4 Depth=2
	s_or_b64 exec, exec, s[40:41]
	v_lshrrev_b32_e32 v19, s53, v9
	v_lshrrev_b32_e32 v18, s45, v10
	v_and_b32_e32 v19, s54, v19
	v_and_b32_e32 v18, s52, v18
	v_lshlrev_b32_e32 v19, s50, v19
	v_cndmask_b32_e64 v18, 0, v18, s[38:39]
	v_cndmask_b32_e32 v19, 0, v19, vcc
	v_or_b32_e32 v19, v18, v19
	v_mul_lo_u32 v18, v19, 20
	; wave barrier
	v_add_u32_e32 v31, v43, v18
	v_and_b32_e32 v18, 1, v19
	v_add_co_u32_e32 v20, vcc, -1, v18
	v_addc_co_u32_e64 v21, s[38:39], 0, -1, vcc
	v_cmp_ne_u32_e32 vcc, 0, v18
	v_xor_b32_e32 v18, vcc_hi, v21
	v_and_b32_e32 v21, exec_hi, v18
	v_lshlrev_b32_e32 v18, 30, v19
	v_xor_b32_e32 v20, vcc_lo, v20
	v_cmp_gt_i64_e32 vcc, 0, v[17:18]
	v_not_b32_e32 v18, v18
	v_ashrrev_i32_e32 v18, 31, v18
	v_and_b32_e32 v20, exec_lo, v20
	v_xor_b32_e32 v32, vcc_hi, v18
	v_xor_b32_e32 v18, vcc_lo, v18
	v_and_b32_e32 v20, v20, v18
	v_lshlrev_b32_e32 v18, 29, v19
	v_cmp_gt_i64_e32 vcc, 0, v[17:18]
	v_not_b32_e32 v18, v18
	v_ashrrev_i32_e32 v18, 31, v18
	v_and_b32_e32 v21, v21, v32
	v_xor_b32_e32 v32, vcc_hi, v18
	v_xor_b32_e32 v18, vcc_lo, v18
	v_and_b32_e32 v20, v20, v18
	v_lshlrev_b32_e32 v18, 28, v19
	v_cmp_gt_i64_e32 vcc, 0, v[17:18]
	v_not_b32_e32 v18, v18
	v_ashrrev_i32_e32 v18, 31, v18
	v_and_b32_e32 v21, v21, v32
	;; [unrolled: 8-line block ×5, first 2 shown]
	v_xor_b32_e32 v32, vcc_hi, v18
	v_xor_b32_e32 v18, vcc_lo, v18
	v_and_b32_e32 v20, v20, v18
	v_lshlrev_b32_e32 v18, 24, v19
	v_cmp_gt_i64_e32 vcc, 0, v[17:18]
	v_not_b32_e32 v18, v18
	v_ashrrev_i32_e32 v18, 31, v18
	v_xor_b32_e32 v19, vcc_hi, v18
	v_xor_b32_e32 v18, vcc_lo, v18
	ds_read_b32 v30, v31 offset:20
	v_and_b32_e32 v21, v21, v32
	v_and_b32_e32 v18, v20, v18
	;; [unrolled: 1-line block ×3, first 2 shown]
	v_mbcnt_lo_u32_b32 v20, v18, 0
	v_mbcnt_hi_u32_b32 v32, v19, v20
	v_cmp_ne_u64_e32 vcc, 0, v[18:19]
	v_cmp_eq_u32_e64 s[38:39], 0, v32
	s_and_b64 s[40:41], s[38:39], vcc
	; wave barrier
	s_and_saveexec_b64 s[38:39], s[40:41]
	s_cbranch_execz .LBB373_12
; %bb.11:                               ;   in Loop: Header=BB373_4 Depth=2
	v_bcnt_u32_b32 v18, v18, 0
	v_bcnt_u32_b32 v18, v19, v18
	s_waitcnt lgkmcnt(0)
	v_add_u32_e32 v18, v30, v18
	ds_write_b32 v31, v18 offset:20
.LBB373_12:                             ;   in Loop: Header=BB373_4 Depth=2
	s_or_b64 exec, exec, s[38:39]
	; wave barrier
	s_waitcnt lgkmcnt(0)
	s_barrier
	ds_read2_b32 v[20:21], v46 offset0:5 offset1:6
	ds_read2_b32 v[18:19], v46 offset0:7 offset1:8
	s_waitcnt lgkmcnt(1)
	v_add_u32_e32 v33, v21, v20
	s_waitcnt lgkmcnt(0)
	v_add3_u32 v19, v33, v18, v19
	s_nop 1
	v_mov_b32_dpp v33, v19 row_shr:1 row_mask:0xf bank_mask:0xf
	v_cndmask_b32_e64 v33, v33, 0, s[18:19]
	v_add_u32_e32 v19, v33, v19
	s_nop 1
	v_mov_b32_dpp v33, v19 row_shr:2 row_mask:0xf bank_mask:0xf
	v_cndmask_b32_e64 v33, 0, v33, s[20:21]
	v_add_u32_e32 v19, v19, v33
	;; [unrolled: 4-line block ×4, first 2 shown]
	s_nop 1
	v_mov_b32_dpp v33, v19 row_bcast:15 row_mask:0xf bank_mask:0xf
	v_cndmask_b32_e64 v33, v33, 0, s[26:27]
	v_add_u32_e32 v19, v19, v33
	s_nop 1
	v_mov_b32_dpp v33, v19 row_bcast:31 row_mask:0xf bank_mask:0xf
	v_cndmask_b32_e64 v33, 0, v33, s[6:7]
	v_add_u32_e32 v19, v19, v33
	s_and_saveexec_b64 s[38:39], s[36:37]
; %bb.13:                               ;   in Loop: Header=BB373_4 Depth=2
	ds_write_b32 v35, v19
; %bb.14:                               ;   in Loop: Header=BB373_4 Depth=2
	s_or_b64 exec, exec, s[38:39]
	s_waitcnt lgkmcnt(0)
	s_barrier
	s_and_saveexec_b64 s[38:39], s[0:1]
	s_cbranch_execz .LBB373_16
; %bb.15:                               ;   in Loop: Header=BB373_4 Depth=2
	ds_read_b32 v33, v47
	s_waitcnt lgkmcnt(0)
	s_nop 0
	v_mov_b32_dpp v49, v33 row_shr:1 row_mask:0xf bank_mask:0xf
	v_cndmask_b32_e64 v49, v49, 0, s[28:29]
	v_add_u32_e32 v33, v49, v33
	s_nop 1
	v_mov_b32_dpp v49, v33 row_shr:2 row_mask:0xf bank_mask:0xf
	v_cndmask_b32_e64 v49, 0, v49, s[30:31]
	v_add_u32_e32 v33, v33, v49
	;; [unrolled: 4-line block ×3, first 2 shown]
	ds_write_b32 v47, v33
.LBB373_16:                             ;   in Loop: Header=BB373_4 Depth=2
	s_or_b64 exec, exec, s[38:39]
	v_mov_b32_e32 v33, 0
	s_waitcnt lgkmcnt(0)
	s_barrier
	s_and_saveexec_b64 s[38:39], s[2:3]
; %bb.17:                               ;   in Loop: Header=BB373_4 Depth=2
	ds_read_b32 v33, v48
; %bb.18:                               ;   in Loop: Header=BB373_4 Depth=2
	s_or_b64 exec, exec, s[38:39]
	s_waitcnt lgkmcnt(0)
	v_add_u32_e32 v19, v33, v19
	ds_bpermute_b32 v19, v37, v19
	s_cmp_gt_u32 s45, 55
	s_mov_b64 s[38:39], -1
	s_waitcnt lgkmcnt(0)
	v_cndmask_b32_e64 v19, v19, v33, s[8:9]
	v_cndmask_b32_e64 v19, v19, 0, s[4:5]
	v_add_u32_e32 v20, v19, v20
	v_add_u32_e32 v21, v20, v21
	;; [unrolled: 1-line block ×3, first 2 shown]
	ds_write2_b32 v46, v19, v20 offset0:5 offset1:6
	ds_write2_b32 v46, v21, v18 offset0:7 offset1:8
	s_waitcnt lgkmcnt(0)
	s_barrier
	ds_read_b32 v18, v23 offset:20
	ds_read_b32 v19, v25 offset:20
	;; [unrolled: 1-line block ×4, first 2 shown]
	s_waitcnt lgkmcnt(0)
	v_add_u32_e32 v52, v18, v22
	v_add3_u32 v51, v26, v24, v19
	v_add3_u32 v50, v29, v27, v20
	;; [unrolled: 1-line block ×3, first 2 shown]
                                        ; implicit-def: $vgpr26_vgpr27
                                        ; implicit-def: $vgpr28_vgpr29
                                        ; implicit-def: $vgpr30_vgpr31
                                        ; implicit-def: $vgpr32_vgpr33
                                        ; implicit-def: $vgpr18_vgpr19
                                        ; implicit-def: $vgpr20_vgpr21
                                        ; implicit-def: $vgpr22_vgpr23
                                        ; implicit-def: $vgpr24_vgpr25
	s_cbranch_scc1 .LBB373_3
; %bb.19:                               ;   in Loop: Header=BB373_4 Depth=2
	v_lshrrev_b32_e32 v18, 2, v52
	v_and_b32_e32 v18, 0x3ffffff8, v18
	v_lshl_add_u32 v26, v52, 3, v18
	v_lshrrev_b32_e32 v18, 2, v51
	v_and_b32_e32 v18, 0x3ffffff8, v18
	v_lshl_add_u32 v27, v51, 3, v18
	;; [unrolled: 3-line block ×4, first 2 shown]
	s_barrier
	ds_write_b64 v26, v[15:16]
	ds_write_b64 v27, v[13:14]
	;; [unrolled: 1-line block ×4, first 2 shown]
	s_waitcnt lgkmcnt(0)
	s_barrier
	ds_read_b64 v[18:19], v39
	ds_read_b64 v[20:21], v40 offset:512
	ds_read_b64 v[22:23], v41 offset:1024
	;; [unrolled: 1-line block ×3, first 2 shown]
	s_waitcnt lgkmcnt(0)
	s_barrier
	ds_write_b64 v26, v[7:8]
	ds_write_b64 v27, v[5:6]
	;; [unrolled: 1-line block ×4, first 2 shown]
	s_waitcnt lgkmcnt(0)
	s_barrier
	ds_read_b64 v[26:27], v39
	ds_read_b64 v[28:29], v40 offset:512
	ds_read_b64 v[30:31], v41 offset:1024
	ds_read_b64 v[32:33], v42 offset:1536
	s_add_i32 s44, s44, -8
	s_add_i32 s33, s33, 8
	s_add_i32 s45, s45, 8
	s_mov_b64 s[38:39], 0
	s_waitcnt lgkmcnt(0)
	s_barrier
	s_branch .LBB373_3
.LBB373_20:
	s_add_u32 s0, s46, s48
	s_addc_u32 s1, s47, s49
	v_lshlrev_b32_e32 v0, 3, v0
	s_waitcnt lgkmcnt(0)
	v_add_u32_e32 v1, v9, v1
	v_add_u32_e32 v2, v10, v2
	v_mov_b32_e32 v9, s1
	v_add_co_u32_e32 v10, vcc, s0, v0
	v_add_u32_e32 v5, v13, v5
	v_add_u32_e32 v6, v14, v6
	v_addc_co_u32_e32 v9, vcc, 0, v9, vcc
	v_add_u32_e32 v7, v15, v7
	v_add_u32_e32 v8, v16, v8
	global_store_dwordx2 v0, v[5:6], s[0:1]
	global_store_dwordx2 v0, v[7:8], s[0:1] offset:2560
	v_add_co_u32_e32 v5, vcc, 0x1000, v10
	v_addc_co_u32_e32 v6, vcc, 0, v9, vcc
	v_add_u32_e32 v3, v11, v3
	v_add_u32_e32 v4, v12, v4
	global_store_dwordx2 v[5:6], v[1:2], off offset:1024
	global_store_dwordx2 v[5:6], v[3:4], off offset:3584
	s_endpgm
	.section	.rodata,"a",@progbits
	.p2align	6, 0x0
	.amdhsa_kernel _Z17sort_pairs_kernelI22helper_blocked_stripedN15benchmark_utils11custom_typeIiiEELj320ELj4ELj10EEvPKT0_PS4_
		.amdhsa_group_segment_fixed_size 10560
		.amdhsa_private_segment_fixed_size 0
		.amdhsa_kernarg_size 272
		.amdhsa_user_sgpr_count 6
		.amdhsa_user_sgpr_private_segment_buffer 1
		.amdhsa_user_sgpr_dispatch_ptr 0
		.amdhsa_user_sgpr_queue_ptr 0
		.amdhsa_user_sgpr_kernarg_segment_ptr 1
		.amdhsa_user_sgpr_dispatch_id 0
		.amdhsa_user_sgpr_flat_scratch_init 0
		.amdhsa_user_sgpr_private_segment_size 0
		.amdhsa_uses_dynamic_stack 0
		.amdhsa_system_sgpr_private_segment_wavefront_offset 0
		.amdhsa_system_sgpr_workgroup_id_x 1
		.amdhsa_system_sgpr_workgroup_id_y 0
		.amdhsa_system_sgpr_workgroup_id_z 0
		.amdhsa_system_sgpr_workgroup_info 0
		.amdhsa_system_vgpr_workitem_id 2
		.amdhsa_next_free_vgpr 53
		.amdhsa_next_free_sgpr 61
		.amdhsa_reserve_vcc 1
		.amdhsa_reserve_flat_scratch 0
		.amdhsa_float_round_mode_32 0
		.amdhsa_float_round_mode_16_64 0
		.amdhsa_float_denorm_mode_32 3
		.amdhsa_float_denorm_mode_16_64 3
		.amdhsa_dx10_clamp 1
		.amdhsa_ieee_mode 1
		.amdhsa_fp16_overflow 0
		.amdhsa_exception_fp_ieee_invalid_op 0
		.amdhsa_exception_fp_denorm_src 0
		.amdhsa_exception_fp_ieee_div_zero 0
		.amdhsa_exception_fp_ieee_overflow 0
		.amdhsa_exception_fp_ieee_underflow 0
		.amdhsa_exception_fp_ieee_inexact 0
		.amdhsa_exception_int_div_zero 0
	.end_amdhsa_kernel
	.section	.text._Z17sort_pairs_kernelI22helper_blocked_stripedN15benchmark_utils11custom_typeIiiEELj320ELj4ELj10EEvPKT0_PS4_,"axG",@progbits,_Z17sort_pairs_kernelI22helper_blocked_stripedN15benchmark_utils11custom_typeIiiEELj320ELj4ELj10EEvPKT0_PS4_,comdat
.Lfunc_end373:
	.size	_Z17sort_pairs_kernelI22helper_blocked_stripedN15benchmark_utils11custom_typeIiiEELj320ELj4ELj10EEvPKT0_PS4_, .Lfunc_end373-_Z17sort_pairs_kernelI22helper_blocked_stripedN15benchmark_utils11custom_typeIiiEELj320ELj4ELj10EEvPKT0_PS4_
                                        ; -- End function
	.set _Z17sort_pairs_kernelI22helper_blocked_stripedN15benchmark_utils11custom_typeIiiEELj320ELj4ELj10EEvPKT0_PS4_.num_vgpr, 53
	.set _Z17sort_pairs_kernelI22helper_blocked_stripedN15benchmark_utils11custom_typeIiiEELj320ELj4ELj10EEvPKT0_PS4_.num_agpr, 0
	.set _Z17sort_pairs_kernelI22helper_blocked_stripedN15benchmark_utils11custom_typeIiiEELj320ELj4ELj10EEvPKT0_PS4_.numbered_sgpr, 55
	.set _Z17sort_pairs_kernelI22helper_blocked_stripedN15benchmark_utils11custom_typeIiiEELj320ELj4ELj10EEvPKT0_PS4_.num_named_barrier, 0
	.set _Z17sort_pairs_kernelI22helper_blocked_stripedN15benchmark_utils11custom_typeIiiEELj320ELj4ELj10EEvPKT0_PS4_.private_seg_size, 0
	.set _Z17sort_pairs_kernelI22helper_blocked_stripedN15benchmark_utils11custom_typeIiiEELj320ELj4ELj10EEvPKT0_PS4_.uses_vcc, 1
	.set _Z17sort_pairs_kernelI22helper_blocked_stripedN15benchmark_utils11custom_typeIiiEELj320ELj4ELj10EEvPKT0_PS4_.uses_flat_scratch, 0
	.set _Z17sort_pairs_kernelI22helper_blocked_stripedN15benchmark_utils11custom_typeIiiEELj320ELj4ELj10EEvPKT0_PS4_.has_dyn_sized_stack, 0
	.set _Z17sort_pairs_kernelI22helper_blocked_stripedN15benchmark_utils11custom_typeIiiEELj320ELj4ELj10EEvPKT0_PS4_.has_recursion, 0
	.set _Z17sort_pairs_kernelI22helper_blocked_stripedN15benchmark_utils11custom_typeIiiEELj320ELj4ELj10EEvPKT0_PS4_.has_indirect_call, 0
	.section	.AMDGPU.csdata,"",@progbits
; Kernel info:
; codeLenInByte = 4832
; TotalNumSgprs: 59
; NumVgprs: 53
; ScratchSize: 0
; MemoryBound: 0
; FloatMode: 240
; IeeeMode: 1
; LDSByteSize: 10560 bytes/workgroup (compile time only)
; SGPRBlocks: 8
; VGPRBlocks: 13
; NumSGPRsForWavesPerEU: 65
; NumVGPRsForWavesPerEU: 53
; Occupancy: 4
; WaveLimiterHint : 1
; COMPUTE_PGM_RSRC2:SCRATCH_EN: 0
; COMPUTE_PGM_RSRC2:USER_SGPR: 6
; COMPUTE_PGM_RSRC2:TRAP_HANDLER: 0
; COMPUTE_PGM_RSRC2:TGID_X_EN: 1
; COMPUTE_PGM_RSRC2:TGID_Y_EN: 0
; COMPUTE_PGM_RSRC2:TGID_Z_EN: 0
; COMPUTE_PGM_RSRC2:TIDIG_COMP_CNT: 2
	.section	.text._Z16sort_keys_kernelI22helper_blocked_stripedN15benchmark_utils11custom_typeIiiEELj320ELj8ELj10EEvPKT0_PS4_,"axG",@progbits,_Z16sort_keys_kernelI22helper_blocked_stripedN15benchmark_utils11custom_typeIiiEELj320ELj8ELj10EEvPKT0_PS4_,comdat
	.protected	_Z16sort_keys_kernelI22helper_blocked_stripedN15benchmark_utils11custom_typeIiiEELj320ELj8ELj10EEvPKT0_PS4_ ; -- Begin function _Z16sort_keys_kernelI22helper_blocked_stripedN15benchmark_utils11custom_typeIiiEELj320ELj8ELj10EEvPKT0_PS4_
	.globl	_Z16sort_keys_kernelI22helper_blocked_stripedN15benchmark_utils11custom_typeIiiEELj320ELj8ELj10EEvPKT0_PS4_
	.p2align	8
	.type	_Z16sort_keys_kernelI22helper_blocked_stripedN15benchmark_utils11custom_typeIiiEELj320ELj8ELj10EEvPKT0_PS4_,@function
_Z16sort_keys_kernelI22helper_blocked_stripedN15benchmark_utils11custom_typeIiiEELj320ELj8ELj10EEvPKT0_PS4_: ; @_Z16sort_keys_kernelI22helper_blocked_stripedN15benchmark_utils11custom_typeIiiEELj320ELj8ELj10EEvPKT0_PS4_
; %bb.0:
	s_load_dwordx4 s[36:39], s[4:5], 0x0
	s_load_dword s2, s[4:5], 0x1c
	s_mul_i32 s40, s6, 0xa00
	s_mov_b32 s41, 0
	s_lshl_b64 s[42:43], s[40:41], 3
	s_waitcnt lgkmcnt(0)
	s_add_u32 s0, s36, s42
	s_addc_u32 s1, s37, s43
	v_lshlrev_b32_e32 v19, 6, v0
	global_load_dwordx4 v[3:6], v19, s[0:1] offset:48
	global_load_dwordx4 v[7:10], v19, s[0:1] offset:32
	;; [unrolled: 1-line block ×3, first 2 shown]
	global_load_dwordx4 v[15:18], v19, s[0:1]
	global_load_dwordx2 v[15:16], v19, s[0:1]
                                        ; kill: killed $vgpr19
	v_mbcnt_lo_u32_b32 v19, -1, 0
	v_mbcnt_hi_u32_b32 v19, -1, v19
	v_and_b32_e32 v20, 0x1c0, v0
	v_add_u32_e32 v21, v19, v20
	v_lshlrev_b32_e32 v22, 1, v21
	v_lshlrev_b32_e32 v34, 3, v0
                                        ; kill: killed $sgpr0 killed $sgpr1
	v_and_b32_e32 v22, 0x7f8, v22
	s_movk_i32 s0, 0xe00
	v_lshl_add_u32 v35, v21, 6, v22
	v_and_or_b32 v21, v34, s0, v19
	v_lshrrev_b32_e32 v22, 2, v21
	v_and_b32_e32 v22, 0x398, v22
	v_lshlrev_b32_e32 v23, 3, v21
	v_add_u32_e32 v36, v22, v23
	v_add_u32_e32 v22, 64, v21
	v_lshrrev_b32_e32 v22, 2, v22
	v_and_b32_e32 v22, 0x3b8, v22
	v_add_u32_e32 v37, v22, v23
	v_or_b32_e32 v22, 0x80, v21
	v_lshrrev_b32_e32 v22, 2, v22
	v_and_b32_e32 v22, 0x3b8, v22
	v_add_u32_e32 v38, v22, v23
	v_add_u32_e32 v22, 0xc0, v21
	s_lshr_b32 s0, s2, 16
	v_lshrrev_b32_e32 v22, 2, v22
	s_and_b32 s1, s2, 0xffff
	v_mad_u32_u24 v1, v2, s0, v1
	v_and_b32_e32 v22, 0x3f8, v22
	v_mad_u64_u32 v[1:2], s[0:1], v1, s1, v[0:1]
	v_add_u32_e32 v39, v22, v23
	v_or_b32_e32 v22, 0x100, v21
	v_and_b32_e32 v2, 15, v19
	v_lshrrev_b32_e32 v22, 2, v22
	v_cmp_eq_u32_e64 s[0:1], 0, v2
	v_cmp_lt_u32_e64 s[2:3], 1, v2
	v_cmp_lt_u32_e64 s[4:5], 3, v2
	;; [unrolled: 1-line block ×3, first 2 shown]
	v_and_b32_e32 v2, 16, v19
	v_and_b32_e32 v22, 0x3d8, v22
	v_cmp_eq_u32_e64 s[8:9], 0, v2
	v_min_u32_e32 v2, 0x100, v20
	v_add_u32_e32 v40, v22, v23
	v_add_u32_e32 v22, 0x140, v21
	v_or_b32_e32 v2, 63, v2
	v_lshrrev_b32_e32 v22, 2, v22
	v_cmp_eq_u32_e64 s[12:13], v0, v2
	v_subrev_co_u32_e64 v2, s[18:19], 1, v19
	v_and_b32_e32 v20, 64, v19
	v_and_b32_e32 v22, 0x3f8, v22
	v_cmp_lt_i32_e32 vcc, v2, v20
	v_add_u32_e32 v41, v22, v23
	v_or_b32_e32 v22, 0x180, v21
	v_add_u32_e32 v21, 0x1c0, v21
	v_cndmask_b32_e32 v2, v2, v19, vcc
	v_lshrrev_b32_e32 v22, 2, v22
	v_lshrrev_b32_e32 v21, 2, v21
	v_lshlrev_b32_e32 v44, 4, v0
	v_lshlrev_b32_e32 v45, 2, v2
	v_lshrrev_b32_e32 v2, 4, v0
	v_lshrrev_b32_e32 v1, 4, v1
	v_and_b32_e32 v22, 0x3f8, v22
	v_and_b32_e32 v21, 0x7f8, v21
	;; [unrolled: 1-line block ×3, first 2 shown]
	v_mad_i32_i24 v47, v0, -12, v44
	v_and_b32_e32 v2, 7, v19
	v_and_b32_e32 v49, 0xffffffc, v1
	v_lshlrev_b32_e32 v1, 2, v0
	v_add_u32_e32 v42, v22, v23
	v_add_u32_e32 v43, v21, v23
	v_cmp_lt_u32_e64 s[10:11], 31, v19
	v_cmp_gt_u32_e64 s[14:15], 5, v0
	v_cmp_lt_u32_e64 s[16:17], 63, v0
	v_cmp_eq_u32_e64 s[20:21], 0, v0
	v_cmp_eq_u32_e64 s[22:23], 0, v2
	v_cmp_lt_u32_e64 s[24:25], 1, v2
	v_cmp_lt_u32_e64 s[26:27], 3, v2
	v_add_u32_e32 v48, -4, v46
	v_mov_b32_e32 v0, 0
	v_add_u32_e32 v50, v47, v1
	s_branch .LBB374_2
.LBB374_1:                              ;   in Loop: Header=BB374_2 Depth=1
	v_lshlrev_b32_e32 v18, 3, v62
	s_barrier
	ds_write_b64 v18, v[16:17]
	v_lshlrev_b32_e32 v16, 3, v61
	ds_write_b64 v16, v[14:15]
	v_lshlrev_b32_e32 v14, 3, v60
	;; [unrolled: 2-line block ×6, first 2 shown]
	v_lshlrev_b32_e32 v1, 3, v1
	ds_write_b64 v6, v[4:5]
	ds_write_b64 v1, v[2:3]
	s_waitcnt lgkmcnt(0)
	s_barrier
	ds_read2st64_b64 v[1:4], v50 offset1:5
	ds_read2st64_b64 v[5:8], v50 offset0:10 offset1:15
	ds_read2st64_b64 v[19:22], v50 offset0:20 offset1:25
	;; [unrolled: 1-line block ×3, first 2 shown]
	s_add_i32 s41, s41, 1
	s_waitcnt lgkmcnt(3)
	v_xor_b32_e32 v15, 0x80000000, v1
	v_xor_b32_e32 v16, 0x80000000, v2
	v_xor_b32_e32 v17, 0x80000000, v3
	v_xor_b32_e32 v18, 0x80000000, v4
	s_waitcnt lgkmcnt(2)
	v_xor_b32_e32 v11, 0x80000000, v5
	v_xor_b32_e32 v12, 0x80000000, v6
	v_xor_b32_e32 v13, 0x80000000, v7
	v_xor_b32_e32 v14, 0x80000000, v8
	;; [unrolled: 5-line block ×3, first 2 shown]
	s_waitcnt lgkmcnt(0)
	v_xor_b32_e32 v3, 0x80000000, v23
	v_xor_b32_e32 v4, 0x80000000, v24
	;; [unrolled: 1-line block ×3, first 2 shown]
	s_cmp_eq_u32 s41, 10
	v_xor_b32_e32 v6, 0x80000000, v26
	s_cbranch_scc1 .LBB374_28
.LBB374_2:                              ; =>This Loop Header: Depth=1
                                        ;     Child Loop BB374_4 Depth 2
	s_waitcnt vmcnt(0)
	v_xor_b32_e32 v2, 0x80000000, v16
	v_xor_b32_e32 v1, 0x80000000, v15
	;; [unrolled: 1-line block ×16, first 2 shown]
	ds_write2_b64 v35, v[1:2], v[15:16] offset1:1
	ds_write2_b64 v35, v[11:12], v[13:14] offset0:2 offset1:3
	ds_write2_b64 v35, v[7:8], v[9:10] offset0:4 offset1:5
	;; [unrolled: 1-line block ×3, first 2 shown]
	; wave barrier
	ds_read_b64 v[18:19], v36
	ds_read_b64 v[20:21], v37 offset:512
	ds_read_b64 v[22:23], v38 offset:1024
	;; [unrolled: 1-line block ×7, first 2 shown]
	s_mov_b32 s33, 8
	s_mov_b32 s36, 32
	;; [unrolled: 1-line block ×3, first 2 shown]
	s_waitcnt lgkmcnt(0)
	s_barrier
	; wave barrier
	s_barrier
	s_branch .LBB374_4
.LBB374_3:                              ;   in Loop: Header=BB374_4 Depth=2
	s_andn2_b64 vcc, exec, s[28:29]
	s_cbranch_vccz .LBB374_1
.LBB374_4:                              ;   Parent Loop BB374_2 Depth=1
                                        ; =>  This Inner Loop Header: Depth=2
	s_min_i32 s30, s33, 32
	s_cmp_lt_u32 s37, 32
	s_cselect_b64 s[28:29], -1, 0
	s_cmp_gt_u32 s37, 31
	s_cselect_b64 vcc, -1, 0
	s_sub_i32 s30, s30, 32
	s_add_i32 s31, s30, s36
	s_lshl_b32 s31, -1, s31
	s_not_b32 s31, s31
	s_cmp_lg_u32 s30, s37
	s_cselect_b32 s44, s31, -1
	s_max_i32 s40, s36, 0
	s_max_i32 s30, s37, 32
	s_sub_i32 s45, s30, 32
	s_sub_i32 s30, s30, s40
	;; [unrolled: 1-line block ×3, first 2 shown]
	s_min_i32 s30, s30, 32
	s_sub_i32 s30, s30, s45
	s_lshl_b32 s31, -1, s30
	s_not_b32 s31, s31
	v_mov_b32_e32 v16, v18
	s_cmp_lg_u32 s30, 32
	v_mov_b32_e32 v17, v19
	s_cselect_b32 s46, s31, -1
	v_lshrrev_b32_e32 v18, s45, v16
	v_lshrrev_b32_e32 v1, s37, v17
	v_and_b32_e32 v18, s46, v18
	v_and_b32_e32 v1, s44, v1
	v_lshlrev_b32_e32 v18, s40, v18
	v_cndmask_b32_e64 v1, 0, v1, s[28:29]
	v_cndmask_b32_e32 v18, 0, v18, vcc
	v_or_b32_e32 v18, v1, v18
	v_and_b32_e32 v1, 1, v18
	v_mov_b32_e32 v14, v20
	v_add_co_u32_e64 v19, s[30:31], -1, v1
	v_mov_b32_e32 v15, v21
	v_addc_co_u32_e64 v21, s[30:31], 0, -1, s[30:31]
	v_cmp_ne_u32_e64 s[30:31], 0, v1
	v_xor_b32_e32 v1, s31, v21
	v_and_b32_e32 v21, exec_hi, v1
	v_lshlrev_b32_e32 v1, 30, v18
	v_xor_b32_e32 v19, s30, v19
	v_cmp_gt_i64_e64 s[30:31], 0, v[0:1]
	v_not_b32_e32 v1, v1
	v_mov_b32_e32 v12, v22
	v_ashrrev_i32_e32 v1, 31, v1
	v_mov_b32_e32 v13, v23
	v_and_b32_e32 v19, exec_lo, v19
	v_xor_b32_e32 v22, s31, v1
	v_xor_b32_e32 v1, s30, v1
	v_and_b32_e32 v19, v19, v1
	v_lshlrev_b32_e32 v1, 29, v18
	v_cmp_gt_i64_e64 s[30:31], 0, v[0:1]
	v_not_b32_e32 v1, v1
	v_ashrrev_i32_e32 v1, 31, v1
	v_and_b32_e32 v21, v21, v22
	v_xor_b32_e32 v22, s31, v1
	v_xor_b32_e32 v1, s30, v1
	v_and_b32_e32 v19, v19, v1
	v_lshlrev_b32_e32 v1, 28, v18
	v_cmp_gt_i64_e64 s[30:31], 0, v[0:1]
	v_not_b32_e32 v1, v1
	v_ashrrev_i32_e32 v1, 31, v1
	v_and_b32_e32 v21, v21, v22
	;; [unrolled: 8-line block ×5, first 2 shown]
	v_xor_b32_e32 v22, s31, v1
	v_xor_b32_e32 v1, s30, v1
	v_and_b32_e32 v21, v21, v22
	v_and_b32_e32 v22, v19, v1
	v_lshlrev_b32_e32 v1, 24, v18
	v_cmp_gt_i64_e64 s[30:31], 0, v[0:1]
	v_not_b32_e32 v1, v1
	v_ashrrev_i32_e32 v1, 31, v1
	v_mul_lo_u32 v20, v18, 20
	v_xor_b32_e32 v18, s31, v1
	v_xor_b32_e32 v1, s30, v1
	v_and_b32_e32 v19, v21, v18
	v_and_b32_e32 v18, v22, v1
	v_mbcnt_lo_u32_b32 v1, v18, 0
	v_mbcnt_hi_u32_b32 v22, v19, v1
	v_cmp_ne_u64_e64 s[30:31], 0, v[18:19]
	v_mov_b32_e32 v10, v24
	v_mov_b32_e32 v8, v26
	v_mov_b32_e32 v6, v28
	v_mov_b32_e32 v4, v30
	v_mov_b32_e32 v2, v32
	v_cmp_eq_u32_e64 s[34:35], 0, v22
	v_mov_b32_e32 v11, v25
	v_mov_b32_e32 v9, v27
	;; [unrolled: 1-line block ×5, first 2 shown]
	s_and_b64 s[34:35], s[34:35], s[30:31]
	v_add_u32_e32 v23, v49, v20
	ds_write2_b32 v44, v0, v0 offset0:5 offset1:6
	ds_write2_b32 v44, v0, v0 offset0:7 offset1:8
	s_waitcnt lgkmcnt(0)
	s_barrier
	; wave barrier
	s_and_saveexec_b64 s[30:31], s[34:35]
; %bb.5:                                ;   in Loop: Header=BB374_4 Depth=2
	v_bcnt_u32_b32 v1, v18, 0
	v_bcnt_u32_b32 v1, v19, v1
	ds_write_b32 v23, v1 offset:20
; %bb.6:                                ;   in Loop: Header=BB374_4 Depth=2
	s_or_b64 exec, exec, s[30:31]
	v_lshrrev_b32_e32 v18, s45, v14
	v_lshrrev_b32_e32 v1, s37, v15
	v_and_b32_e32 v18, s46, v18
	v_and_b32_e32 v1, s44, v1
	v_lshlrev_b32_e32 v18, s40, v18
	v_cndmask_b32_e64 v1, 0, v1, s[28:29]
	v_cndmask_b32_e32 v18, 0, v18, vcc
	v_or_b32_e32 v18, v1, v18
	v_mul_lo_u32 v1, v18, 20
	; wave barrier
	v_add_u32_e32 v25, v49, v1
	v_and_b32_e32 v1, 1, v18
	v_add_co_u32_e64 v19, s[30:31], -1, v1
	v_addc_co_u32_e64 v20, s[30:31], 0, -1, s[30:31]
	v_cmp_ne_u32_e64 s[30:31], 0, v1
	v_xor_b32_e32 v1, s31, v20
	v_and_b32_e32 v20, exec_hi, v1
	v_lshlrev_b32_e32 v1, 30, v18
	v_xor_b32_e32 v19, s30, v19
	v_cmp_gt_i64_e64 s[30:31], 0, v[0:1]
	v_not_b32_e32 v1, v1
	v_ashrrev_i32_e32 v1, 31, v1
	v_and_b32_e32 v19, exec_lo, v19
	v_xor_b32_e32 v21, s31, v1
	v_xor_b32_e32 v1, s30, v1
	v_and_b32_e32 v19, v19, v1
	v_lshlrev_b32_e32 v1, 29, v18
	v_cmp_gt_i64_e64 s[30:31], 0, v[0:1]
	v_not_b32_e32 v1, v1
	v_ashrrev_i32_e32 v1, 31, v1
	v_and_b32_e32 v20, v20, v21
	v_xor_b32_e32 v21, s31, v1
	v_xor_b32_e32 v1, s30, v1
	v_and_b32_e32 v19, v19, v1
	v_lshlrev_b32_e32 v1, 28, v18
	v_cmp_gt_i64_e64 s[30:31], 0, v[0:1]
	v_not_b32_e32 v1, v1
	v_ashrrev_i32_e32 v1, 31, v1
	v_and_b32_e32 v20, v20, v21
	;; [unrolled: 8-line block ×5, first 2 shown]
	v_xor_b32_e32 v21, s31, v1
	v_xor_b32_e32 v1, s30, v1
	v_and_b32_e32 v20, v20, v21
	v_and_b32_e32 v21, v19, v1
	v_lshlrev_b32_e32 v1, 24, v18
	v_cmp_gt_i64_e64 s[30:31], 0, v[0:1]
	v_not_b32_e32 v1, v1
	v_ashrrev_i32_e32 v1, 31, v1
	v_xor_b32_e32 v18, s31, v1
	v_xor_b32_e32 v1, s30, v1
	ds_read_b32 v24, v25 offset:20
	v_and_b32_e32 v19, v20, v18
	v_and_b32_e32 v18, v21, v1
	v_mbcnt_lo_u32_b32 v1, v18, 0
	v_mbcnt_hi_u32_b32 v26, v19, v1
	v_cmp_ne_u64_e64 s[30:31], 0, v[18:19]
	v_cmp_eq_u32_e64 s[34:35], 0, v26
	s_and_b64 s[34:35], s[34:35], s[30:31]
	; wave barrier
	s_and_saveexec_b64 s[30:31], s[34:35]
	s_cbranch_execz .LBB374_8
; %bb.7:                                ;   in Loop: Header=BB374_4 Depth=2
	v_bcnt_u32_b32 v1, v18, 0
	v_bcnt_u32_b32 v1, v19, v1
	s_waitcnt lgkmcnt(0)
	v_add_u32_e32 v1, v24, v1
	ds_write_b32 v25, v1 offset:20
.LBB374_8:                              ;   in Loop: Header=BB374_4 Depth=2
	s_or_b64 exec, exec, s[30:31]
	v_lshrrev_b32_e32 v18, s45, v12
	v_lshrrev_b32_e32 v1, s37, v13
	v_and_b32_e32 v18, s46, v18
	v_and_b32_e32 v1, s44, v1
	v_lshlrev_b32_e32 v18, s40, v18
	v_cndmask_b32_e64 v1, 0, v1, s[28:29]
	v_cndmask_b32_e32 v18, 0, v18, vcc
	v_or_b32_e32 v18, v1, v18
	v_mul_lo_u32 v1, v18, 20
	; wave barrier
	v_add_u32_e32 v28, v49, v1
	v_and_b32_e32 v1, 1, v18
	v_add_co_u32_e64 v19, s[30:31], -1, v1
	v_addc_co_u32_e64 v20, s[30:31], 0, -1, s[30:31]
	v_cmp_ne_u32_e64 s[30:31], 0, v1
	v_xor_b32_e32 v1, s31, v20
	v_and_b32_e32 v20, exec_hi, v1
	v_lshlrev_b32_e32 v1, 30, v18
	v_xor_b32_e32 v19, s30, v19
	v_cmp_gt_i64_e64 s[30:31], 0, v[0:1]
	v_not_b32_e32 v1, v1
	v_ashrrev_i32_e32 v1, 31, v1
	v_and_b32_e32 v19, exec_lo, v19
	v_xor_b32_e32 v21, s31, v1
	v_xor_b32_e32 v1, s30, v1
	v_and_b32_e32 v19, v19, v1
	v_lshlrev_b32_e32 v1, 29, v18
	v_cmp_gt_i64_e64 s[30:31], 0, v[0:1]
	v_not_b32_e32 v1, v1
	v_ashrrev_i32_e32 v1, 31, v1
	v_and_b32_e32 v20, v20, v21
	v_xor_b32_e32 v21, s31, v1
	v_xor_b32_e32 v1, s30, v1
	v_and_b32_e32 v19, v19, v1
	v_lshlrev_b32_e32 v1, 28, v18
	v_cmp_gt_i64_e64 s[30:31], 0, v[0:1]
	v_not_b32_e32 v1, v1
	v_ashrrev_i32_e32 v1, 31, v1
	v_and_b32_e32 v20, v20, v21
	;; [unrolled: 8-line block ×5, first 2 shown]
	v_xor_b32_e32 v21, s31, v1
	v_xor_b32_e32 v1, s30, v1
	v_and_b32_e32 v20, v20, v21
	v_and_b32_e32 v21, v19, v1
	v_lshlrev_b32_e32 v1, 24, v18
	v_cmp_gt_i64_e64 s[30:31], 0, v[0:1]
	v_not_b32_e32 v1, v1
	v_ashrrev_i32_e32 v1, 31, v1
	v_xor_b32_e32 v18, s31, v1
	v_xor_b32_e32 v1, s30, v1
	ds_read_b32 v27, v28 offset:20
	v_and_b32_e32 v19, v20, v18
	v_and_b32_e32 v18, v21, v1
	v_mbcnt_lo_u32_b32 v1, v18, 0
	v_mbcnt_hi_u32_b32 v29, v19, v1
	v_cmp_ne_u64_e64 s[30:31], 0, v[18:19]
	v_cmp_eq_u32_e64 s[34:35], 0, v29
	s_and_b64 s[34:35], s[34:35], s[30:31]
	; wave barrier
	s_and_saveexec_b64 s[30:31], s[34:35]
	s_cbranch_execz .LBB374_10
; %bb.9:                                ;   in Loop: Header=BB374_4 Depth=2
	v_bcnt_u32_b32 v1, v18, 0
	v_bcnt_u32_b32 v1, v19, v1
	s_waitcnt lgkmcnt(0)
	v_add_u32_e32 v1, v27, v1
	ds_write_b32 v28, v1 offset:20
.LBB374_10:                             ;   in Loop: Header=BB374_4 Depth=2
	s_or_b64 exec, exec, s[30:31]
	v_lshrrev_b32_e32 v18, s45, v10
	v_lshrrev_b32_e32 v1, s37, v11
	v_and_b32_e32 v18, s46, v18
	v_and_b32_e32 v1, s44, v1
	v_lshlrev_b32_e32 v18, s40, v18
	v_cndmask_b32_e64 v1, 0, v1, s[28:29]
	v_cndmask_b32_e32 v18, 0, v18, vcc
	v_or_b32_e32 v18, v1, v18
	v_mul_lo_u32 v1, v18, 20
	; wave barrier
	v_add_u32_e32 v31, v49, v1
	v_and_b32_e32 v1, 1, v18
	v_add_co_u32_e64 v19, s[30:31], -1, v1
	v_addc_co_u32_e64 v20, s[30:31], 0, -1, s[30:31]
	v_cmp_ne_u32_e64 s[30:31], 0, v1
	v_xor_b32_e32 v1, s31, v20
	v_and_b32_e32 v20, exec_hi, v1
	v_lshlrev_b32_e32 v1, 30, v18
	v_xor_b32_e32 v19, s30, v19
	v_cmp_gt_i64_e64 s[30:31], 0, v[0:1]
	v_not_b32_e32 v1, v1
	v_ashrrev_i32_e32 v1, 31, v1
	v_and_b32_e32 v19, exec_lo, v19
	v_xor_b32_e32 v21, s31, v1
	v_xor_b32_e32 v1, s30, v1
	v_and_b32_e32 v19, v19, v1
	v_lshlrev_b32_e32 v1, 29, v18
	v_cmp_gt_i64_e64 s[30:31], 0, v[0:1]
	v_not_b32_e32 v1, v1
	v_ashrrev_i32_e32 v1, 31, v1
	v_and_b32_e32 v20, v20, v21
	v_xor_b32_e32 v21, s31, v1
	v_xor_b32_e32 v1, s30, v1
	v_and_b32_e32 v19, v19, v1
	v_lshlrev_b32_e32 v1, 28, v18
	v_cmp_gt_i64_e64 s[30:31], 0, v[0:1]
	v_not_b32_e32 v1, v1
	v_ashrrev_i32_e32 v1, 31, v1
	v_and_b32_e32 v20, v20, v21
	;; [unrolled: 8-line block ×5, first 2 shown]
	v_xor_b32_e32 v21, s31, v1
	v_xor_b32_e32 v1, s30, v1
	v_and_b32_e32 v20, v20, v21
	v_and_b32_e32 v21, v19, v1
	v_lshlrev_b32_e32 v1, 24, v18
	v_cmp_gt_i64_e64 s[30:31], 0, v[0:1]
	v_not_b32_e32 v1, v1
	v_ashrrev_i32_e32 v1, 31, v1
	v_xor_b32_e32 v18, s31, v1
	v_xor_b32_e32 v1, s30, v1
	ds_read_b32 v30, v31 offset:20
	v_and_b32_e32 v19, v20, v18
	v_and_b32_e32 v18, v21, v1
	v_mbcnt_lo_u32_b32 v1, v18, 0
	v_mbcnt_hi_u32_b32 v32, v19, v1
	v_cmp_ne_u64_e64 s[30:31], 0, v[18:19]
	v_cmp_eq_u32_e64 s[34:35], 0, v32
	s_and_b64 s[34:35], s[34:35], s[30:31]
	; wave barrier
	s_and_saveexec_b64 s[30:31], s[34:35]
	s_cbranch_execz .LBB374_12
; %bb.11:                               ;   in Loop: Header=BB374_4 Depth=2
	v_bcnt_u32_b32 v1, v18, 0
	v_bcnt_u32_b32 v1, v19, v1
	s_waitcnt lgkmcnt(0)
	v_add_u32_e32 v1, v30, v1
	ds_write_b32 v31, v1 offset:20
.LBB374_12:                             ;   in Loop: Header=BB374_4 Depth=2
	s_or_b64 exec, exec, s[30:31]
	v_lshrrev_b32_e32 v18, s45, v8
	v_lshrrev_b32_e32 v1, s37, v9
	v_and_b32_e32 v18, s46, v18
	v_and_b32_e32 v1, s44, v1
	v_lshlrev_b32_e32 v18, s40, v18
	v_cndmask_b32_e64 v1, 0, v1, s[28:29]
	v_cndmask_b32_e32 v18, 0, v18, vcc
	v_or_b32_e32 v18, v1, v18
	v_mul_lo_u32 v1, v18, 20
	; wave barrier
	v_add_u32_e32 v51, v49, v1
	v_and_b32_e32 v1, 1, v18
	v_add_co_u32_e64 v19, s[30:31], -1, v1
	v_addc_co_u32_e64 v20, s[30:31], 0, -1, s[30:31]
	v_cmp_ne_u32_e64 s[30:31], 0, v1
	v_xor_b32_e32 v1, s31, v20
	v_and_b32_e32 v20, exec_hi, v1
	v_lshlrev_b32_e32 v1, 30, v18
	v_xor_b32_e32 v19, s30, v19
	v_cmp_gt_i64_e64 s[30:31], 0, v[0:1]
	v_not_b32_e32 v1, v1
	v_ashrrev_i32_e32 v1, 31, v1
	v_and_b32_e32 v19, exec_lo, v19
	v_xor_b32_e32 v21, s31, v1
	v_xor_b32_e32 v1, s30, v1
	v_and_b32_e32 v19, v19, v1
	v_lshlrev_b32_e32 v1, 29, v18
	v_cmp_gt_i64_e64 s[30:31], 0, v[0:1]
	v_not_b32_e32 v1, v1
	v_ashrrev_i32_e32 v1, 31, v1
	v_and_b32_e32 v20, v20, v21
	v_xor_b32_e32 v21, s31, v1
	v_xor_b32_e32 v1, s30, v1
	v_and_b32_e32 v19, v19, v1
	v_lshlrev_b32_e32 v1, 28, v18
	v_cmp_gt_i64_e64 s[30:31], 0, v[0:1]
	v_not_b32_e32 v1, v1
	v_ashrrev_i32_e32 v1, 31, v1
	v_and_b32_e32 v20, v20, v21
	;; [unrolled: 8-line block ×5, first 2 shown]
	v_xor_b32_e32 v21, s31, v1
	v_xor_b32_e32 v1, s30, v1
	v_and_b32_e32 v20, v20, v21
	v_and_b32_e32 v21, v19, v1
	v_lshlrev_b32_e32 v1, 24, v18
	v_cmp_gt_i64_e64 s[30:31], 0, v[0:1]
	v_not_b32_e32 v1, v1
	v_ashrrev_i32_e32 v1, 31, v1
	v_xor_b32_e32 v18, s31, v1
	v_xor_b32_e32 v1, s30, v1
	ds_read_b32 v33, v51 offset:20
	v_and_b32_e32 v19, v20, v18
	v_and_b32_e32 v18, v21, v1
	v_mbcnt_lo_u32_b32 v1, v18, 0
	v_mbcnt_hi_u32_b32 v52, v19, v1
	v_cmp_ne_u64_e64 s[30:31], 0, v[18:19]
	v_cmp_eq_u32_e64 s[34:35], 0, v52
	s_and_b64 s[34:35], s[34:35], s[30:31]
	; wave barrier
	s_and_saveexec_b64 s[30:31], s[34:35]
	s_cbranch_execz .LBB374_14
; %bb.13:                               ;   in Loop: Header=BB374_4 Depth=2
	v_bcnt_u32_b32 v1, v18, 0
	v_bcnt_u32_b32 v1, v19, v1
	s_waitcnt lgkmcnt(0)
	v_add_u32_e32 v1, v33, v1
	ds_write_b32 v51, v1 offset:20
.LBB374_14:                             ;   in Loop: Header=BB374_4 Depth=2
	s_or_b64 exec, exec, s[30:31]
	v_lshrrev_b32_e32 v18, s45, v6
	v_lshrrev_b32_e32 v1, s37, v7
	v_and_b32_e32 v18, s46, v18
	v_and_b32_e32 v1, s44, v1
	v_lshlrev_b32_e32 v18, s40, v18
	v_cndmask_b32_e64 v1, 0, v1, s[28:29]
	v_cndmask_b32_e32 v18, 0, v18, vcc
	v_or_b32_e32 v18, v1, v18
	v_mul_lo_u32 v1, v18, 20
	; wave barrier
	v_add_u32_e32 v54, v49, v1
	v_and_b32_e32 v1, 1, v18
	v_add_co_u32_e64 v19, s[30:31], -1, v1
	v_addc_co_u32_e64 v20, s[30:31], 0, -1, s[30:31]
	v_cmp_ne_u32_e64 s[30:31], 0, v1
	v_xor_b32_e32 v1, s31, v20
	v_and_b32_e32 v20, exec_hi, v1
	v_lshlrev_b32_e32 v1, 30, v18
	v_xor_b32_e32 v19, s30, v19
	v_cmp_gt_i64_e64 s[30:31], 0, v[0:1]
	v_not_b32_e32 v1, v1
	v_ashrrev_i32_e32 v1, 31, v1
	v_and_b32_e32 v19, exec_lo, v19
	v_xor_b32_e32 v21, s31, v1
	v_xor_b32_e32 v1, s30, v1
	v_and_b32_e32 v19, v19, v1
	v_lshlrev_b32_e32 v1, 29, v18
	v_cmp_gt_i64_e64 s[30:31], 0, v[0:1]
	v_not_b32_e32 v1, v1
	v_ashrrev_i32_e32 v1, 31, v1
	v_and_b32_e32 v20, v20, v21
	v_xor_b32_e32 v21, s31, v1
	v_xor_b32_e32 v1, s30, v1
	v_and_b32_e32 v19, v19, v1
	v_lshlrev_b32_e32 v1, 28, v18
	v_cmp_gt_i64_e64 s[30:31], 0, v[0:1]
	v_not_b32_e32 v1, v1
	v_ashrrev_i32_e32 v1, 31, v1
	v_and_b32_e32 v20, v20, v21
	;; [unrolled: 8-line block ×5, first 2 shown]
	v_xor_b32_e32 v21, s31, v1
	v_xor_b32_e32 v1, s30, v1
	v_and_b32_e32 v20, v20, v21
	v_and_b32_e32 v21, v19, v1
	v_lshlrev_b32_e32 v1, 24, v18
	v_cmp_gt_i64_e64 s[30:31], 0, v[0:1]
	v_not_b32_e32 v1, v1
	v_ashrrev_i32_e32 v1, 31, v1
	v_xor_b32_e32 v18, s31, v1
	v_xor_b32_e32 v1, s30, v1
	ds_read_b32 v53, v54 offset:20
	v_and_b32_e32 v19, v20, v18
	v_and_b32_e32 v18, v21, v1
	v_mbcnt_lo_u32_b32 v1, v18, 0
	v_mbcnt_hi_u32_b32 v55, v19, v1
	v_cmp_ne_u64_e64 s[30:31], 0, v[18:19]
	v_cmp_eq_u32_e64 s[34:35], 0, v55
	s_and_b64 s[34:35], s[34:35], s[30:31]
	; wave barrier
	s_and_saveexec_b64 s[30:31], s[34:35]
	s_cbranch_execz .LBB374_16
; %bb.15:                               ;   in Loop: Header=BB374_4 Depth=2
	v_bcnt_u32_b32 v1, v18, 0
	v_bcnt_u32_b32 v1, v19, v1
	s_waitcnt lgkmcnt(0)
	v_add_u32_e32 v1, v53, v1
	ds_write_b32 v54, v1 offset:20
.LBB374_16:                             ;   in Loop: Header=BB374_4 Depth=2
	s_or_b64 exec, exec, s[30:31]
	v_lshrrev_b32_e32 v18, s45, v4
	v_lshrrev_b32_e32 v1, s37, v5
	v_and_b32_e32 v18, s46, v18
	v_and_b32_e32 v1, s44, v1
	v_lshlrev_b32_e32 v18, s40, v18
	v_cndmask_b32_e64 v1, 0, v1, s[28:29]
	v_cndmask_b32_e32 v18, 0, v18, vcc
	v_or_b32_e32 v18, v1, v18
	v_mul_lo_u32 v1, v18, 20
	; wave barrier
	v_add_u32_e32 v57, v49, v1
	v_and_b32_e32 v1, 1, v18
	v_add_co_u32_e64 v19, s[30:31], -1, v1
	v_addc_co_u32_e64 v20, s[30:31], 0, -1, s[30:31]
	v_cmp_ne_u32_e64 s[30:31], 0, v1
	v_xor_b32_e32 v1, s31, v20
	v_and_b32_e32 v20, exec_hi, v1
	v_lshlrev_b32_e32 v1, 30, v18
	v_xor_b32_e32 v19, s30, v19
	v_cmp_gt_i64_e64 s[30:31], 0, v[0:1]
	v_not_b32_e32 v1, v1
	v_ashrrev_i32_e32 v1, 31, v1
	v_and_b32_e32 v19, exec_lo, v19
	v_xor_b32_e32 v21, s31, v1
	v_xor_b32_e32 v1, s30, v1
	v_and_b32_e32 v19, v19, v1
	v_lshlrev_b32_e32 v1, 29, v18
	v_cmp_gt_i64_e64 s[30:31], 0, v[0:1]
	v_not_b32_e32 v1, v1
	v_ashrrev_i32_e32 v1, 31, v1
	v_and_b32_e32 v20, v20, v21
	v_xor_b32_e32 v21, s31, v1
	v_xor_b32_e32 v1, s30, v1
	v_and_b32_e32 v19, v19, v1
	v_lshlrev_b32_e32 v1, 28, v18
	v_cmp_gt_i64_e64 s[30:31], 0, v[0:1]
	v_not_b32_e32 v1, v1
	v_ashrrev_i32_e32 v1, 31, v1
	v_and_b32_e32 v20, v20, v21
	;; [unrolled: 8-line block ×5, first 2 shown]
	v_xor_b32_e32 v21, s31, v1
	v_xor_b32_e32 v1, s30, v1
	v_and_b32_e32 v20, v20, v21
	v_and_b32_e32 v21, v19, v1
	v_lshlrev_b32_e32 v1, 24, v18
	v_cmp_gt_i64_e64 s[30:31], 0, v[0:1]
	v_not_b32_e32 v1, v1
	v_ashrrev_i32_e32 v1, 31, v1
	v_xor_b32_e32 v18, s31, v1
	v_xor_b32_e32 v1, s30, v1
	ds_read_b32 v56, v57 offset:20
	v_and_b32_e32 v19, v20, v18
	v_and_b32_e32 v18, v21, v1
	v_mbcnt_lo_u32_b32 v1, v18, 0
	v_mbcnt_hi_u32_b32 v58, v19, v1
	v_cmp_ne_u64_e64 s[30:31], 0, v[18:19]
	v_cmp_eq_u32_e64 s[34:35], 0, v58
	s_and_b64 s[34:35], s[34:35], s[30:31]
	; wave barrier
	s_and_saveexec_b64 s[30:31], s[34:35]
	s_cbranch_execz .LBB374_18
; %bb.17:                               ;   in Loop: Header=BB374_4 Depth=2
	v_bcnt_u32_b32 v1, v18, 0
	v_bcnt_u32_b32 v1, v19, v1
	s_waitcnt lgkmcnt(0)
	v_add_u32_e32 v1, v56, v1
	ds_write_b32 v57, v1 offset:20
.LBB374_18:                             ;   in Loop: Header=BB374_4 Depth=2
	s_or_b64 exec, exec, s[30:31]
	v_lshrrev_b32_e32 v18, s45, v2
	v_lshrrev_b32_e32 v1, s37, v3
	v_and_b32_e32 v18, s46, v18
	v_and_b32_e32 v1, s44, v1
	v_lshlrev_b32_e32 v18, s40, v18
	v_cndmask_b32_e64 v1, 0, v1, s[28:29]
	v_cndmask_b32_e32 v18, 0, v18, vcc
	v_or_b32_e32 v18, v1, v18
	v_mul_lo_u32 v1, v18, 20
	; wave barrier
	v_add_u32_e32 v60, v49, v1
	v_and_b32_e32 v1, 1, v18
	v_add_co_u32_e32 v19, vcc, -1, v1
	v_addc_co_u32_e64 v20, s[28:29], 0, -1, vcc
	v_cmp_ne_u32_e32 vcc, 0, v1
	v_xor_b32_e32 v1, vcc_hi, v20
	v_and_b32_e32 v20, exec_hi, v1
	v_lshlrev_b32_e32 v1, 30, v18
	v_xor_b32_e32 v19, vcc_lo, v19
	v_cmp_gt_i64_e32 vcc, 0, v[0:1]
	v_not_b32_e32 v1, v1
	v_ashrrev_i32_e32 v1, 31, v1
	v_and_b32_e32 v19, exec_lo, v19
	v_xor_b32_e32 v21, vcc_hi, v1
	v_xor_b32_e32 v1, vcc_lo, v1
	v_and_b32_e32 v19, v19, v1
	v_lshlrev_b32_e32 v1, 29, v18
	v_cmp_gt_i64_e32 vcc, 0, v[0:1]
	v_not_b32_e32 v1, v1
	v_ashrrev_i32_e32 v1, 31, v1
	v_and_b32_e32 v20, v20, v21
	v_xor_b32_e32 v21, vcc_hi, v1
	v_xor_b32_e32 v1, vcc_lo, v1
	v_and_b32_e32 v19, v19, v1
	v_lshlrev_b32_e32 v1, 28, v18
	v_cmp_gt_i64_e32 vcc, 0, v[0:1]
	v_not_b32_e32 v1, v1
	v_ashrrev_i32_e32 v1, 31, v1
	v_and_b32_e32 v20, v20, v21
	;; [unrolled: 8-line block ×5, first 2 shown]
	v_xor_b32_e32 v21, vcc_hi, v1
	v_xor_b32_e32 v1, vcc_lo, v1
	v_and_b32_e32 v20, v20, v21
	v_and_b32_e32 v21, v19, v1
	v_lshlrev_b32_e32 v1, 24, v18
	v_cmp_gt_i64_e32 vcc, 0, v[0:1]
	v_not_b32_e32 v1, v1
	v_ashrrev_i32_e32 v1, 31, v1
	v_xor_b32_e32 v18, vcc_hi, v1
	v_xor_b32_e32 v1, vcc_lo, v1
	ds_read_b32 v59, v60 offset:20
	v_and_b32_e32 v19, v20, v18
	v_and_b32_e32 v18, v21, v1
	v_mbcnt_lo_u32_b32 v1, v18, 0
	v_mbcnt_hi_u32_b32 v1, v19, v1
	v_cmp_ne_u64_e32 vcc, 0, v[18:19]
	v_cmp_eq_u32_e64 s[28:29], 0, v1
	s_and_b64 s[30:31], s[28:29], vcc
	; wave barrier
	s_and_saveexec_b64 s[28:29], s[30:31]
	s_cbranch_execz .LBB374_20
; %bb.19:                               ;   in Loop: Header=BB374_4 Depth=2
	v_bcnt_u32_b32 v18, v18, 0
	v_bcnt_u32_b32 v18, v19, v18
	s_waitcnt lgkmcnt(0)
	v_add_u32_e32 v18, v59, v18
	ds_write_b32 v60, v18 offset:20
.LBB374_20:                             ;   in Loop: Header=BB374_4 Depth=2
	s_or_b64 exec, exec, s[28:29]
	; wave barrier
	s_waitcnt lgkmcnt(0)
	s_barrier
	ds_read2_b32 v[20:21], v44 offset0:5 offset1:6
	ds_read2_b32 v[18:19], v44 offset0:7 offset1:8
	s_waitcnt lgkmcnt(1)
	v_add_u32_e32 v61, v21, v20
	s_waitcnt lgkmcnt(0)
	v_add3_u32 v19, v61, v18, v19
	s_nop 1
	v_mov_b32_dpp v61, v19 row_shr:1 row_mask:0xf bank_mask:0xf
	v_cndmask_b32_e64 v61, v61, 0, s[0:1]
	v_add_u32_e32 v19, v61, v19
	s_nop 1
	v_mov_b32_dpp v61, v19 row_shr:2 row_mask:0xf bank_mask:0xf
	v_cndmask_b32_e64 v61, 0, v61, s[2:3]
	v_add_u32_e32 v19, v19, v61
	;; [unrolled: 4-line block ×4, first 2 shown]
	s_nop 1
	v_mov_b32_dpp v61, v19 row_bcast:15 row_mask:0xf bank_mask:0xf
	v_cndmask_b32_e64 v61, v61, 0, s[8:9]
	v_add_u32_e32 v19, v19, v61
	s_nop 1
	v_mov_b32_dpp v61, v19 row_bcast:31 row_mask:0xf bank_mask:0xf
	v_cndmask_b32_e64 v61, 0, v61, s[10:11]
	v_add_u32_e32 v19, v19, v61
	s_and_saveexec_b64 s[28:29], s[12:13]
; %bb.21:                               ;   in Loop: Header=BB374_4 Depth=2
	ds_write_b32 v46, v19
; %bb.22:                               ;   in Loop: Header=BB374_4 Depth=2
	s_or_b64 exec, exec, s[28:29]
	s_waitcnt lgkmcnt(0)
	s_barrier
	s_and_saveexec_b64 s[28:29], s[14:15]
	s_cbranch_execz .LBB374_24
; %bb.23:                               ;   in Loop: Header=BB374_4 Depth=2
	ds_read_b32 v61, v47
	s_waitcnt lgkmcnt(0)
	s_nop 0
	v_mov_b32_dpp v62, v61 row_shr:1 row_mask:0xf bank_mask:0xf
	v_cndmask_b32_e64 v62, v62, 0, s[22:23]
	v_add_u32_e32 v61, v62, v61
	s_nop 1
	v_mov_b32_dpp v62, v61 row_shr:2 row_mask:0xf bank_mask:0xf
	v_cndmask_b32_e64 v62, 0, v62, s[24:25]
	v_add_u32_e32 v61, v61, v62
	;; [unrolled: 4-line block ×3, first 2 shown]
	ds_write_b32 v47, v61
.LBB374_24:                             ;   in Loop: Header=BB374_4 Depth=2
	s_or_b64 exec, exec, s[28:29]
	v_mov_b32_e32 v61, 0
	s_waitcnt lgkmcnt(0)
	s_barrier
	s_and_saveexec_b64 s[28:29], s[16:17]
; %bb.25:                               ;   in Loop: Header=BB374_4 Depth=2
	ds_read_b32 v61, v48
; %bb.26:                               ;   in Loop: Header=BB374_4 Depth=2
	s_or_b64 exec, exec, s[28:29]
	s_waitcnt lgkmcnt(0)
	v_add_u32_e32 v19, v61, v19
	ds_bpermute_b32 v19, v45, v19
	s_cmp_gt_u32 s37, 55
	s_mov_b64 s[28:29], -1
	s_waitcnt lgkmcnt(0)
	v_cndmask_b32_e64 v19, v19, v61, s[18:19]
	v_cndmask_b32_e64 v19, v19, 0, s[20:21]
	v_add_u32_e32 v20, v19, v20
	v_add_u32_e32 v21, v20, v21
	;; [unrolled: 1-line block ×3, first 2 shown]
	ds_write2_b32 v44, v19, v20 offset0:5 offset1:6
	ds_write2_b32 v44, v21, v18 offset0:7 offset1:8
	s_waitcnt lgkmcnt(0)
	s_barrier
	ds_read_b32 v18, v23 offset:20
	ds_read_b32 v19, v25 offset:20
	;; [unrolled: 1-line block ×8, first 2 shown]
	s_waitcnt lgkmcnt(7)
	v_add_u32_e32 v62, v18, v22
	s_waitcnt lgkmcnt(6)
	v_add3_u32 v61, v26, v24, v19
	s_waitcnt lgkmcnt(5)
	v_add3_u32 v60, v29, v27, v20
	;; [unrolled: 2-line block ×7, first 2 shown]
                                        ; implicit-def: $vgpr18_vgpr19
                                        ; implicit-def: $vgpr20_vgpr21
                                        ; implicit-def: $vgpr22_vgpr23
                                        ; implicit-def: $vgpr24_vgpr25
                                        ; implicit-def: $vgpr26_vgpr27
                                        ; implicit-def: $vgpr28_vgpr29
                                        ; implicit-def: $vgpr30_vgpr31
                                        ; implicit-def: $vgpr32_vgpr33
	s_cbranch_scc1 .LBB374_3
; %bb.27:                               ;   in Loop: Header=BB374_4 Depth=2
	v_lshrrev_b32_e32 v18, 2, v62
	v_and_b32_e32 v18, 0x3ffffff8, v18
	v_lshl_add_u32 v18, v62, 3, v18
	s_barrier
	ds_write_b64 v18, v[16:17]
	v_lshrrev_b32_e32 v18, 2, v61
	v_and_b32_e32 v18, 0x3ffffff8, v18
	v_lshl_add_u32 v18, v61, 3, v18
	ds_write_b64 v18, v[14:15]
	v_lshrrev_b32_e32 v18, 2, v60
	v_and_b32_e32 v18, 0x3ffffff8, v18
	v_lshl_add_u32 v18, v60, 3, v18
	;; [unrolled: 4-line block ×7, first 2 shown]
	ds_write_b64 v18, v[2:3]
	s_waitcnt lgkmcnt(0)
	s_barrier
	ds_read_b64 v[18:19], v36
	ds_read_b64 v[20:21], v37 offset:512
	ds_read_b64 v[22:23], v38 offset:1024
	;; [unrolled: 1-line block ×7, first 2 shown]
	s_add_i32 s36, s36, -8
	s_add_i32 s33, s33, 8
	s_add_i32 s37, s37, 8
	s_mov_b64 s[28:29], 0
	s_waitcnt lgkmcnt(0)
	s_barrier
	s_branch .LBB374_3
.LBB374_28:
	s_add_u32 s0, s38, s42
	s_addc_u32 s1, s39, s43
	v_mov_b32_e32 v0, s1
	v_add_co_u32_e32 v2, vcc, s0, v34
	v_addc_co_u32_e32 v19, vcc, 0, v0, vcc
	v_add_co_u32_e32 v0, vcc, 0x1000, v2
	v_addc_co_u32_e32 v1, vcc, 0, v19, vcc
	global_store_dwordx2 v34, v[15:16], s[0:1]
	global_store_dwordx2 v34, v[17:18], s[0:1] offset:2560
	global_store_dwordx2 v[0:1], v[11:12], off offset:1024
	global_store_dwordx2 v[0:1], v[13:14], off offset:3584
	v_add_co_u32_e32 v0, vcc, 0x2000, v2
	v_addc_co_u32_e32 v1, vcc, 0, v19, vcc
	global_store_dwordx2 v[0:1], v[7:8], off offset:2048
	v_add_co_u32_e32 v0, vcc, 0x3000, v2
	v_addc_co_u32_e32 v1, vcc, 0, v19, vcc
	global_store_dwordx2 v[0:1], v[9:10], off offset:512
	global_store_dwordx2 v[0:1], v[3:4], off offset:3072
	v_add_co_u32_e32 v0, vcc, 0x4000, v2
	v_addc_co_u32_e32 v1, vcc, 0, v19, vcc
	global_store_dwordx2 v[0:1], v[5:6], off offset:1536
	s_endpgm
	.section	.rodata,"a",@progbits
	.p2align	6, 0x0
	.amdhsa_kernel _Z16sort_keys_kernelI22helper_blocked_stripedN15benchmark_utils11custom_typeIiiEELj320ELj8ELj10EEvPKT0_PS4_
		.amdhsa_group_segment_fixed_size 21120
		.amdhsa_private_segment_fixed_size 0
		.amdhsa_kernarg_size 272
		.amdhsa_user_sgpr_count 6
		.amdhsa_user_sgpr_private_segment_buffer 1
		.amdhsa_user_sgpr_dispatch_ptr 0
		.amdhsa_user_sgpr_queue_ptr 0
		.amdhsa_user_sgpr_kernarg_segment_ptr 1
		.amdhsa_user_sgpr_dispatch_id 0
		.amdhsa_user_sgpr_flat_scratch_init 0
		.amdhsa_user_sgpr_private_segment_size 0
		.amdhsa_uses_dynamic_stack 0
		.amdhsa_system_sgpr_private_segment_wavefront_offset 0
		.amdhsa_system_sgpr_workgroup_id_x 1
		.amdhsa_system_sgpr_workgroup_id_y 0
		.amdhsa_system_sgpr_workgroup_id_z 0
		.amdhsa_system_sgpr_workgroup_info 0
		.amdhsa_system_vgpr_workitem_id 2
		.amdhsa_next_free_vgpr 63
		.amdhsa_next_free_sgpr 98
		.amdhsa_reserve_vcc 1
		.amdhsa_reserve_flat_scratch 0
		.amdhsa_float_round_mode_32 0
		.amdhsa_float_round_mode_16_64 0
		.amdhsa_float_denorm_mode_32 3
		.amdhsa_float_denorm_mode_16_64 3
		.amdhsa_dx10_clamp 1
		.amdhsa_ieee_mode 1
		.amdhsa_fp16_overflow 0
		.amdhsa_exception_fp_ieee_invalid_op 0
		.amdhsa_exception_fp_denorm_src 0
		.amdhsa_exception_fp_ieee_div_zero 0
		.amdhsa_exception_fp_ieee_overflow 0
		.amdhsa_exception_fp_ieee_underflow 0
		.amdhsa_exception_fp_ieee_inexact 0
		.amdhsa_exception_int_div_zero 0
	.end_amdhsa_kernel
	.section	.text._Z16sort_keys_kernelI22helper_blocked_stripedN15benchmark_utils11custom_typeIiiEELj320ELj8ELj10EEvPKT0_PS4_,"axG",@progbits,_Z16sort_keys_kernelI22helper_blocked_stripedN15benchmark_utils11custom_typeIiiEELj320ELj8ELj10EEvPKT0_PS4_,comdat
.Lfunc_end374:
	.size	_Z16sort_keys_kernelI22helper_blocked_stripedN15benchmark_utils11custom_typeIiiEELj320ELj8ELj10EEvPKT0_PS4_, .Lfunc_end374-_Z16sort_keys_kernelI22helper_blocked_stripedN15benchmark_utils11custom_typeIiiEELj320ELj8ELj10EEvPKT0_PS4_
                                        ; -- End function
	.set _Z16sort_keys_kernelI22helper_blocked_stripedN15benchmark_utils11custom_typeIiiEELj320ELj8ELj10EEvPKT0_PS4_.num_vgpr, 63
	.set _Z16sort_keys_kernelI22helper_blocked_stripedN15benchmark_utils11custom_typeIiiEELj320ELj8ELj10EEvPKT0_PS4_.num_agpr, 0
	.set _Z16sort_keys_kernelI22helper_blocked_stripedN15benchmark_utils11custom_typeIiiEELj320ELj8ELj10EEvPKT0_PS4_.numbered_sgpr, 47
	.set _Z16sort_keys_kernelI22helper_blocked_stripedN15benchmark_utils11custom_typeIiiEELj320ELj8ELj10EEvPKT0_PS4_.num_named_barrier, 0
	.set _Z16sort_keys_kernelI22helper_blocked_stripedN15benchmark_utils11custom_typeIiiEELj320ELj8ELj10EEvPKT0_PS4_.private_seg_size, 0
	.set _Z16sort_keys_kernelI22helper_blocked_stripedN15benchmark_utils11custom_typeIiiEELj320ELj8ELj10EEvPKT0_PS4_.uses_vcc, 1
	.set _Z16sort_keys_kernelI22helper_blocked_stripedN15benchmark_utils11custom_typeIiiEELj320ELj8ELj10EEvPKT0_PS4_.uses_flat_scratch, 0
	.set _Z16sort_keys_kernelI22helper_blocked_stripedN15benchmark_utils11custom_typeIiiEELj320ELj8ELj10EEvPKT0_PS4_.has_dyn_sized_stack, 0
	.set _Z16sort_keys_kernelI22helper_blocked_stripedN15benchmark_utils11custom_typeIiiEELj320ELj8ELj10EEvPKT0_PS4_.has_recursion, 0
	.set _Z16sort_keys_kernelI22helper_blocked_stripedN15benchmark_utils11custom_typeIiiEELj320ELj8ELj10EEvPKT0_PS4_.has_indirect_call, 0
	.section	.AMDGPU.csdata,"",@progbits
; Kernel info:
; codeLenInByte = 5748
; TotalNumSgprs: 51
; NumVgprs: 63
; ScratchSize: 0
; MemoryBound: 0
; FloatMode: 240
; IeeeMode: 1
; LDSByteSize: 21120 bytes/workgroup (compile time only)
; SGPRBlocks: 12
; VGPRBlocks: 15
; NumSGPRsForWavesPerEU: 102
; NumVGPRsForWavesPerEU: 63
; Occupancy: 4
; WaveLimiterHint : 1
; COMPUTE_PGM_RSRC2:SCRATCH_EN: 0
; COMPUTE_PGM_RSRC2:USER_SGPR: 6
; COMPUTE_PGM_RSRC2:TRAP_HANDLER: 0
; COMPUTE_PGM_RSRC2:TGID_X_EN: 1
; COMPUTE_PGM_RSRC2:TGID_Y_EN: 0
; COMPUTE_PGM_RSRC2:TGID_Z_EN: 0
; COMPUTE_PGM_RSRC2:TIDIG_COMP_CNT: 2
	.section	.text._Z17sort_pairs_kernelI22helper_blocked_stripedN15benchmark_utils11custom_typeIiiEELj320ELj8ELj10EEvPKT0_PS4_,"axG",@progbits,_Z17sort_pairs_kernelI22helper_blocked_stripedN15benchmark_utils11custom_typeIiiEELj320ELj8ELj10EEvPKT0_PS4_,comdat
	.protected	_Z17sort_pairs_kernelI22helper_blocked_stripedN15benchmark_utils11custom_typeIiiEELj320ELj8ELj10EEvPKT0_PS4_ ; -- Begin function _Z17sort_pairs_kernelI22helper_blocked_stripedN15benchmark_utils11custom_typeIiiEELj320ELj8ELj10EEvPKT0_PS4_
	.globl	_Z17sort_pairs_kernelI22helper_blocked_stripedN15benchmark_utils11custom_typeIiiEELj320ELj8ELj10EEvPKT0_PS4_
	.p2align	8
	.type	_Z17sort_pairs_kernelI22helper_blocked_stripedN15benchmark_utils11custom_typeIiiEELj320ELj8ELj10EEvPKT0_PS4_,@function
_Z17sort_pairs_kernelI22helper_blocked_stripedN15benchmark_utils11custom_typeIiiEELj320ELj8ELj10EEvPKT0_PS4_: ; @_Z17sort_pairs_kernelI22helper_blocked_stripedN15benchmark_utils11custom_typeIiiEELj320ELj8ELj10EEvPKT0_PS4_
; %bb.0:
	s_load_dwordx4 s[36:39], s[4:5], 0x0
	s_load_dword s12, s[4:5], 0x1c
	s_mul_i32 s42, s6, 0xa00
	s_mov_b32 s43, 0
	s_lshl_b64 s[40:41], s[42:43], 3
	s_waitcnt lgkmcnt(0)
	s_add_u32 s0, s36, s40
	s_addc_u32 s1, s37, s41
	v_lshlrev_b32_e32 v19, 6, v0
	global_load_dwordx4 v[3:6], v19, s[0:1]
	global_load_dwordx4 v[7:10], v19, s[0:1] offset:16
	global_load_dwordx4 v[11:14], v19, s[0:1] offset:32
	;; [unrolled: 1-line block ×3, first 2 shown]
	s_lshr_b32 s13, s12, 16
	s_and_b32 s12, s12, 0xffff
	v_mad_u32_u24 v1, v2, s13, v1
	v_and_b32_e32 v36, 0x1c0, v0
	v_mad_u64_u32 v[1:2], s[12:13], v1, s12, v[0:1]
	v_mbcnt_lo_u32_b32 v19, -1, 0
	v_min_u32_e32 v2, 0x100, v36
	v_mbcnt_hi_u32_b32 v35, -1, v19
	v_or_b32_e32 v2, 63, v2
	s_movk_i32 s0, 0xe00
	v_lshlrev_b32_e32 v67, 3, v0
	v_add_u32_e32 v19, v35, v36
	v_cmp_eq_u32_e64 s[12:13], v0, v2
	v_subrev_co_u32_e64 v2, s[18:19], 1, v35
	v_and_b32_e32 v36, 64, v35
	v_and_or_b32 v20, v67, s0, v35
	v_cmp_lt_i32_e32 vcc, v2, v36
	v_and_b32_e32 v21, 15, v35
	v_and_b32_e32 v22, 16, v35
	v_lshlrev_b32_e32 v23, 1, v19
	v_lshrrev_b32_e32 v24, 2, v20
	v_lshlrev_b32_e32 v25, 3, v20
	v_add_u32_e32 v26, 64, v20
	v_or_b32_e32 v27, 0x80, v20
	v_add_u32_e32 v28, 0xc0, v20
	v_or_b32_e32 v29, 0x100, v20
	;; [unrolled: 2-line block ×3, first 2 shown]
	v_add_u32_e32 v20, 0x1c0, v20
	v_cndmask_b32_e32 v2, v2, v35, vcc
	v_lshlrev_b32_e32 v68, 4, v0
	v_cmp_eq_u32_e64 s[2:3], 0, v21
	v_cmp_lt_u32_e64 s[4:5], 1, v21
	v_cmp_lt_u32_e64 s[6:7], 3, v21
	;; [unrolled: 1-line block ×3, first 2 shown]
	v_cmp_eq_u32_e64 s[10:11], 0, v22
	v_and_b32_e32 v21, 0x7f8, v23
	v_and_b32_e32 v22, 0x398, v24
	v_lshrrev_b32_e32 v23, 2, v26
	v_lshrrev_b32_e32 v24, 2, v27
	;; [unrolled: 1-line block ×7, first 2 shown]
	v_lshlrev_b32_e32 v78, 2, v2
	v_lshrrev_b32_e32 v2, 4, v0
	v_lshrrev_b32_e32 v1, 4, v1
	v_lshl_add_u32 v69, v19, 6, v21
	v_add_u32_e32 v70, v22, v25
	v_and_b32_e32 v19, 0x3b8, v23
	v_and_b32_e32 v21, 0x3b8, v24
	;; [unrolled: 1-line block ×8, first 2 shown]
	v_mad_i32_i24 v80, v0, -12, v68
	v_and_b32_e32 v2, 7, v35
	v_and_b32_e32 v82, 0xffffffc, v1
	v_lshlrev_b32_e32 v1, 2, v0
	v_cmp_lt_u32_e64 s[0:1], 31, v35
	v_add_u32_e32 v71, v19, v25
	v_add_u32_e32 v72, v21, v25
	;; [unrolled: 1-line block ×7, first 2 shown]
	v_cmp_gt_u32_e64 s[14:15], 5, v0
	v_cmp_lt_u32_e64 s[16:17], 63, v0
	v_cmp_eq_u32_e64 s[20:21], 0, v0
	v_cmp_eq_u32_e64 s[22:23], 0, v2
	s_waitcnt vmcnt(3)
	v_add_u32_e32 v20, 1, v4
	v_add_u32_e32 v19, 1, v3
	v_add_u32_e32 v22, 1, v6
	v_add_u32_e32 v21, 1, v5
	s_waitcnt vmcnt(2)
	v_add_u32_e32 v24, 1, v8
	v_add_u32_e32 v23, 1, v7
	v_add_u32_e32 v26, 1, v10
	v_add_u32_e32 v25, 1, v9
	;; [unrolled: 5-line block ×4, first 2 shown]
	v_cmp_lt_u32_e64 s[24:25], 1, v2
	v_cmp_lt_u32_e64 s[26:27], 3, v2
	v_add_u32_e32 v81, -4, v79
	v_mov_b32_e32 v0, 0
	v_add_u32_e32 v83, v80, v1
	s_branch .LBB375_2
.LBB375_1:                              ;   in Loop: Header=BB375_2 Depth=1
	v_lshlrev_b32_e32 v51, 3, v89
	s_barrier
	ds_write_b64 v51, v[32:33]
	v_lshlrev_b32_e32 v32, 3, v88
	ds_write_b64 v32, v[30:31]
	v_lshlrev_b32_e32 v30, 3, v87
	;; [unrolled: 2-line block ×6, first 2 shown]
	v_lshlrev_b32_e32 v1, 3, v1
	ds_write_b64 v22, v[20:21]
	ds_write_b64 v1, v[18:19]
	s_waitcnt lgkmcnt(0)
	s_barrier
	ds_read2st64_b64 v[35:38], v83 offset1:5
	ds_read2st64_b64 v[39:42], v83 offset0:10 offset1:15
	ds_read2st64_b64 v[43:46], v83 offset0:20 offset1:25
	;; [unrolled: 1-line block ×3, first 2 shown]
	s_waitcnt lgkmcnt(0)
	s_barrier
	ds_write_b64 v51, v[16:17]
	ds_write_b64 v32, v[14:15]
	;; [unrolled: 1-line block ×8, first 2 shown]
	s_waitcnt lgkmcnt(0)
	s_barrier
	ds_read2st64_b64 v[19:22], v83 offset1:5
	ds_read2st64_b64 v[23:26], v83 offset0:10 offset1:15
	ds_read2st64_b64 v[27:30], v83 offset0:20 offset1:25
	;; [unrolled: 1-line block ×3, first 2 shown]
	s_add_i32 s43, s43, 1
	v_xor_b32_e32 v3, 0x80000000, v35
	v_xor_b32_e32 v4, 0x80000000, v36
	;; [unrolled: 1-line block ×15, first 2 shown]
	s_cmp_lg_u32 s43, 10
	v_xor_b32_e32 v18, 0x80000000, v50
	s_cbranch_scc0 .LBB375_28
.LBB375_2:                              ; =>This Loop Header: Depth=1
                                        ;     Child Loop BB375_4 Depth 2
	v_xor_b32_e32 v2, 0x80000000, v4
	v_xor_b32_e32 v1, 0x80000000, v3
	;; [unrolled: 1-line block ×16, first 2 shown]
	ds_write2_b64 v69, v[1:2], v[3:4] offset1:1
	ds_write2_b64 v69, v[5:6], v[7:8] offset0:2 offset1:3
	ds_write2_b64 v69, v[9:10], v[11:12] offset0:4 offset1:5
	;; [unrolled: 1-line block ×3, first 2 shown]
	; wave barrier
	ds_read_b64 v[35:36], v70
	ds_read_b64 v[37:38], v71 offset:512
	ds_read_b64 v[39:40], v72 offset:1024
	;; [unrolled: 1-line block ×7, first 2 shown]
	; wave barrier
	s_waitcnt lgkmcnt(14)
	ds_write2_b64 v69, v[19:20], v[21:22] offset1:1
	ds_write2_b64 v69, v[23:24], v[25:26] offset0:2 offset1:3
	s_waitcnt lgkmcnt(14)
	ds_write2_b64 v69, v[27:28], v[29:30] offset0:4 offset1:5
	ds_write2_b64 v69, v[31:32], v[33:34] offset0:6 offset1:7
	; wave barrier
	ds_read_b64 v[51:52], v70
	ds_read_b64 v[53:54], v71 offset:512
	ds_read_b64 v[55:56], v72 offset:1024
	;; [unrolled: 1-line block ×7, first 2 shown]
	s_mov_b32 s33, 8
	s_mov_b32 s36, 32
	;; [unrolled: 1-line block ×3, first 2 shown]
	s_waitcnt lgkmcnt(0)
	s_barrier
	s_branch .LBB375_4
.LBB375_3:                              ;   in Loop: Header=BB375_4 Depth=2
	s_andn2_b64 vcc, exec, s[28:29]
	s_cbranch_vccz .LBB375_1
.LBB375_4:                              ;   Parent Loop BB375_2 Depth=1
                                        ; =>  This Inner Loop Header: Depth=2
	s_min_i32 s30, s33, 32
	s_cmp_lt_u32 s37, 32
	s_cselect_b64 s[28:29], -1, 0
	s_cmp_gt_u32 s37, 31
	s_cselect_b64 vcc, -1, 0
	s_sub_i32 s30, s30, 32
	s_add_i32 s31, s30, s36
	s_lshl_b32 s31, -1, s31
	s_not_b32 s31, s31
	s_cmp_lg_u32 s30, s37
	s_cselect_b32 s44, s31, -1
	s_max_i32 s42, s36, 0
	s_max_i32 s30, s37, 32
	s_sub_i32 s45, s30, 32
	s_sub_i32 s30, s30, s42
	;; [unrolled: 1-line block ×3, first 2 shown]
	s_min_i32 s30, s30, 32
	s_sub_i32 s30, s30, s45
	s_lshl_b32 s31, -1, s30
	s_not_b32 s31, s31
	v_mov_b32_e32 v32, v35
	s_cmp_lg_u32 s30, 32
	v_mov_b32_e32 v33, v36
	s_cselect_b32 s46, s31, -1
	v_lshrrev_b32_e32 v34, s45, v32
	v_lshrrev_b32_e32 v1, s37, v33
	v_and_b32_e32 v34, s46, v34
	v_and_b32_e32 v1, s44, v1
	v_lshlrev_b32_e32 v34, s42, v34
	v_cndmask_b32_e64 v1, 0, v1, s[28:29]
	v_cndmask_b32_e32 v34, 0, v34, vcc
	v_or_b32_e32 v34, v1, v34
	v_and_b32_e32 v1, 1, v34
	v_mov_b32_e32 v30, v37
	v_add_co_u32_e64 v35, s[30:31], -1, v1
	v_mov_b32_e32 v31, v38
	v_addc_co_u32_e64 v37, s[30:31], 0, -1, s[30:31]
	v_cmp_ne_u32_e64 s[30:31], 0, v1
	v_xor_b32_e32 v1, s31, v37
	v_and_b32_e32 v37, exec_hi, v1
	v_lshlrev_b32_e32 v1, 30, v34
	v_xor_b32_e32 v35, s30, v35
	v_cmp_gt_i64_e64 s[30:31], 0, v[0:1]
	v_not_b32_e32 v1, v1
	v_ashrrev_i32_e32 v1, 31, v1
	v_and_b32_e32 v35, exec_lo, v35
	v_xor_b32_e32 v38, s31, v1
	v_xor_b32_e32 v1, s30, v1
	v_and_b32_e32 v35, v35, v1
	v_lshlrev_b32_e32 v1, 29, v34
	v_cmp_gt_i64_e64 s[30:31], 0, v[0:1]
	v_not_b32_e32 v1, v1
	v_ashrrev_i32_e32 v1, 31, v1
	v_and_b32_e32 v37, v37, v38
	v_xor_b32_e32 v38, s31, v1
	v_xor_b32_e32 v1, s30, v1
	v_and_b32_e32 v35, v35, v1
	v_lshlrev_b32_e32 v1, 28, v34
	v_cmp_gt_i64_e64 s[30:31], 0, v[0:1]
	v_not_b32_e32 v1, v1
	v_ashrrev_i32_e32 v1, 31, v1
	v_and_b32_e32 v37, v37, v38
	;; [unrolled: 8-line block ×5, first 2 shown]
	v_xor_b32_e32 v38, s31, v1
	v_xor_b32_e32 v1, s30, v1
	v_and_b32_e32 v37, v37, v38
	v_and_b32_e32 v38, v35, v1
	v_lshlrev_b32_e32 v1, 24, v34
	v_cmp_gt_i64_e64 s[30:31], 0, v[0:1]
	v_not_b32_e32 v1, v1
	v_ashrrev_i32_e32 v1, 31, v1
	v_mul_lo_u32 v36, v34, 20
	v_xor_b32_e32 v34, s31, v1
	v_xor_b32_e32 v1, s30, v1
	v_and_b32_e32 v35, v37, v34
	v_and_b32_e32 v34, v38, v1
	v_mbcnt_lo_u32_b32 v1, v34, 0
	v_mbcnt_hi_u32_b32 v38, v35, v1
	v_cmp_ne_u64_e64 s[30:31], 0, v[34:35]
	v_mov_b32_e32 v16, v51
	v_mov_b32_e32 v14, v53
	;; [unrolled: 1-line block ×14, first 2 shown]
	v_cmp_eq_u32_e64 s[34:35], 0, v38
	v_mov_b32_e32 v17, v52
	v_mov_b32_e32 v15, v54
	;; [unrolled: 1-line block ×14, first 2 shown]
	s_and_b64 s[34:35], s[34:35], s[30:31]
	v_add_u32_e32 v39, v82, v36
	ds_write2_b32 v68, v0, v0 offset0:5 offset1:6
	ds_write2_b32 v68, v0, v0 offset0:7 offset1:8
	s_waitcnt lgkmcnt(0)
	s_barrier
	; wave barrier
	s_and_saveexec_b64 s[30:31], s[34:35]
; %bb.5:                                ;   in Loop: Header=BB375_4 Depth=2
	v_bcnt_u32_b32 v1, v34, 0
	v_bcnt_u32_b32 v1, v35, v1
	ds_write_b32 v39, v1 offset:20
; %bb.6:                                ;   in Loop: Header=BB375_4 Depth=2
	s_or_b64 exec, exec, s[30:31]
	v_lshrrev_b32_e32 v34, s45, v30
	v_lshrrev_b32_e32 v1, s37, v31
	v_and_b32_e32 v34, s46, v34
	v_and_b32_e32 v1, s44, v1
	v_lshlrev_b32_e32 v34, s42, v34
	v_cndmask_b32_e64 v1, 0, v1, s[28:29]
	v_cndmask_b32_e32 v34, 0, v34, vcc
	v_or_b32_e32 v34, v1, v34
	v_mul_lo_u32 v1, v34, 20
	; wave barrier
	v_add_u32_e32 v41, v82, v1
	v_and_b32_e32 v1, 1, v34
	v_add_co_u32_e64 v35, s[30:31], -1, v1
	v_addc_co_u32_e64 v36, s[30:31], 0, -1, s[30:31]
	v_cmp_ne_u32_e64 s[30:31], 0, v1
	v_xor_b32_e32 v1, s31, v36
	v_and_b32_e32 v36, exec_hi, v1
	v_lshlrev_b32_e32 v1, 30, v34
	v_xor_b32_e32 v35, s30, v35
	v_cmp_gt_i64_e64 s[30:31], 0, v[0:1]
	v_not_b32_e32 v1, v1
	v_ashrrev_i32_e32 v1, 31, v1
	v_and_b32_e32 v35, exec_lo, v35
	v_xor_b32_e32 v37, s31, v1
	v_xor_b32_e32 v1, s30, v1
	v_and_b32_e32 v35, v35, v1
	v_lshlrev_b32_e32 v1, 29, v34
	v_cmp_gt_i64_e64 s[30:31], 0, v[0:1]
	v_not_b32_e32 v1, v1
	v_ashrrev_i32_e32 v1, 31, v1
	v_and_b32_e32 v36, v36, v37
	v_xor_b32_e32 v37, s31, v1
	v_xor_b32_e32 v1, s30, v1
	v_and_b32_e32 v35, v35, v1
	v_lshlrev_b32_e32 v1, 28, v34
	v_cmp_gt_i64_e64 s[30:31], 0, v[0:1]
	v_not_b32_e32 v1, v1
	v_ashrrev_i32_e32 v1, 31, v1
	v_and_b32_e32 v36, v36, v37
	;; [unrolled: 8-line block ×5, first 2 shown]
	v_xor_b32_e32 v37, s31, v1
	v_xor_b32_e32 v1, s30, v1
	v_and_b32_e32 v36, v36, v37
	v_and_b32_e32 v37, v35, v1
	v_lshlrev_b32_e32 v1, 24, v34
	v_cmp_gt_i64_e64 s[30:31], 0, v[0:1]
	v_not_b32_e32 v1, v1
	v_ashrrev_i32_e32 v1, 31, v1
	v_xor_b32_e32 v34, s31, v1
	v_xor_b32_e32 v1, s30, v1
	ds_read_b32 v40, v41 offset:20
	v_and_b32_e32 v35, v36, v34
	v_and_b32_e32 v34, v37, v1
	v_mbcnt_lo_u32_b32 v1, v34, 0
	v_mbcnt_hi_u32_b32 v42, v35, v1
	v_cmp_ne_u64_e64 s[30:31], 0, v[34:35]
	v_cmp_eq_u32_e64 s[34:35], 0, v42
	s_and_b64 s[34:35], s[34:35], s[30:31]
	; wave barrier
	s_and_saveexec_b64 s[30:31], s[34:35]
	s_cbranch_execz .LBB375_8
; %bb.7:                                ;   in Loop: Header=BB375_4 Depth=2
	v_bcnt_u32_b32 v1, v34, 0
	v_bcnt_u32_b32 v1, v35, v1
	s_waitcnt lgkmcnt(0)
	v_add_u32_e32 v1, v40, v1
	ds_write_b32 v41, v1 offset:20
.LBB375_8:                              ;   in Loop: Header=BB375_4 Depth=2
	s_or_b64 exec, exec, s[30:31]
	v_lshrrev_b32_e32 v34, s45, v28
	v_lshrrev_b32_e32 v1, s37, v29
	v_and_b32_e32 v34, s46, v34
	v_and_b32_e32 v1, s44, v1
	v_lshlrev_b32_e32 v34, s42, v34
	v_cndmask_b32_e64 v1, 0, v1, s[28:29]
	v_cndmask_b32_e32 v34, 0, v34, vcc
	v_or_b32_e32 v34, v1, v34
	v_mul_lo_u32 v1, v34, 20
	; wave barrier
	v_add_u32_e32 v44, v82, v1
	v_and_b32_e32 v1, 1, v34
	v_add_co_u32_e64 v35, s[30:31], -1, v1
	v_addc_co_u32_e64 v36, s[30:31], 0, -1, s[30:31]
	v_cmp_ne_u32_e64 s[30:31], 0, v1
	v_xor_b32_e32 v1, s31, v36
	v_and_b32_e32 v36, exec_hi, v1
	v_lshlrev_b32_e32 v1, 30, v34
	v_xor_b32_e32 v35, s30, v35
	v_cmp_gt_i64_e64 s[30:31], 0, v[0:1]
	v_not_b32_e32 v1, v1
	v_ashrrev_i32_e32 v1, 31, v1
	v_and_b32_e32 v35, exec_lo, v35
	v_xor_b32_e32 v37, s31, v1
	v_xor_b32_e32 v1, s30, v1
	v_and_b32_e32 v35, v35, v1
	v_lshlrev_b32_e32 v1, 29, v34
	v_cmp_gt_i64_e64 s[30:31], 0, v[0:1]
	v_not_b32_e32 v1, v1
	v_ashrrev_i32_e32 v1, 31, v1
	v_and_b32_e32 v36, v36, v37
	v_xor_b32_e32 v37, s31, v1
	v_xor_b32_e32 v1, s30, v1
	v_and_b32_e32 v35, v35, v1
	v_lshlrev_b32_e32 v1, 28, v34
	v_cmp_gt_i64_e64 s[30:31], 0, v[0:1]
	v_not_b32_e32 v1, v1
	v_ashrrev_i32_e32 v1, 31, v1
	v_and_b32_e32 v36, v36, v37
	;; [unrolled: 8-line block ×5, first 2 shown]
	v_xor_b32_e32 v37, s31, v1
	v_xor_b32_e32 v1, s30, v1
	v_and_b32_e32 v36, v36, v37
	v_and_b32_e32 v37, v35, v1
	v_lshlrev_b32_e32 v1, 24, v34
	v_cmp_gt_i64_e64 s[30:31], 0, v[0:1]
	v_not_b32_e32 v1, v1
	v_ashrrev_i32_e32 v1, 31, v1
	v_xor_b32_e32 v34, s31, v1
	v_xor_b32_e32 v1, s30, v1
	ds_read_b32 v43, v44 offset:20
	v_and_b32_e32 v35, v36, v34
	v_and_b32_e32 v34, v37, v1
	v_mbcnt_lo_u32_b32 v1, v34, 0
	v_mbcnt_hi_u32_b32 v45, v35, v1
	v_cmp_ne_u64_e64 s[30:31], 0, v[34:35]
	v_cmp_eq_u32_e64 s[34:35], 0, v45
	s_and_b64 s[34:35], s[34:35], s[30:31]
	; wave barrier
	s_and_saveexec_b64 s[30:31], s[34:35]
	s_cbranch_execz .LBB375_10
; %bb.9:                                ;   in Loop: Header=BB375_4 Depth=2
	v_bcnt_u32_b32 v1, v34, 0
	v_bcnt_u32_b32 v1, v35, v1
	s_waitcnt lgkmcnt(0)
	v_add_u32_e32 v1, v43, v1
	ds_write_b32 v44, v1 offset:20
.LBB375_10:                             ;   in Loop: Header=BB375_4 Depth=2
	s_or_b64 exec, exec, s[30:31]
	v_lshrrev_b32_e32 v34, s45, v26
	v_lshrrev_b32_e32 v1, s37, v27
	v_and_b32_e32 v34, s46, v34
	v_and_b32_e32 v1, s44, v1
	v_lshlrev_b32_e32 v34, s42, v34
	v_cndmask_b32_e64 v1, 0, v1, s[28:29]
	v_cndmask_b32_e32 v34, 0, v34, vcc
	v_or_b32_e32 v34, v1, v34
	v_mul_lo_u32 v1, v34, 20
	; wave barrier
	v_add_u32_e32 v47, v82, v1
	v_and_b32_e32 v1, 1, v34
	v_add_co_u32_e64 v35, s[30:31], -1, v1
	v_addc_co_u32_e64 v36, s[30:31], 0, -1, s[30:31]
	v_cmp_ne_u32_e64 s[30:31], 0, v1
	v_xor_b32_e32 v1, s31, v36
	v_and_b32_e32 v36, exec_hi, v1
	v_lshlrev_b32_e32 v1, 30, v34
	v_xor_b32_e32 v35, s30, v35
	v_cmp_gt_i64_e64 s[30:31], 0, v[0:1]
	v_not_b32_e32 v1, v1
	v_ashrrev_i32_e32 v1, 31, v1
	v_and_b32_e32 v35, exec_lo, v35
	v_xor_b32_e32 v37, s31, v1
	v_xor_b32_e32 v1, s30, v1
	v_and_b32_e32 v35, v35, v1
	v_lshlrev_b32_e32 v1, 29, v34
	v_cmp_gt_i64_e64 s[30:31], 0, v[0:1]
	v_not_b32_e32 v1, v1
	v_ashrrev_i32_e32 v1, 31, v1
	v_and_b32_e32 v36, v36, v37
	v_xor_b32_e32 v37, s31, v1
	v_xor_b32_e32 v1, s30, v1
	v_and_b32_e32 v35, v35, v1
	v_lshlrev_b32_e32 v1, 28, v34
	v_cmp_gt_i64_e64 s[30:31], 0, v[0:1]
	v_not_b32_e32 v1, v1
	v_ashrrev_i32_e32 v1, 31, v1
	v_and_b32_e32 v36, v36, v37
	;; [unrolled: 8-line block ×5, first 2 shown]
	v_xor_b32_e32 v37, s31, v1
	v_xor_b32_e32 v1, s30, v1
	v_and_b32_e32 v36, v36, v37
	v_and_b32_e32 v37, v35, v1
	v_lshlrev_b32_e32 v1, 24, v34
	v_cmp_gt_i64_e64 s[30:31], 0, v[0:1]
	v_not_b32_e32 v1, v1
	v_ashrrev_i32_e32 v1, 31, v1
	v_xor_b32_e32 v34, s31, v1
	v_xor_b32_e32 v1, s30, v1
	ds_read_b32 v46, v47 offset:20
	v_and_b32_e32 v35, v36, v34
	v_and_b32_e32 v34, v37, v1
	v_mbcnt_lo_u32_b32 v1, v34, 0
	v_mbcnt_hi_u32_b32 v48, v35, v1
	v_cmp_ne_u64_e64 s[30:31], 0, v[34:35]
	v_cmp_eq_u32_e64 s[34:35], 0, v48
	s_and_b64 s[34:35], s[34:35], s[30:31]
	; wave barrier
	s_and_saveexec_b64 s[30:31], s[34:35]
	s_cbranch_execz .LBB375_12
; %bb.11:                               ;   in Loop: Header=BB375_4 Depth=2
	v_bcnt_u32_b32 v1, v34, 0
	v_bcnt_u32_b32 v1, v35, v1
	s_waitcnt lgkmcnt(0)
	v_add_u32_e32 v1, v46, v1
	ds_write_b32 v47, v1 offset:20
.LBB375_12:                             ;   in Loop: Header=BB375_4 Depth=2
	s_or_b64 exec, exec, s[30:31]
	v_lshrrev_b32_e32 v34, s45, v24
	v_lshrrev_b32_e32 v1, s37, v25
	v_and_b32_e32 v34, s46, v34
	v_and_b32_e32 v1, s44, v1
	v_lshlrev_b32_e32 v34, s42, v34
	v_cndmask_b32_e64 v1, 0, v1, s[28:29]
	v_cndmask_b32_e32 v34, 0, v34, vcc
	v_or_b32_e32 v34, v1, v34
	v_mul_lo_u32 v1, v34, 20
	; wave barrier
	v_add_u32_e32 v50, v82, v1
	v_and_b32_e32 v1, 1, v34
	v_add_co_u32_e64 v35, s[30:31], -1, v1
	v_addc_co_u32_e64 v36, s[30:31], 0, -1, s[30:31]
	v_cmp_ne_u32_e64 s[30:31], 0, v1
	v_xor_b32_e32 v1, s31, v36
	v_and_b32_e32 v36, exec_hi, v1
	v_lshlrev_b32_e32 v1, 30, v34
	v_xor_b32_e32 v35, s30, v35
	v_cmp_gt_i64_e64 s[30:31], 0, v[0:1]
	v_not_b32_e32 v1, v1
	v_ashrrev_i32_e32 v1, 31, v1
	v_and_b32_e32 v35, exec_lo, v35
	v_xor_b32_e32 v37, s31, v1
	v_xor_b32_e32 v1, s30, v1
	v_and_b32_e32 v35, v35, v1
	v_lshlrev_b32_e32 v1, 29, v34
	v_cmp_gt_i64_e64 s[30:31], 0, v[0:1]
	v_not_b32_e32 v1, v1
	v_ashrrev_i32_e32 v1, 31, v1
	v_and_b32_e32 v36, v36, v37
	v_xor_b32_e32 v37, s31, v1
	v_xor_b32_e32 v1, s30, v1
	v_and_b32_e32 v35, v35, v1
	v_lshlrev_b32_e32 v1, 28, v34
	v_cmp_gt_i64_e64 s[30:31], 0, v[0:1]
	v_not_b32_e32 v1, v1
	v_ashrrev_i32_e32 v1, 31, v1
	v_and_b32_e32 v36, v36, v37
	;; [unrolled: 8-line block ×5, first 2 shown]
	v_xor_b32_e32 v37, s31, v1
	v_xor_b32_e32 v1, s30, v1
	v_and_b32_e32 v36, v36, v37
	v_and_b32_e32 v37, v35, v1
	v_lshlrev_b32_e32 v1, 24, v34
	v_cmp_gt_i64_e64 s[30:31], 0, v[0:1]
	v_not_b32_e32 v1, v1
	v_ashrrev_i32_e32 v1, 31, v1
	v_xor_b32_e32 v34, s31, v1
	v_xor_b32_e32 v1, s30, v1
	ds_read_b32 v49, v50 offset:20
	v_and_b32_e32 v35, v36, v34
	v_and_b32_e32 v34, v37, v1
	v_mbcnt_lo_u32_b32 v1, v34, 0
	v_mbcnt_hi_u32_b32 v51, v35, v1
	v_cmp_ne_u64_e64 s[30:31], 0, v[34:35]
	v_cmp_eq_u32_e64 s[34:35], 0, v51
	s_and_b64 s[34:35], s[34:35], s[30:31]
	; wave barrier
	s_and_saveexec_b64 s[30:31], s[34:35]
	s_cbranch_execz .LBB375_14
; %bb.13:                               ;   in Loop: Header=BB375_4 Depth=2
	v_bcnt_u32_b32 v1, v34, 0
	v_bcnt_u32_b32 v1, v35, v1
	s_waitcnt lgkmcnt(0)
	v_add_u32_e32 v1, v49, v1
	ds_write_b32 v50, v1 offset:20
.LBB375_14:                             ;   in Loop: Header=BB375_4 Depth=2
	s_or_b64 exec, exec, s[30:31]
	v_lshrrev_b32_e32 v34, s45, v22
	v_lshrrev_b32_e32 v1, s37, v23
	v_and_b32_e32 v34, s46, v34
	v_and_b32_e32 v1, s44, v1
	v_lshlrev_b32_e32 v34, s42, v34
	v_cndmask_b32_e64 v1, 0, v1, s[28:29]
	v_cndmask_b32_e32 v34, 0, v34, vcc
	v_or_b32_e32 v34, v1, v34
	v_mul_lo_u32 v1, v34, 20
	; wave barrier
	v_add_u32_e32 v53, v82, v1
	v_and_b32_e32 v1, 1, v34
	v_add_co_u32_e64 v35, s[30:31], -1, v1
	v_addc_co_u32_e64 v36, s[30:31], 0, -1, s[30:31]
	v_cmp_ne_u32_e64 s[30:31], 0, v1
	v_xor_b32_e32 v1, s31, v36
	v_and_b32_e32 v36, exec_hi, v1
	v_lshlrev_b32_e32 v1, 30, v34
	v_xor_b32_e32 v35, s30, v35
	v_cmp_gt_i64_e64 s[30:31], 0, v[0:1]
	v_not_b32_e32 v1, v1
	v_ashrrev_i32_e32 v1, 31, v1
	v_and_b32_e32 v35, exec_lo, v35
	v_xor_b32_e32 v37, s31, v1
	v_xor_b32_e32 v1, s30, v1
	v_and_b32_e32 v35, v35, v1
	v_lshlrev_b32_e32 v1, 29, v34
	v_cmp_gt_i64_e64 s[30:31], 0, v[0:1]
	v_not_b32_e32 v1, v1
	v_ashrrev_i32_e32 v1, 31, v1
	v_and_b32_e32 v36, v36, v37
	v_xor_b32_e32 v37, s31, v1
	v_xor_b32_e32 v1, s30, v1
	v_and_b32_e32 v35, v35, v1
	v_lshlrev_b32_e32 v1, 28, v34
	v_cmp_gt_i64_e64 s[30:31], 0, v[0:1]
	v_not_b32_e32 v1, v1
	v_ashrrev_i32_e32 v1, 31, v1
	v_and_b32_e32 v36, v36, v37
	;; [unrolled: 8-line block ×5, first 2 shown]
	v_xor_b32_e32 v37, s31, v1
	v_xor_b32_e32 v1, s30, v1
	v_and_b32_e32 v36, v36, v37
	v_and_b32_e32 v37, v35, v1
	v_lshlrev_b32_e32 v1, 24, v34
	v_cmp_gt_i64_e64 s[30:31], 0, v[0:1]
	v_not_b32_e32 v1, v1
	v_ashrrev_i32_e32 v1, 31, v1
	v_xor_b32_e32 v34, s31, v1
	v_xor_b32_e32 v1, s30, v1
	ds_read_b32 v52, v53 offset:20
	v_and_b32_e32 v35, v36, v34
	v_and_b32_e32 v34, v37, v1
	v_mbcnt_lo_u32_b32 v1, v34, 0
	v_mbcnt_hi_u32_b32 v54, v35, v1
	v_cmp_ne_u64_e64 s[30:31], 0, v[34:35]
	v_cmp_eq_u32_e64 s[34:35], 0, v54
	s_and_b64 s[34:35], s[34:35], s[30:31]
	; wave barrier
	s_and_saveexec_b64 s[30:31], s[34:35]
	s_cbranch_execz .LBB375_16
; %bb.15:                               ;   in Loop: Header=BB375_4 Depth=2
	v_bcnt_u32_b32 v1, v34, 0
	v_bcnt_u32_b32 v1, v35, v1
	s_waitcnt lgkmcnt(0)
	v_add_u32_e32 v1, v52, v1
	ds_write_b32 v53, v1 offset:20
.LBB375_16:                             ;   in Loop: Header=BB375_4 Depth=2
	s_or_b64 exec, exec, s[30:31]
	v_lshrrev_b32_e32 v34, s45, v20
	v_lshrrev_b32_e32 v1, s37, v21
	v_and_b32_e32 v34, s46, v34
	v_and_b32_e32 v1, s44, v1
	v_lshlrev_b32_e32 v34, s42, v34
	v_cndmask_b32_e64 v1, 0, v1, s[28:29]
	v_cndmask_b32_e32 v34, 0, v34, vcc
	v_or_b32_e32 v34, v1, v34
	v_mul_lo_u32 v1, v34, 20
	; wave barrier
	v_add_u32_e32 v56, v82, v1
	v_and_b32_e32 v1, 1, v34
	v_add_co_u32_e64 v35, s[30:31], -1, v1
	v_addc_co_u32_e64 v36, s[30:31], 0, -1, s[30:31]
	v_cmp_ne_u32_e64 s[30:31], 0, v1
	v_xor_b32_e32 v1, s31, v36
	v_and_b32_e32 v36, exec_hi, v1
	v_lshlrev_b32_e32 v1, 30, v34
	v_xor_b32_e32 v35, s30, v35
	v_cmp_gt_i64_e64 s[30:31], 0, v[0:1]
	v_not_b32_e32 v1, v1
	v_ashrrev_i32_e32 v1, 31, v1
	v_and_b32_e32 v35, exec_lo, v35
	v_xor_b32_e32 v37, s31, v1
	v_xor_b32_e32 v1, s30, v1
	v_and_b32_e32 v35, v35, v1
	v_lshlrev_b32_e32 v1, 29, v34
	v_cmp_gt_i64_e64 s[30:31], 0, v[0:1]
	v_not_b32_e32 v1, v1
	v_ashrrev_i32_e32 v1, 31, v1
	v_and_b32_e32 v36, v36, v37
	v_xor_b32_e32 v37, s31, v1
	v_xor_b32_e32 v1, s30, v1
	v_and_b32_e32 v35, v35, v1
	v_lshlrev_b32_e32 v1, 28, v34
	v_cmp_gt_i64_e64 s[30:31], 0, v[0:1]
	v_not_b32_e32 v1, v1
	v_ashrrev_i32_e32 v1, 31, v1
	v_and_b32_e32 v36, v36, v37
	;; [unrolled: 8-line block ×5, first 2 shown]
	v_xor_b32_e32 v37, s31, v1
	v_xor_b32_e32 v1, s30, v1
	v_and_b32_e32 v36, v36, v37
	v_and_b32_e32 v37, v35, v1
	v_lshlrev_b32_e32 v1, 24, v34
	v_cmp_gt_i64_e64 s[30:31], 0, v[0:1]
	v_not_b32_e32 v1, v1
	v_ashrrev_i32_e32 v1, 31, v1
	v_xor_b32_e32 v34, s31, v1
	v_xor_b32_e32 v1, s30, v1
	ds_read_b32 v55, v56 offset:20
	v_and_b32_e32 v35, v36, v34
	v_and_b32_e32 v34, v37, v1
	v_mbcnt_lo_u32_b32 v1, v34, 0
	v_mbcnt_hi_u32_b32 v57, v35, v1
	v_cmp_ne_u64_e64 s[30:31], 0, v[34:35]
	v_cmp_eq_u32_e64 s[34:35], 0, v57
	s_and_b64 s[34:35], s[34:35], s[30:31]
	; wave barrier
	s_and_saveexec_b64 s[30:31], s[34:35]
	s_cbranch_execz .LBB375_18
; %bb.17:                               ;   in Loop: Header=BB375_4 Depth=2
	v_bcnt_u32_b32 v1, v34, 0
	v_bcnt_u32_b32 v1, v35, v1
	s_waitcnt lgkmcnt(0)
	v_add_u32_e32 v1, v55, v1
	ds_write_b32 v56, v1 offset:20
.LBB375_18:                             ;   in Loop: Header=BB375_4 Depth=2
	s_or_b64 exec, exec, s[30:31]
	v_lshrrev_b32_e32 v34, s45, v18
	v_lshrrev_b32_e32 v1, s37, v19
	v_and_b32_e32 v34, s46, v34
	v_and_b32_e32 v1, s44, v1
	v_lshlrev_b32_e32 v34, s42, v34
	v_cndmask_b32_e64 v1, 0, v1, s[28:29]
	v_cndmask_b32_e32 v34, 0, v34, vcc
	v_or_b32_e32 v34, v1, v34
	v_mul_lo_u32 v1, v34, 20
	; wave barrier
	v_add_u32_e32 v59, v82, v1
	v_and_b32_e32 v1, 1, v34
	v_add_co_u32_e32 v35, vcc, -1, v1
	v_addc_co_u32_e64 v36, s[28:29], 0, -1, vcc
	v_cmp_ne_u32_e32 vcc, 0, v1
	v_xor_b32_e32 v1, vcc_hi, v36
	v_and_b32_e32 v36, exec_hi, v1
	v_lshlrev_b32_e32 v1, 30, v34
	v_xor_b32_e32 v35, vcc_lo, v35
	v_cmp_gt_i64_e32 vcc, 0, v[0:1]
	v_not_b32_e32 v1, v1
	v_ashrrev_i32_e32 v1, 31, v1
	v_and_b32_e32 v35, exec_lo, v35
	v_xor_b32_e32 v37, vcc_hi, v1
	v_xor_b32_e32 v1, vcc_lo, v1
	v_and_b32_e32 v35, v35, v1
	v_lshlrev_b32_e32 v1, 29, v34
	v_cmp_gt_i64_e32 vcc, 0, v[0:1]
	v_not_b32_e32 v1, v1
	v_ashrrev_i32_e32 v1, 31, v1
	v_and_b32_e32 v36, v36, v37
	v_xor_b32_e32 v37, vcc_hi, v1
	v_xor_b32_e32 v1, vcc_lo, v1
	v_and_b32_e32 v35, v35, v1
	v_lshlrev_b32_e32 v1, 28, v34
	v_cmp_gt_i64_e32 vcc, 0, v[0:1]
	v_not_b32_e32 v1, v1
	v_ashrrev_i32_e32 v1, 31, v1
	v_and_b32_e32 v36, v36, v37
	;; [unrolled: 8-line block ×5, first 2 shown]
	v_xor_b32_e32 v37, vcc_hi, v1
	v_xor_b32_e32 v1, vcc_lo, v1
	v_and_b32_e32 v36, v36, v37
	v_and_b32_e32 v37, v35, v1
	v_lshlrev_b32_e32 v1, 24, v34
	v_cmp_gt_i64_e32 vcc, 0, v[0:1]
	v_not_b32_e32 v1, v1
	v_ashrrev_i32_e32 v1, 31, v1
	v_xor_b32_e32 v34, vcc_hi, v1
	v_xor_b32_e32 v1, vcc_lo, v1
	ds_read_b32 v58, v59 offset:20
	v_and_b32_e32 v35, v36, v34
	v_and_b32_e32 v34, v37, v1
	v_mbcnt_lo_u32_b32 v1, v34, 0
	v_mbcnt_hi_u32_b32 v1, v35, v1
	v_cmp_ne_u64_e32 vcc, 0, v[34:35]
	v_cmp_eq_u32_e64 s[28:29], 0, v1
	s_and_b64 s[30:31], s[28:29], vcc
	; wave barrier
	s_and_saveexec_b64 s[28:29], s[30:31]
	s_cbranch_execz .LBB375_20
; %bb.19:                               ;   in Loop: Header=BB375_4 Depth=2
	v_bcnt_u32_b32 v34, v34, 0
	v_bcnt_u32_b32 v34, v35, v34
	s_waitcnt lgkmcnt(0)
	v_add_u32_e32 v34, v58, v34
	ds_write_b32 v59, v34 offset:20
.LBB375_20:                             ;   in Loop: Header=BB375_4 Depth=2
	s_or_b64 exec, exec, s[28:29]
	; wave barrier
	s_waitcnt lgkmcnt(0)
	s_barrier
	ds_read2_b32 v[36:37], v68 offset0:5 offset1:6
	ds_read2_b32 v[34:35], v68 offset0:7 offset1:8
	s_waitcnt lgkmcnt(1)
	v_add_u32_e32 v60, v37, v36
	s_waitcnt lgkmcnt(0)
	v_add3_u32 v35, v60, v34, v35
	s_nop 1
	v_mov_b32_dpp v60, v35 row_shr:1 row_mask:0xf bank_mask:0xf
	v_cndmask_b32_e64 v60, v60, 0, s[2:3]
	v_add_u32_e32 v35, v60, v35
	s_nop 1
	v_mov_b32_dpp v60, v35 row_shr:2 row_mask:0xf bank_mask:0xf
	v_cndmask_b32_e64 v60, 0, v60, s[4:5]
	v_add_u32_e32 v35, v35, v60
	;; [unrolled: 4-line block ×4, first 2 shown]
	s_nop 1
	v_mov_b32_dpp v60, v35 row_bcast:15 row_mask:0xf bank_mask:0xf
	v_cndmask_b32_e64 v60, v60, 0, s[10:11]
	v_add_u32_e32 v35, v35, v60
	s_nop 1
	v_mov_b32_dpp v60, v35 row_bcast:31 row_mask:0xf bank_mask:0xf
	v_cndmask_b32_e64 v60, 0, v60, s[0:1]
	v_add_u32_e32 v35, v35, v60
	s_and_saveexec_b64 s[28:29], s[12:13]
; %bb.21:                               ;   in Loop: Header=BB375_4 Depth=2
	ds_write_b32 v79, v35
; %bb.22:                               ;   in Loop: Header=BB375_4 Depth=2
	s_or_b64 exec, exec, s[28:29]
	s_waitcnt lgkmcnt(0)
	s_barrier
	s_and_saveexec_b64 s[28:29], s[14:15]
	s_cbranch_execz .LBB375_24
; %bb.23:                               ;   in Loop: Header=BB375_4 Depth=2
	ds_read_b32 v60, v80
	s_waitcnt lgkmcnt(0)
	s_nop 0
	v_mov_b32_dpp v61, v60 row_shr:1 row_mask:0xf bank_mask:0xf
	v_cndmask_b32_e64 v61, v61, 0, s[22:23]
	v_add_u32_e32 v60, v61, v60
	s_nop 1
	v_mov_b32_dpp v61, v60 row_shr:2 row_mask:0xf bank_mask:0xf
	v_cndmask_b32_e64 v61, 0, v61, s[24:25]
	v_add_u32_e32 v60, v60, v61
	s_nop 1
	v_mov_b32_dpp v61, v60 row_shr:4 row_mask:0xf bank_mask:0xf
	v_cndmask_b32_e64 v61, 0, v61, s[26:27]
	v_add_u32_e32 v60, v60, v61
	ds_write_b32 v80, v60
.LBB375_24:                             ;   in Loop: Header=BB375_4 Depth=2
	s_or_b64 exec, exec, s[28:29]
	v_mov_b32_e32 v60, 0
	s_waitcnt lgkmcnt(0)
	s_barrier
	s_and_saveexec_b64 s[28:29], s[16:17]
; %bb.25:                               ;   in Loop: Header=BB375_4 Depth=2
	ds_read_b32 v60, v81
; %bb.26:                               ;   in Loop: Header=BB375_4 Depth=2
	s_or_b64 exec, exec, s[28:29]
	s_waitcnt lgkmcnt(0)
	v_add_u32_e32 v35, v60, v35
	ds_bpermute_b32 v35, v78, v35
	s_cmp_gt_u32 s37, 55
	s_mov_b64 s[28:29], -1
                                        ; implicit-def: $vgpr61_vgpr62
                                        ; implicit-def: $vgpr63_vgpr64
                                        ; implicit-def: $vgpr65_vgpr66
	s_waitcnt lgkmcnt(0)
	v_cndmask_b32_e64 v35, v35, v60, s[18:19]
	v_cndmask_b32_e64 v35, v35, 0, s[20:21]
	v_add_u32_e32 v36, v35, v36
	v_add_u32_e32 v37, v36, v37
	;; [unrolled: 1-line block ×3, first 2 shown]
	ds_write2_b32 v68, v35, v36 offset0:5 offset1:6
	ds_write2_b32 v68, v37, v34 offset0:7 offset1:8
	s_waitcnt lgkmcnt(0)
	s_barrier
	ds_read_b32 v34, v39 offset:20
	ds_read_b32 v35, v41 offset:20
	;; [unrolled: 1-line block ×8, first 2 shown]
	s_waitcnt lgkmcnt(7)
	v_add_u32_e32 v89, v34, v38
	s_waitcnt lgkmcnt(6)
	v_add3_u32 v88, v42, v40, v35
	s_waitcnt lgkmcnt(5)
	v_add3_u32 v87, v45, v43, v36
	;; [unrolled: 2-line block ×7, first 2 shown]
                                        ; implicit-def: $vgpr51_vgpr52
                                        ; implicit-def: $vgpr53_vgpr54
                                        ; implicit-def: $vgpr55_vgpr56
                                        ; implicit-def: $vgpr57_vgpr58
                                        ; implicit-def: $vgpr59_vgpr60
                                        ; implicit-def: $vgpr35_vgpr36
                                        ; implicit-def: $vgpr37_vgpr38
                                        ; implicit-def: $vgpr39_vgpr40
                                        ; implicit-def: $vgpr41_vgpr42
                                        ; implicit-def: $vgpr43_vgpr44
                                        ; implicit-def: $vgpr45_vgpr46
                                        ; implicit-def: $vgpr47_vgpr48
                                        ; implicit-def: $vgpr49_vgpr50
	s_cbranch_scc1 .LBB375_3
; %bb.27:                               ;   in Loop: Header=BB375_4 Depth=2
	v_lshrrev_b32_e32 v35, 2, v89
	v_and_b32_e32 v35, 0x3ffffff8, v35
	v_lshl_add_u32 v51, v89, 3, v35
	v_lshrrev_b32_e32 v35, 2, v88
	v_and_b32_e32 v35, 0x3ffffff8, v35
	v_lshl_add_u32 v52, v88, 3, v35
	;; [unrolled: 3-line block ×8, first 2 shown]
	s_barrier
	ds_write_b64 v51, v[32:33]
	ds_write_b64 v52, v[30:31]
	;; [unrolled: 1-line block ×8, first 2 shown]
	s_waitcnt lgkmcnt(0)
	s_barrier
	ds_read_b64 v[35:36], v70
	ds_read_b64 v[37:38], v71 offset:512
	ds_read_b64 v[39:40], v72 offset:1024
	;; [unrolled: 1-line block ×7, first 2 shown]
	s_waitcnt lgkmcnt(0)
	s_barrier
	ds_write_b64 v51, v[16:17]
	ds_write_b64 v52, v[14:15]
	;; [unrolled: 1-line block ×8, first 2 shown]
	s_waitcnt lgkmcnt(0)
	s_barrier
	ds_read_b64 v[51:52], v70
	ds_read_b64 v[53:54], v71 offset:512
	ds_read_b64 v[55:56], v72 offset:1024
	;; [unrolled: 1-line block ×7, first 2 shown]
	s_add_i32 s36, s36, -8
	s_add_i32 s33, s33, 8
	s_add_i32 s37, s37, 8
	s_mov_b64 s[28:29], 0
	s_waitcnt lgkmcnt(0)
	s_barrier
	s_branch .LBB375_3
.LBB375_28:
	s_add_u32 s0, s38, s40
	s_addc_u32 s1, s39, s41
	s_waitcnt lgkmcnt(3)
	v_add_u32_e32 v0, v3, v19
	v_add_u32_e32 v1, v4, v20
	v_add_u32_e32 v2, v5, v21
	s_waitcnt lgkmcnt(2)
	v_add_u32_e32 v4, v7, v23
	v_add_u32_e32 v5, v8, v24
	v_add_u32_e32 v7, v10, v26
	;; [unrolled: 4-line block ×3, first 2 shown]
	s_waitcnt lgkmcnt(0)
	v_add_u32_e32 v13, v16, v32
	v_add_u32_e32 v14, v17, v33
	v_mov_b32_e32 v16, s1
	v_add_co_u32_e32 v17, vcc, s0, v67
	v_add_u32_e32 v3, v6, v22
	v_addc_co_u32_e32 v16, vcc, 0, v16, vcc
	global_store_dwordx2 v67, v[0:1], s[0:1]
	global_store_dwordx2 v67, v[2:3], s[0:1] offset:2560
	s_movk_i32 s0, 0x1000
	v_add_co_u32_e32 v0, vcc, s0, v17
	v_addc_co_u32_e32 v1, vcc, 0, v16, vcc
	s_movk_i32 s0, 0x2000
	v_add_u32_e32 v6, v9, v25
	global_store_dwordx2 v[0:1], v[4:5], off offset:1024
	global_store_dwordx2 v[0:1], v[6:7], off offset:3584
	v_add_co_u32_e32 v0, vcc, s0, v17
	v_add_u32_e32 v9, v12, v28
	v_addc_co_u32_e32 v1, vcc, 0, v16, vcc
	s_movk_i32 s0, 0x3000
	global_store_dwordx2 v[0:1], v[8:9], off offset:2048
	v_add_co_u32_e32 v0, vcc, s0, v17
	v_addc_co_u32_e32 v1, vcc, 0, v16, vcc
	v_add_u32_e32 v12, v15, v31
	global_store_dwordx2 v[0:1], v[10:11], off offset:512
	global_store_dwordx2 v[0:1], v[12:13], off offset:3072
	v_add_co_u32_e32 v0, vcc, 0x4000, v17
	v_add_u32_e32 v15, v18, v34
	v_addc_co_u32_e32 v1, vcc, 0, v16, vcc
	global_store_dwordx2 v[0:1], v[14:15], off offset:1536
	s_endpgm
	.section	.rodata,"a",@progbits
	.p2align	6, 0x0
	.amdhsa_kernel _Z17sort_pairs_kernelI22helper_blocked_stripedN15benchmark_utils11custom_typeIiiEELj320ELj8ELj10EEvPKT0_PS4_
		.amdhsa_group_segment_fixed_size 21120
		.amdhsa_private_segment_fixed_size 0
		.amdhsa_kernarg_size 272
		.amdhsa_user_sgpr_count 6
		.amdhsa_user_sgpr_private_segment_buffer 1
		.amdhsa_user_sgpr_dispatch_ptr 0
		.amdhsa_user_sgpr_queue_ptr 0
		.amdhsa_user_sgpr_kernarg_segment_ptr 1
		.amdhsa_user_sgpr_dispatch_id 0
		.amdhsa_user_sgpr_flat_scratch_init 0
		.amdhsa_user_sgpr_private_segment_size 0
		.amdhsa_uses_dynamic_stack 0
		.amdhsa_system_sgpr_private_segment_wavefront_offset 0
		.amdhsa_system_sgpr_workgroup_id_x 1
		.amdhsa_system_sgpr_workgroup_id_y 0
		.amdhsa_system_sgpr_workgroup_id_z 0
		.amdhsa_system_sgpr_workgroup_info 0
		.amdhsa_system_vgpr_workitem_id 2
		.amdhsa_next_free_vgpr 90
		.amdhsa_next_free_sgpr 98
		.amdhsa_reserve_vcc 1
		.amdhsa_reserve_flat_scratch 0
		.amdhsa_float_round_mode_32 0
		.amdhsa_float_round_mode_16_64 0
		.amdhsa_float_denorm_mode_32 3
		.amdhsa_float_denorm_mode_16_64 3
		.amdhsa_dx10_clamp 1
		.amdhsa_ieee_mode 1
		.amdhsa_fp16_overflow 0
		.amdhsa_exception_fp_ieee_invalid_op 0
		.amdhsa_exception_fp_denorm_src 0
		.amdhsa_exception_fp_ieee_div_zero 0
		.amdhsa_exception_fp_ieee_overflow 0
		.amdhsa_exception_fp_ieee_underflow 0
		.amdhsa_exception_fp_ieee_inexact 0
		.amdhsa_exception_int_div_zero 0
	.end_amdhsa_kernel
	.section	.text._Z17sort_pairs_kernelI22helper_blocked_stripedN15benchmark_utils11custom_typeIiiEELj320ELj8ELj10EEvPKT0_PS4_,"axG",@progbits,_Z17sort_pairs_kernelI22helper_blocked_stripedN15benchmark_utils11custom_typeIiiEELj320ELj8ELj10EEvPKT0_PS4_,comdat
.Lfunc_end375:
	.size	_Z17sort_pairs_kernelI22helper_blocked_stripedN15benchmark_utils11custom_typeIiiEELj320ELj8ELj10EEvPKT0_PS4_, .Lfunc_end375-_Z17sort_pairs_kernelI22helper_blocked_stripedN15benchmark_utils11custom_typeIiiEELj320ELj8ELj10EEvPKT0_PS4_
                                        ; -- End function
	.set _Z17sort_pairs_kernelI22helper_blocked_stripedN15benchmark_utils11custom_typeIiiEELj320ELj8ELj10EEvPKT0_PS4_.num_vgpr, 90
	.set _Z17sort_pairs_kernelI22helper_blocked_stripedN15benchmark_utils11custom_typeIiiEELj320ELj8ELj10EEvPKT0_PS4_.num_agpr, 0
	.set _Z17sort_pairs_kernelI22helper_blocked_stripedN15benchmark_utils11custom_typeIiiEELj320ELj8ELj10EEvPKT0_PS4_.numbered_sgpr, 47
	.set _Z17sort_pairs_kernelI22helper_blocked_stripedN15benchmark_utils11custom_typeIiiEELj320ELj8ELj10EEvPKT0_PS4_.num_named_barrier, 0
	.set _Z17sort_pairs_kernelI22helper_blocked_stripedN15benchmark_utils11custom_typeIiiEELj320ELj8ELj10EEvPKT0_PS4_.private_seg_size, 0
	.set _Z17sort_pairs_kernelI22helper_blocked_stripedN15benchmark_utils11custom_typeIiiEELj320ELj8ELj10EEvPKT0_PS4_.uses_vcc, 1
	.set _Z17sort_pairs_kernelI22helper_blocked_stripedN15benchmark_utils11custom_typeIiiEELj320ELj8ELj10EEvPKT0_PS4_.uses_flat_scratch, 0
	.set _Z17sort_pairs_kernelI22helper_blocked_stripedN15benchmark_utils11custom_typeIiiEELj320ELj8ELj10EEvPKT0_PS4_.has_dyn_sized_stack, 0
	.set _Z17sort_pairs_kernelI22helper_blocked_stripedN15benchmark_utils11custom_typeIiiEELj320ELj8ELj10EEvPKT0_PS4_.has_recursion, 0
	.set _Z17sort_pairs_kernelI22helper_blocked_stripedN15benchmark_utils11custom_typeIiiEELj320ELj8ELj10EEvPKT0_PS4_.has_indirect_call, 0
	.section	.AMDGPU.csdata,"",@progbits
; Kernel info:
; codeLenInByte = 6300
; TotalNumSgprs: 51
; NumVgprs: 90
; ScratchSize: 0
; MemoryBound: 0
; FloatMode: 240
; IeeeMode: 1
; LDSByteSize: 21120 bytes/workgroup (compile time only)
; SGPRBlocks: 12
; VGPRBlocks: 22
; NumSGPRsForWavesPerEU: 102
; NumVGPRsForWavesPerEU: 90
; Occupancy: 2
; WaveLimiterHint : 1
; COMPUTE_PGM_RSRC2:SCRATCH_EN: 0
; COMPUTE_PGM_RSRC2:USER_SGPR: 6
; COMPUTE_PGM_RSRC2:TRAP_HANDLER: 0
; COMPUTE_PGM_RSRC2:TGID_X_EN: 1
; COMPUTE_PGM_RSRC2:TGID_Y_EN: 0
; COMPUTE_PGM_RSRC2:TGID_Z_EN: 0
; COMPUTE_PGM_RSRC2:TIDIG_COMP_CNT: 2
	.section	.text._Z16sort_keys_kernelI22helper_blocked_stripedN15benchmark_utils11custom_typeIiiEELj512ELj1ELj10EEvPKT0_PS4_,"axG",@progbits,_Z16sort_keys_kernelI22helper_blocked_stripedN15benchmark_utils11custom_typeIiiEELj512ELj1ELj10EEvPKT0_PS4_,comdat
	.protected	_Z16sort_keys_kernelI22helper_blocked_stripedN15benchmark_utils11custom_typeIiiEELj512ELj1ELj10EEvPKT0_PS4_ ; -- Begin function _Z16sort_keys_kernelI22helper_blocked_stripedN15benchmark_utils11custom_typeIiiEELj512ELj1ELj10EEvPKT0_PS4_
	.globl	_Z16sort_keys_kernelI22helper_blocked_stripedN15benchmark_utils11custom_typeIiiEELj512ELj1ELj10EEvPKT0_PS4_
	.p2align	8
	.type	_Z16sort_keys_kernelI22helper_blocked_stripedN15benchmark_utils11custom_typeIiiEELj512ELj1ELj10EEvPKT0_PS4_,@function
_Z16sort_keys_kernelI22helper_blocked_stripedN15benchmark_utils11custom_typeIiiEELj512ELj1ELj10EEvPKT0_PS4_: ; @_Z16sort_keys_kernelI22helper_blocked_stripedN15benchmark_utils11custom_typeIiiEELj512ELj1ELj10EEvPKT0_PS4_
; %bb.0:
	s_load_dwordx4 s[28:31], s[4:5], 0x0
	s_load_dword s41, s[4:5], 0x1c
	s_lshl_b32 s36, s6, 9
	s_mov_b32 s37, 0
	s_lshl_b64 s[34:35], s[36:37], 3
	s_waitcnt lgkmcnt(0)
	s_add_u32 s0, s28, s34
	s_addc_u32 s1, s29, s35
	v_lshlrev_b32_e32 v3, 3, v0
	global_load_dwordx2 v[3:4], v3, s[0:1]
	v_mbcnt_lo_u32_b32 v6, -1, 0
	v_mbcnt_hi_u32_b32 v6, -1, v6
	v_subrev_co_u32_e64 v25, s[4:5], 1, v6
	v_and_b32_e32 v26, 64, v6
	v_and_b32_e32 v10, 15, v6
	v_cmp_lt_i32_e64 s[26:27], v25, v26
	v_cmp_eq_u32_e64 s[8:9], 0, v10
	v_cmp_lt_u32_e64 s[10:11], 1, v10
	v_cmp_lt_u32_e64 s[12:13], 3, v10
	;; [unrolled: 1-line block ×3, first 2 shown]
	v_cndmask_b32_e64 v10, v25, v6, s[26:27]
	s_lshr_b32 s26, s41, 16
	s_and_b32 s27, s41, 0xffff
	v_mad_u32_u24 v1, v2, s26, v1
	v_mad_u64_u32 v[1:2], s[26:27], v1, s27, v[0:1]
	v_lshlrev_b32_e32 v22, 4, v0
	v_and_b32_e32 v7, 0x1c0, v0
	v_lshrrev_b32_e32 v8, 4, v0
	v_lshlrev_b32_e32 v9, 2, v0
	s_mov_b32 s38, s37
	v_or_b32_e32 v12, 63, v7
	v_lshlrev_b32_e32 v7, 3, v7
	v_mad_i32_i24 v24, v0, -12, v22
	s_mov_b32 s36, s37
	s_mov_b32 s39, s37
	v_and_b32_e32 v11, 16, v6
	v_and_b32_e32 v27, 7, v6
	;; [unrolled: 1-line block ×3, first 2 shown]
	v_lshl_add_u32 v25, v6, 3, v7
	v_add_u32_e32 v26, v24, v9
	v_mov_b32_e32 v7, s36
	v_lshlrev_b32_e32 v28, 2, v10
	v_lshrrev_b32_e32 v1, 4, v1
	v_mov_b32_e32 v9, s38
	s_mov_b32 s33, 10
	s_movk_i32 s40, 0xff
	v_mov_b32_e32 v13, 5
	v_mov_b32_e32 v14, 1
	;; [unrolled: 1-line block ×10, first 2 shown]
	v_cmp_gt_u32_e32 vcc, 8, v0
	v_cmp_lt_u32_e64 s[0:1], 63, v0
	v_cmp_eq_u32_e64 s[2:3], 0, v0
	v_cmp_lt_u32_e64 s[6:7], 31, v6
	v_cmp_eq_u32_e64 s[16:17], 0, v11
	v_cmp_eq_u32_e64 s[18:19], v0, v12
	;; [unrolled: 1-line block ×3, first 2 shown]
	v_cmp_lt_u32_e64 s[22:23], 1, v27
	v_cmp_lt_u32_e64 s[24:25], 3, v27
	v_add_u32_e32 v27, -4, v23
	v_mov_b32_e32 v8, s37
	v_and_b32_e32 v29, 0xffffffc, v1
	v_mov_b32_e32 v10, s39
	s_waitcnt vmcnt(0)
	v_xor_b32_e32 v11, 0x80000000, v3
	v_xor_b32_e32 v12, 0x80000000, v4
	s_branch .LBB376_2
.LBB376_1:                              ;   in Loop: Header=BB376_2 Depth=1
	s_or_b64 exec, exec, s[26:27]
	s_waitcnt lgkmcnt(0)
	v_add_u32_e32 v4, v31, v4
	ds_bpermute_b32 v4, v28, v4
	s_add_i32 s33, s33, -1
	s_cmp_eq_u32 s33, 0
	s_waitcnt lgkmcnt(0)
	v_cndmask_b32_e64 v4, v4, v31, s[4:5]
	v_cndmask_b32_e64 v31, v4, 0, s[2:3]
	v_add_u32_e32 v32, v31, v1
	v_add_u32_e32 v1, v32, v2
	;; [unrolled: 1-line block ×3, first 2 shown]
	ds_write2_b64 v22, v[31:32], v[1:2] offset0:4 offset1:5
	s_waitcnt lgkmcnt(0)
	s_barrier
	ds_read_b32 v1, v30 offset:32
	v_lshlrev_b32_e32 v2, 3, v6
	s_waitcnt lgkmcnt(0)
	s_barrier
	v_lshl_add_u32 v1, v1, 3, v2
	ds_write_b64 v1, v[11:12]
	s_waitcnt lgkmcnt(0)
	s_barrier
	ds_read_b64 v[11:12], v26
	s_cbranch_scc1 .LBB376_66
.LBB376_2:                              ; =>This Inner Loop Header: Depth=1
	s_waitcnt lgkmcnt(0)
	v_and_b32_e32 v1, 1, v12
	v_add_co_u32_e64 v2, s[26:27], -1, v1
	v_addc_co_u32_e64 v4, s[26:27], 0, -1, s[26:27]
	v_cmp_ne_u32_e64 s[26:27], 0, v1
	v_lshlrev_b32_e32 v6, 30, v12
	v_xor_b32_e32 v1, s27, v4
	v_xor_b32_e32 v2, s26, v2
	v_cmp_gt_i64_e64 s[26:27], 0, v[5:6]
	v_not_b32_e32 v4, v6
	v_ashrrev_i32_e32 v4, 31, v4
	v_and_b32_e32 v1, exec_hi, v1
	v_xor_b32_e32 v6, s27, v4
	v_and_b32_e32 v2, exec_lo, v2
	v_xor_b32_e32 v4, s26, v4
	v_and_b32_e32 v1, v1, v6
	v_lshlrev_b32_e32 v6, 29, v12
	v_and_b32_e32 v2, v2, v4
	v_cmp_gt_i64_e64 s[26:27], 0, v[5:6]
	v_not_b32_e32 v4, v6
	v_ashrrev_i32_e32 v4, 31, v4
	v_xor_b32_e32 v6, s27, v4
	v_xor_b32_e32 v4, s26, v4
	v_and_b32_e32 v1, v1, v6
	v_lshlrev_b32_e32 v6, 28, v12
	v_and_b32_e32 v2, v2, v4
	v_cmp_gt_i64_e64 s[26:27], 0, v[5:6]
	v_not_b32_e32 v4, v6
	v_ashrrev_i32_e32 v4, 31, v4
	v_xor_b32_e32 v6, s27, v4
	;; [unrolled: 8-line block ×6, first 2 shown]
	v_xor_b32_e32 v30, s26, v2
	v_and_b32_e32 v2, v1, v6
	v_and_b32_e32 v1, v4, v30
	v_mbcnt_lo_u32_b32 v4, v1, 0
	v_mbcnt_hi_u32_b32 v6, v2, v4
	v_cmp_ne_u64_e64 s[26:27], 0, v[1:2]
	v_lshlrev_b32_sdwa v3, v13, v12 dst_sel:DWORD dst_unused:UNUSED_PAD src0_sel:DWORD src1_sel:BYTE_0
	v_cmp_eq_u32_e64 s[28:29], 0, v6
	s_and_b64 s[28:29], s[28:29], s[26:27]
	v_add_u32_e32 v30, v29, v3
	ds_write2_b64 v22, v[7:8], v[9:10] offset0:4 offset1:5
	s_waitcnt lgkmcnt(0)
	s_barrier
	; wave barrier
	s_and_saveexec_b64 s[26:27], s[28:29]
; %bb.3:                                ;   in Loop: Header=BB376_2 Depth=1
	v_bcnt_u32_b32 v1, v1, 0
	v_bcnt_u32_b32 v1, v2, v1
	ds_write_b32 v30, v1 offset:32
; %bb.4:                                ;   in Loop: Header=BB376_2 Depth=1
	s_or_b64 exec, exec, s[26:27]
	; wave barrier
	s_waitcnt lgkmcnt(0)
	s_barrier
	ds_read2_b64 v[1:4], v22 offset0:4 offset1:5
	s_waitcnt lgkmcnt(0)
	v_add_u32_e32 v31, v2, v1
	v_add3_u32 v4, v31, v3, v4
	s_nop 1
	v_mov_b32_dpp v31, v4 row_shr:1 row_mask:0xf bank_mask:0xf
	v_cndmask_b32_e64 v31, v31, 0, s[8:9]
	v_add_u32_e32 v4, v31, v4
	s_nop 1
	v_mov_b32_dpp v31, v4 row_shr:2 row_mask:0xf bank_mask:0xf
	v_cndmask_b32_e64 v31, 0, v31, s[10:11]
	v_add_u32_e32 v4, v4, v31
	;; [unrolled: 4-line block ×4, first 2 shown]
	s_nop 1
	v_mov_b32_dpp v31, v4 row_bcast:15 row_mask:0xf bank_mask:0xf
	v_cndmask_b32_e64 v31, v31, 0, s[16:17]
	v_add_u32_e32 v4, v4, v31
	s_nop 1
	v_mov_b32_dpp v31, v4 row_bcast:31 row_mask:0xf bank_mask:0xf
	v_cndmask_b32_e64 v31, 0, v31, s[6:7]
	v_add_u32_e32 v4, v4, v31
	s_and_saveexec_b64 s[26:27], s[18:19]
; %bb.5:                                ;   in Loop: Header=BB376_2 Depth=1
	ds_write_b32 v23, v4
; %bb.6:                                ;   in Loop: Header=BB376_2 Depth=1
	s_or_b64 exec, exec, s[26:27]
	s_waitcnt lgkmcnt(0)
	s_barrier
	s_and_saveexec_b64 s[26:27], vcc
	s_cbranch_execz .LBB376_8
; %bb.7:                                ;   in Loop: Header=BB376_2 Depth=1
	ds_read_b32 v31, v24
	s_waitcnt lgkmcnt(0)
	s_nop 0
	v_mov_b32_dpp v32, v31 row_shr:1 row_mask:0xf bank_mask:0xf
	v_cndmask_b32_e64 v32, v32, 0, s[20:21]
	v_add_u32_e32 v31, v32, v31
	s_nop 1
	v_mov_b32_dpp v32, v31 row_shr:2 row_mask:0xf bank_mask:0xf
	v_cndmask_b32_e64 v32, 0, v32, s[22:23]
	v_add_u32_e32 v31, v31, v32
	;; [unrolled: 4-line block ×3, first 2 shown]
	ds_write_b32 v24, v31
.LBB376_8:                              ;   in Loop: Header=BB376_2 Depth=1
	s_or_b64 exec, exec, s[26:27]
	v_mov_b32_e32 v31, 0
	s_waitcnt lgkmcnt(0)
	s_barrier
	s_and_saveexec_b64 s[26:27], s[0:1]
; %bb.9:                                ;   in Loop: Header=BB376_2 Depth=1
	ds_read_b32 v31, v27
; %bb.10:                               ;   in Loop: Header=BB376_2 Depth=1
	s_or_b64 exec, exec, s[26:27]
	s_waitcnt lgkmcnt(0)
	v_add_u32_e32 v4, v31, v4
	ds_bpermute_b32 v4, v28, v4
	s_waitcnt lgkmcnt(0)
	v_cndmask_b32_e64 v4, v4, v31, s[4:5]
	v_cndmask_b32_e64 v31, v4, 0, s[2:3]
	v_add_u32_e32 v32, v31, v1
	v_add_u32_e32 v1, v32, v2
	v_add_u32_e32 v2, v1, v3
	ds_write2_b64 v22, v[31:32], v[1:2] offset0:4 offset1:5
	s_waitcnt lgkmcnt(0)
	s_barrier
	ds_read_b32 v1, v30 offset:32
	v_lshlrev_b32_e32 v2, 3, v6
	s_waitcnt lgkmcnt(0)
	s_barrier
	v_lshl_add_u32 v1, v1, 3, v2
	ds_write_b64 v1, v[11:12]
	s_waitcnt lgkmcnt(0)
	s_barrier
	ds_read_b64 v[11:12], v25
	s_waitcnt lgkmcnt(0)
	s_barrier
	ds_write2_b64 v22, v[7:8], v[9:10] offset0:4 offset1:5
	v_lshrrev_b32_e32 v1, 8, v12
	v_and_b32_e32 v2, 1, v1
	v_add_co_u32_e64 v4, s[26:27], -1, v2
	v_addc_co_u32_e64 v6, s[26:27], 0, -1, s[26:27]
	v_cmp_ne_u32_e64 s[26:27], 0, v2
	v_xor_b32_e32 v2, s27, v6
	v_lshlrev_b32_e32 v6, 30, v1
	v_xor_b32_e32 v4, s26, v4
	v_cmp_gt_i64_e64 s[26:27], 0, v[5:6]
	v_not_b32_e32 v6, v6
	v_ashrrev_i32_e32 v6, 31, v6
	v_and_b32_e32 v4, exec_lo, v4
	v_xor_b32_e32 v30, s27, v6
	v_xor_b32_e32 v6, s26, v6
	v_and_b32_e32 v4, v4, v6
	v_lshlrev_b32_e32 v6, 29, v1
	v_cmp_gt_i64_e64 s[26:27], 0, v[5:6]
	v_not_b32_e32 v6, v6
	v_and_b32_e32 v2, exec_hi, v2
	v_ashrrev_i32_e32 v6, 31, v6
	v_and_b32_e32 v2, v2, v30
	v_xor_b32_e32 v30, s27, v6
	v_xor_b32_e32 v6, s26, v6
	v_and_b32_e32 v4, v4, v6
	v_lshlrev_b32_e32 v6, 28, v1
	v_cmp_gt_i64_e64 s[26:27], 0, v[5:6]
	v_not_b32_e32 v6, v6
	v_ashrrev_i32_e32 v6, 31, v6
	v_and_b32_e32 v2, v2, v30
	v_xor_b32_e32 v30, s27, v6
	v_xor_b32_e32 v6, s26, v6
	v_and_b32_e32 v4, v4, v6
	v_lshlrev_b32_e32 v6, 27, v1
	v_cmp_gt_i64_e64 s[26:27], 0, v[5:6]
	v_not_b32_e32 v6, v6
	;; [unrolled: 8-line block ×4, first 2 shown]
	v_ashrrev_i32_e32 v6, 31, v6
	v_and_b32_e32 v2, v2, v30
	v_xor_b32_e32 v30, s27, v6
	v_xor_b32_e32 v6, s26, v6
	v_and_b32_e32 v4, v4, v6
	v_lshlrev_b32_e32 v6, 24, v1
	v_lshlrev_b32_sdwa v3, v13, v1 dst_sel:DWORD dst_unused:UNUSED_PAD src0_sel:DWORD src1_sel:BYTE_0
	v_cmp_gt_i64_e64 s[26:27], 0, v[5:6]
	v_not_b32_e32 v1, v6
	v_ashrrev_i32_e32 v1, 31, v1
	v_xor_b32_e32 v6, s27, v1
	v_xor_b32_e32 v1, s26, v1
	v_and_b32_e32 v2, v2, v30
	v_and_b32_e32 v1, v4, v1
	;; [unrolled: 1-line block ×3, first 2 shown]
	v_mbcnt_lo_u32_b32 v4, v1, 0
	v_mbcnt_hi_u32_b32 v6, v2, v4
	v_cmp_ne_u64_e64 s[26:27], 0, v[1:2]
	v_cmp_eq_u32_e64 s[28:29], 0, v6
	s_and_b64 s[28:29], s[28:29], s[26:27]
	v_add_u32_e32 v30, v29, v3
	s_waitcnt lgkmcnt(0)
	s_barrier
	; wave barrier
	s_and_saveexec_b64 s[26:27], s[28:29]
; %bb.11:                               ;   in Loop: Header=BB376_2 Depth=1
	v_bcnt_u32_b32 v1, v1, 0
	v_bcnt_u32_b32 v1, v2, v1
	ds_write_b32 v30, v1 offset:32
; %bb.12:                               ;   in Loop: Header=BB376_2 Depth=1
	s_or_b64 exec, exec, s[26:27]
	; wave barrier
	s_waitcnt lgkmcnt(0)
	s_barrier
	ds_read2_b64 v[1:4], v22 offset0:4 offset1:5
	s_waitcnt lgkmcnt(0)
	v_add_u32_e32 v31, v2, v1
	v_add3_u32 v4, v31, v3, v4
	s_nop 1
	v_mov_b32_dpp v31, v4 row_shr:1 row_mask:0xf bank_mask:0xf
	v_cndmask_b32_e64 v31, v31, 0, s[8:9]
	v_add_u32_e32 v4, v31, v4
	s_nop 1
	v_mov_b32_dpp v31, v4 row_shr:2 row_mask:0xf bank_mask:0xf
	v_cndmask_b32_e64 v31, 0, v31, s[10:11]
	v_add_u32_e32 v4, v4, v31
	;; [unrolled: 4-line block ×4, first 2 shown]
	s_nop 1
	v_mov_b32_dpp v31, v4 row_bcast:15 row_mask:0xf bank_mask:0xf
	v_cndmask_b32_e64 v31, v31, 0, s[16:17]
	v_add_u32_e32 v4, v4, v31
	s_nop 1
	v_mov_b32_dpp v31, v4 row_bcast:31 row_mask:0xf bank_mask:0xf
	v_cndmask_b32_e64 v31, 0, v31, s[6:7]
	v_add_u32_e32 v4, v4, v31
	s_and_saveexec_b64 s[26:27], s[18:19]
; %bb.13:                               ;   in Loop: Header=BB376_2 Depth=1
	ds_write_b32 v23, v4
; %bb.14:                               ;   in Loop: Header=BB376_2 Depth=1
	s_or_b64 exec, exec, s[26:27]
	s_waitcnt lgkmcnt(0)
	s_barrier
	s_and_saveexec_b64 s[26:27], vcc
	s_cbranch_execz .LBB376_16
; %bb.15:                               ;   in Loop: Header=BB376_2 Depth=1
	ds_read_b32 v31, v24
	s_waitcnt lgkmcnt(0)
	s_nop 0
	v_mov_b32_dpp v32, v31 row_shr:1 row_mask:0xf bank_mask:0xf
	v_cndmask_b32_e64 v32, v32, 0, s[20:21]
	v_add_u32_e32 v31, v32, v31
	s_nop 1
	v_mov_b32_dpp v32, v31 row_shr:2 row_mask:0xf bank_mask:0xf
	v_cndmask_b32_e64 v32, 0, v32, s[22:23]
	v_add_u32_e32 v31, v31, v32
	;; [unrolled: 4-line block ×3, first 2 shown]
	ds_write_b32 v24, v31
.LBB376_16:                             ;   in Loop: Header=BB376_2 Depth=1
	s_or_b64 exec, exec, s[26:27]
	v_mov_b32_e32 v31, 0
	s_waitcnt lgkmcnt(0)
	s_barrier
	s_and_saveexec_b64 s[26:27], s[0:1]
; %bb.17:                               ;   in Loop: Header=BB376_2 Depth=1
	ds_read_b32 v31, v27
; %bb.18:                               ;   in Loop: Header=BB376_2 Depth=1
	s_or_b64 exec, exec, s[26:27]
	s_waitcnt lgkmcnt(0)
	v_add_u32_e32 v4, v31, v4
	ds_bpermute_b32 v4, v28, v4
	s_waitcnt lgkmcnt(0)
	v_cndmask_b32_e64 v4, v4, v31, s[4:5]
	v_cndmask_b32_e64 v31, v4, 0, s[2:3]
	v_add_u32_e32 v32, v31, v1
	v_add_u32_e32 v1, v32, v2
	;; [unrolled: 1-line block ×3, first 2 shown]
	ds_write2_b64 v22, v[31:32], v[1:2] offset0:4 offset1:5
	s_waitcnt lgkmcnt(0)
	s_barrier
	ds_read_b32 v1, v30 offset:32
	v_lshlrev_b32_e32 v2, 3, v6
	s_waitcnt lgkmcnt(0)
	s_barrier
	v_lshl_add_u32 v1, v1, 3, v2
	ds_write_b64 v1, v[11:12]
	s_waitcnt lgkmcnt(0)
	s_barrier
	ds_read_b64 v[11:12], v25
	s_waitcnt lgkmcnt(0)
	s_barrier
	ds_write2_b64 v22, v[7:8], v[9:10] offset0:4 offset1:5
	v_and_b32_sdwa v1, v12, s40 dst_sel:DWORD dst_unused:UNUSED_PAD src0_sel:WORD_1 src1_sel:DWORD
	v_lshlrev_b32_e32 v3, 5, v1
	v_and_b32_sdwa v1, v12, v14 dst_sel:DWORD dst_unused:UNUSED_PAD src0_sel:WORD_1 src1_sel:DWORD
	v_add_co_u32_e64 v2, s[26:27], -1, v1
	v_addc_co_u32_e64 v4, s[26:27], 0, -1, s[26:27]
	v_cmp_ne_u32_e64 s[26:27], 0, v1
	v_lshlrev_b32_sdwa v6, v15, v12 dst_sel:DWORD dst_unused:UNUSED_PAD src0_sel:DWORD src1_sel:WORD_1
	v_xor_b32_e32 v1, s27, v4
	v_xor_b32_e32 v2, s26, v2
	v_cmp_gt_i64_e64 s[26:27], 0, v[5:6]
	v_not_b32_e32 v4, v6
	v_ashrrev_i32_e32 v4, 31, v4
	v_and_b32_e32 v1, exec_hi, v1
	v_xor_b32_e32 v6, s27, v4
	v_and_b32_e32 v2, exec_lo, v2
	v_xor_b32_e32 v4, s26, v4
	v_and_b32_e32 v1, v1, v6
	v_lshlrev_b32_sdwa v6, v16, v12 dst_sel:DWORD dst_unused:UNUSED_PAD src0_sel:DWORD src1_sel:WORD_1
	v_and_b32_e32 v2, v2, v4
	v_cmp_gt_i64_e64 s[26:27], 0, v[5:6]
	v_not_b32_e32 v4, v6
	v_ashrrev_i32_e32 v4, 31, v4
	v_xor_b32_e32 v6, s27, v4
	v_xor_b32_e32 v4, s26, v4
	v_and_b32_e32 v1, v1, v6
	v_lshlrev_b32_sdwa v6, v17, v12 dst_sel:DWORD dst_unused:UNUSED_PAD src0_sel:DWORD src1_sel:WORD_1
	v_and_b32_e32 v2, v2, v4
	v_cmp_gt_i64_e64 s[26:27], 0, v[5:6]
	v_not_b32_e32 v4, v6
	v_ashrrev_i32_e32 v4, 31, v4
	v_xor_b32_e32 v6, s27, v4
	;; [unrolled: 8-line block ×6, first 2 shown]
	v_xor_b32_e32 v30, s26, v2
	v_and_b32_e32 v2, v1, v6
	v_and_b32_e32 v1, v4, v30
	v_mbcnt_lo_u32_b32 v4, v1, 0
	v_mbcnt_hi_u32_b32 v6, v2, v4
	v_cmp_ne_u64_e64 s[26:27], 0, v[1:2]
	v_cmp_eq_u32_e64 s[28:29], 0, v6
	s_and_b64 s[28:29], s[28:29], s[26:27]
	v_add_u32_e32 v30, v29, v3
	s_waitcnt lgkmcnt(0)
	s_barrier
	; wave barrier
	s_and_saveexec_b64 s[26:27], s[28:29]
; %bb.19:                               ;   in Loop: Header=BB376_2 Depth=1
	v_bcnt_u32_b32 v1, v1, 0
	v_bcnt_u32_b32 v1, v2, v1
	ds_write_b32 v30, v1 offset:32
; %bb.20:                               ;   in Loop: Header=BB376_2 Depth=1
	s_or_b64 exec, exec, s[26:27]
	; wave barrier
	s_waitcnt lgkmcnt(0)
	s_barrier
	ds_read2_b64 v[1:4], v22 offset0:4 offset1:5
	s_waitcnt lgkmcnt(0)
	v_add_u32_e32 v31, v2, v1
	v_add3_u32 v4, v31, v3, v4
	s_nop 1
	v_mov_b32_dpp v31, v4 row_shr:1 row_mask:0xf bank_mask:0xf
	v_cndmask_b32_e64 v31, v31, 0, s[8:9]
	v_add_u32_e32 v4, v31, v4
	s_nop 1
	v_mov_b32_dpp v31, v4 row_shr:2 row_mask:0xf bank_mask:0xf
	v_cndmask_b32_e64 v31, 0, v31, s[10:11]
	v_add_u32_e32 v4, v4, v31
	;; [unrolled: 4-line block ×4, first 2 shown]
	s_nop 1
	v_mov_b32_dpp v31, v4 row_bcast:15 row_mask:0xf bank_mask:0xf
	v_cndmask_b32_e64 v31, v31, 0, s[16:17]
	v_add_u32_e32 v4, v4, v31
	s_nop 1
	v_mov_b32_dpp v31, v4 row_bcast:31 row_mask:0xf bank_mask:0xf
	v_cndmask_b32_e64 v31, 0, v31, s[6:7]
	v_add_u32_e32 v4, v4, v31
	s_and_saveexec_b64 s[26:27], s[18:19]
; %bb.21:                               ;   in Loop: Header=BB376_2 Depth=1
	ds_write_b32 v23, v4
; %bb.22:                               ;   in Loop: Header=BB376_2 Depth=1
	s_or_b64 exec, exec, s[26:27]
	s_waitcnt lgkmcnt(0)
	s_barrier
	s_and_saveexec_b64 s[26:27], vcc
	s_cbranch_execz .LBB376_24
; %bb.23:                               ;   in Loop: Header=BB376_2 Depth=1
	ds_read_b32 v31, v24
	s_waitcnt lgkmcnt(0)
	s_nop 0
	v_mov_b32_dpp v32, v31 row_shr:1 row_mask:0xf bank_mask:0xf
	v_cndmask_b32_e64 v32, v32, 0, s[20:21]
	v_add_u32_e32 v31, v32, v31
	s_nop 1
	v_mov_b32_dpp v32, v31 row_shr:2 row_mask:0xf bank_mask:0xf
	v_cndmask_b32_e64 v32, 0, v32, s[22:23]
	v_add_u32_e32 v31, v31, v32
	;; [unrolled: 4-line block ×3, first 2 shown]
	ds_write_b32 v24, v31
.LBB376_24:                             ;   in Loop: Header=BB376_2 Depth=1
	s_or_b64 exec, exec, s[26:27]
	v_mov_b32_e32 v31, 0
	s_waitcnt lgkmcnt(0)
	s_barrier
	s_and_saveexec_b64 s[26:27], s[0:1]
; %bb.25:                               ;   in Loop: Header=BB376_2 Depth=1
	ds_read_b32 v31, v27
; %bb.26:                               ;   in Loop: Header=BB376_2 Depth=1
	s_or_b64 exec, exec, s[26:27]
	s_waitcnt lgkmcnt(0)
	v_add_u32_e32 v4, v31, v4
	ds_bpermute_b32 v4, v28, v4
	s_waitcnt lgkmcnt(0)
	v_cndmask_b32_e64 v4, v4, v31, s[4:5]
	v_cndmask_b32_e64 v31, v4, 0, s[2:3]
	v_add_u32_e32 v32, v31, v1
	v_add_u32_e32 v1, v32, v2
	;; [unrolled: 1-line block ×3, first 2 shown]
	ds_write2_b64 v22, v[31:32], v[1:2] offset0:4 offset1:5
	s_waitcnt lgkmcnt(0)
	s_barrier
	ds_read_b32 v1, v30 offset:32
	v_lshlrev_b32_e32 v2, 3, v6
	s_waitcnt lgkmcnt(0)
	s_barrier
	v_lshl_add_u32 v1, v1, 3, v2
	ds_write_b64 v1, v[11:12]
	s_waitcnt lgkmcnt(0)
	s_barrier
	ds_read_b64 v[11:12], v25
	v_mov_b32_e32 v1, s36
	v_mov_b32_e32 v3, s38
	;; [unrolled: 1-line block ×4, first 2 shown]
	s_waitcnt lgkmcnt(0)
	s_barrier
	ds_write2_b64 v22, v[1:2], v[3:4] offset0:4 offset1:5
	v_and_b32_sdwa v1, v12, v14 dst_sel:DWORD dst_unused:UNUSED_PAD src0_sel:BYTE_3 src1_sel:DWORD
	v_add_co_u32_e64 v2, s[26:27], -1, v1
	v_addc_co_u32_e64 v4, s[26:27], 0, -1, s[26:27]
	v_cmp_ne_u32_e64 s[26:27], 0, v1
	v_lshlrev_b32_sdwa v6, v15, v12 dst_sel:DWORD dst_unused:UNUSED_PAD src0_sel:DWORD src1_sel:BYTE_3
	v_xor_b32_e32 v1, s27, v4
	v_xor_b32_e32 v2, s26, v2
	v_cmp_gt_i64_e64 s[26:27], 0, v[5:6]
	v_not_b32_e32 v4, v6
	v_ashrrev_i32_e32 v4, 31, v4
	v_and_b32_e32 v1, exec_hi, v1
	v_xor_b32_e32 v6, s27, v4
	v_and_b32_e32 v2, exec_lo, v2
	v_xor_b32_e32 v4, s26, v4
	v_and_b32_e32 v1, v1, v6
	v_lshlrev_b32_sdwa v6, v16, v12 dst_sel:DWORD dst_unused:UNUSED_PAD src0_sel:DWORD src1_sel:BYTE_3
	v_and_b32_e32 v2, v2, v4
	v_cmp_gt_i64_e64 s[26:27], 0, v[5:6]
	v_not_b32_e32 v4, v6
	v_ashrrev_i32_e32 v4, 31, v4
	v_xor_b32_e32 v6, s27, v4
	v_xor_b32_e32 v4, s26, v4
	v_and_b32_e32 v1, v1, v6
	v_lshlrev_b32_sdwa v6, v17, v12 dst_sel:DWORD dst_unused:UNUSED_PAD src0_sel:DWORD src1_sel:BYTE_3
	v_and_b32_e32 v2, v2, v4
	v_cmp_gt_i64_e64 s[26:27], 0, v[5:6]
	v_not_b32_e32 v4, v6
	v_ashrrev_i32_e32 v4, 31, v4
	v_xor_b32_e32 v6, s27, v4
	;; [unrolled: 8-line block ×6, first 2 shown]
	v_xor_b32_e32 v30, s26, v2
	v_and_b32_e32 v2, v1, v6
	v_and_b32_e32 v1, v4, v30
	v_mbcnt_lo_u32_b32 v4, v1, 0
	v_mbcnt_hi_u32_b32 v6, v2, v4
	v_cmp_ne_u64_e64 s[26:27], 0, v[1:2]
	v_lshlrev_b32_sdwa v3, v13, v12 dst_sel:DWORD dst_unused:UNUSED_PAD src0_sel:DWORD src1_sel:BYTE_3
	v_cmp_eq_u32_e64 s[28:29], 0, v6
	s_and_b64 s[28:29], s[28:29], s[26:27]
	v_add_u32_e32 v30, v29, v3
	s_waitcnt lgkmcnt(0)
	s_barrier
	; wave barrier
	s_and_saveexec_b64 s[26:27], s[28:29]
; %bb.27:                               ;   in Loop: Header=BB376_2 Depth=1
	v_bcnt_u32_b32 v1, v1, 0
	v_bcnt_u32_b32 v1, v2, v1
	ds_write_b32 v30, v1 offset:32
; %bb.28:                               ;   in Loop: Header=BB376_2 Depth=1
	s_or_b64 exec, exec, s[26:27]
	; wave barrier
	s_waitcnt lgkmcnt(0)
	s_barrier
	ds_read2_b64 v[1:4], v22 offset0:4 offset1:5
	s_waitcnt lgkmcnt(0)
	v_add_u32_e32 v31, v2, v1
	v_add3_u32 v4, v31, v3, v4
	s_nop 1
	v_mov_b32_dpp v31, v4 row_shr:1 row_mask:0xf bank_mask:0xf
	v_cndmask_b32_e64 v31, v31, 0, s[8:9]
	v_add_u32_e32 v4, v31, v4
	s_nop 1
	v_mov_b32_dpp v31, v4 row_shr:2 row_mask:0xf bank_mask:0xf
	v_cndmask_b32_e64 v31, 0, v31, s[10:11]
	v_add_u32_e32 v4, v4, v31
	s_nop 1
	v_mov_b32_dpp v31, v4 row_shr:4 row_mask:0xf bank_mask:0xf
	v_cndmask_b32_e64 v31, 0, v31, s[12:13]
	v_add_u32_e32 v4, v4, v31
	s_nop 1
	v_mov_b32_dpp v31, v4 row_shr:8 row_mask:0xf bank_mask:0xf
	v_cndmask_b32_e64 v31, 0, v31, s[14:15]
	v_add_u32_e32 v4, v4, v31
	s_nop 1
	v_mov_b32_dpp v31, v4 row_bcast:15 row_mask:0xf bank_mask:0xf
	v_cndmask_b32_e64 v31, v31, 0, s[16:17]
	v_add_u32_e32 v4, v4, v31
	s_nop 1
	v_mov_b32_dpp v31, v4 row_bcast:31 row_mask:0xf bank_mask:0xf
	v_cndmask_b32_e64 v31, 0, v31, s[6:7]
	v_add_u32_e32 v4, v4, v31
	s_and_saveexec_b64 s[26:27], s[18:19]
; %bb.29:                               ;   in Loop: Header=BB376_2 Depth=1
	ds_write_b32 v23, v4
; %bb.30:                               ;   in Loop: Header=BB376_2 Depth=1
	s_or_b64 exec, exec, s[26:27]
	s_waitcnt lgkmcnt(0)
	s_barrier
	s_and_saveexec_b64 s[26:27], vcc
	s_cbranch_execz .LBB376_32
; %bb.31:                               ;   in Loop: Header=BB376_2 Depth=1
	ds_read_b32 v31, v24
	s_waitcnt lgkmcnt(0)
	s_nop 0
	v_mov_b32_dpp v32, v31 row_shr:1 row_mask:0xf bank_mask:0xf
	v_cndmask_b32_e64 v32, v32, 0, s[20:21]
	v_add_u32_e32 v31, v32, v31
	s_nop 1
	v_mov_b32_dpp v32, v31 row_shr:2 row_mask:0xf bank_mask:0xf
	v_cndmask_b32_e64 v32, 0, v32, s[22:23]
	v_add_u32_e32 v31, v31, v32
	;; [unrolled: 4-line block ×3, first 2 shown]
	ds_write_b32 v24, v31
.LBB376_32:                             ;   in Loop: Header=BB376_2 Depth=1
	s_or_b64 exec, exec, s[26:27]
	v_mov_b32_e32 v31, 0
	s_waitcnt lgkmcnt(0)
	s_barrier
	s_and_saveexec_b64 s[26:27], s[0:1]
; %bb.33:                               ;   in Loop: Header=BB376_2 Depth=1
	ds_read_b32 v31, v27
; %bb.34:                               ;   in Loop: Header=BB376_2 Depth=1
	s_or_b64 exec, exec, s[26:27]
	s_waitcnt lgkmcnt(0)
	v_add_u32_e32 v4, v31, v4
	ds_bpermute_b32 v4, v28, v4
	s_waitcnt lgkmcnt(0)
	v_cndmask_b32_e64 v4, v4, v31, s[4:5]
	v_cndmask_b32_e64 v31, v4, 0, s[2:3]
	v_add_u32_e32 v32, v31, v1
	v_add_u32_e32 v1, v32, v2
	;; [unrolled: 1-line block ×3, first 2 shown]
	ds_write2_b64 v22, v[31:32], v[1:2] offset0:4 offset1:5
	s_waitcnt lgkmcnt(0)
	s_barrier
	ds_read_b32 v1, v30 offset:32
	v_lshlrev_b32_e32 v2, 3, v6
	s_waitcnt lgkmcnt(0)
	s_barrier
	v_lshl_add_u32 v1, v1, 3, v2
	ds_write_b64 v1, v[11:12]
	s_waitcnt lgkmcnt(0)
	s_barrier
	ds_read_b64 v[11:12], v25
	v_mov_b32_e32 v1, s36
	v_mov_b32_e32 v3, s38
	;; [unrolled: 1-line block ×4, first 2 shown]
	s_waitcnt lgkmcnt(0)
	s_barrier
	ds_write2_b64 v22, v[1:2], v[3:4] offset0:4 offset1:5
	v_and_b32_e32 v1, 1, v11
	v_add_co_u32_e64 v2, s[26:27], -1, v1
	v_addc_co_u32_e64 v4, s[26:27], 0, -1, s[26:27]
	v_cmp_ne_u32_e64 s[26:27], 0, v1
	v_lshlrev_b32_e32 v6, 30, v11
	v_xor_b32_e32 v1, s27, v4
	v_xor_b32_e32 v2, s26, v2
	v_cmp_gt_i64_e64 s[26:27], 0, v[5:6]
	v_not_b32_e32 v4, v6
	v_ashrrev_i32_e32 v4, 31, v4
	v_and_b32_e32 v1, exec_hi, v1
	v_xor_b32_e32 v6, s27, v4
	v_and_b32_e32 v2, exec_lo, v2
	v_xor_b32_e32 v4, s26, v4
	v_and_b32_e32 v1, v1, v6
	v_lshlrev_b32_e32 v6, 29, v11
	v_and_b32_e32 v2, v2, v4
	v_cmp_gt_i64_e64 s[26:27], 0, v[5:6]
	v_not_b32_e32 v4, v6
	v_ashrrev_i32_e32 v4, 31, v4
	v_xor_b32_e32 v6, s27, v4
	v_xor_b32_e32 v4, s26, v4
	v_and_b32_e32 v1, v1, v6
	v_lshlrev_b32_e32 v6, 28, v11
	v_and_b32_e32 v2, v2, v4
	v_cmp_gt_i64_e64 s[26:27], 0, v[5:6]
	v_not_b32_e32 v4, v6
	v_ashrrev_i32_e32 v4, 31, v4
	v_xor_b32_e32 v6, s27, v4
	v_xor_b32_e32 v4, s26, v4
	v_and_b32_e32 v1, v1, v6
	v_lshlrev_b32_e32 v6, 27, v11
	v_and_b32_e32 v2, v2, v4
	v_cmp_gt_i64_e64 s[26:27], 0, v[5:6]
	v_not_b32_e32 v4, v6
	v_ashrrev_i32_e32 v4, 31, v4
	v_xor_b32_e32 v6, s27, v4
	v_xor_b32_e32 v4, s26, v4
	v_and_b32_e32 v1, v1, v6
	v_lshlrev_b32_e32 v6, 26, v11
	v_and_b32_e32 v2, v2, v4
	v_cmp_gt_i64_e64 s[26:27], 0, v[5:6]
	v_not_b32_e32 v4, v6
	v_ashrrev_i32_e32 v4, 31, v4
	v_xor_b32_e32 v6, s27, v4
	v_xor_b32_e32 v4, s26, v4
	v_and_b32_e32 v1, v1, v6
	v_lshlrev_b32_e32 v6, 25, v11
	v_and_b32_e32 v2, v2, v4
	v_cmp_gt_i64_e64 s[26:27], 0, v[5:6]
	v_not_b32_e32 v4, v6
	v_ashrrev_i32_e32 v4, 31, v4
	v_xor_b32_e32 v6, s27, v4
	v_xor_b32_e32 v4, s26, v4
	v_and_b32_e32 v1, v1, v6
	v_lshlrev_b32_e32 v6, 24, v11
	v_and_b32_e32 v4, v2, v4
	v_cmp_gt_i64_e64 s[26:27], 0, v[5:6]
	v_not_b32_e32 v2, v6
	v_ashrrev_i32_e32 v2, 31, v2
	v_xor_b32_e32 v6, s27, v2
	v_xor_b32_e32 v30, s26, v2
	v_and_b32_e32 v2, v1, v6
	v_and_b32_e32 v1, v4, v30
	v_mbcnt_lo_u32_b32 v4, v1, 0
	v_mbcnt_hi_u32_b32 v6, v2, v4
	v_cmp_ne_u64_e64 s[26:27], 0, v[1:2]
	v_lshlrev_b32_sdwa v3, v13, v11 dst_sel:DWORD dst_unused:UNUSED_PAD src0_sel:DWORD src1_sel:BYTE_0
	v_cmp_eq_u32_e64 s[28:29], 0, v6
	s_and_b64 s[28:29], s[28:29], s[26:27]
	v_add_u32_e32 v30, v29, v3
	s_waitcnt lgkmcnt(0)
	s_barrier
	; wave barrier
	s_and_saveexec_b64 s[26:27], s[28:29]
; %bb.35:                               ;   in Loop: Header=BB376_2 Depth=1
	v_bcnt_u32_b32 v1, v1, 0
	v_bcnt_u32_b32 v1, v2, v1
	ds_write_b32 v30, v1 offset:32
; %bb.36:                               ;   in Loop: Header=BB376_2 Depth=1
	s_or_b64 exec, exec, s[26:27]
	; wave barrier
	s_waitcnt lgkmcnt(0)
	s_barrier
	ds_read2_b64 v[1:4], v22 offset0:4 offset1:5
	s_waitcnt lgkmcnt(0)
	v_add_u32_e32 v31, v2, v1
	v_add3_u32 v4, v31, v3, v4
	s_nop 1
	v_mov_b32_dpp v31, v4 row_shr:1 row_mask:0xf bank_mask:0xf
	v_cndmask_b32_e64 v31, v31, 0, s[8:9]
	v_add_u32_e32 v4, v31, v4
	s_nop 1
	v_mov_b32_dpp v31, v4 row_shr:2 row_mask:0xf bank_mask:0xf
	v_cndmask_b32_e64 v31, 0, v31, s[10:11]
	v_add_u32_e32 v4, v4, v31
	;; [unrolled: 4-line block ×4, first 2 shown]
	s_nop 1
	v_mov_b32_dpp v31, v4 row_bcast:15 row_mask:0xf bank_mask:0xf
	v_cndmask_b32_e64 v31, v31, 0, s[16:17]
	v_add_u32_e32 v4, v4, v31
	s_nop 1
	v_mov_b32_dpp v31, v4 row_bcast:31 row_mask:0xf bank_mask:0xf
	v_cndmask_b32_e64 v31, 0, v31, s[6:7]
	v_add_u32_e32 v4, v4, v31
	s_and_saveexec_b64 s[26:27], s[18:19]
; %bb.37:                               ;   in Loop: Header=BB376_2 Depth=1
	ds_write_b32 v23, v4
; %bb.38:                               ;   in Loop: Header=BB376_2 Depth=1
	s_or_b64 exec, exec, s[26:27]
	s_waitcnt lgkmcnt(0)
	s_barrier
	s_and_saveexec_b64 s[26:27], vcc
	s_cbranch_execz .LBB376_40
; %bb.39:                               ;   in Loop: Header=BB376_2 Depth=1
	ds_read_b32 v31, v24
	s_waitcnt lgkmcnt(0)
	s_nop 0
	v_mov_b32_dpp v32, v31 row_shr:1 row_mask:0xf bank_mask:0xf
	v_cndmask_b32_e64 v32, v32, 0, s[20:21]
	v_add_u32_e32 v31, v32, v31
	s_nop 1
	v_mov_b32_dpp v32, v31 row_shr:2 row_mask:0xf bank_mask:0xf
	v_cndmask_b32_e64 v32, 0, v32, s[22:23]
	v_add_u32_e32 v31, v31, v32
	;; [unrolled: 4-line block ×3, first 2 shown]
	ds_write_b32 v24, v31
.LBB376_40:                             ;   in Loop: Header=BB376_2 Depth=1
	s_or_b64 exec, exec, s[26:27]
	v_mov_b32_e32 v31, 0
	s_waitcnt lgkmcnt(0)
	s_barrier
	s_and_saveexec_b64 s[26:27], s[0:1]
; %bb.41:                               ;   in Loop: Header=BB376_2 Depth=1
	ds_read_b32 v31, v27
; %bb.42:                               ;   in Loop: Header=BB376_2 Depth=1
	s_or_b64 exec, exec, s[26:27]
	s_waitcnt lgkmcnt(0)
	v_add_u32_e32 v4, v31, v4
	ds_bpermute_b32 v4, v28, v4
	s_waitcnt lgkmcnt(0)
	v_cndmask_b32_e64 v4, v4, v31, s[4:5]
	v_cndmask_b32_e64 v31, v4, 0, s[2:3]
	v_add_u32_e32 v32, v31, v1
	v_add_u32_e32 v1, v32, v2
	v_add_u32_e32 v2, v1, v3
	ds_write2_b64 v22, v[31:32], v[1:2] offset0:4 offset1:5
	s_waitcnt lgkmcnt(0)
	s_barrier
	ds_read_b32 v1, v30 offset:32
	v_lshlrev_b32_e32 v2, 3, v6
	s_waitcnt lgkmcnt(0)
	s_barrier
	v_lshl_add_u32 v1, v1, 3, v2
	ds_write_b64 v1, v[11:12]
	s_waitcnt lgkmcnt(0)
	s_barrier
	ds_read_b64 v[11:12], v25
	v_mov_b32_e32 v1, s36
	v_mov_b32_e32 v3, s38
	;; [unrolled: 1-line block ×4, first 2 shown]
	s_waitcnt lgkmcnt(0)
	s_barrier
	ds_write2_b64 v22, v[1:2], v[3:4] offset0:4 offset1:5
	v_lshrrev_b32_e32 v1, 8, v11
	v_and_b32_e32 v2, 1, v1
	v_add_co_u32_e64 v4, s[26:27], -1, v2
	v_addc_co_u32_e64 v6, s[26:27], 0, -1, s[26:27]
	v_cmp_ne_u32_e64 s[26:27], 0, v2
	v_xor_b32_e32 v2, s27, v6
	v_lshlrev_b32_e32 v6, 30, v1
	v_xor_b32_e32 v4, s26, v4
	v_cmp_gt_i64_e64 s[26:27], 0, v[5:6]
	v_not_b32_e32 v6, v6
	v_ashrrev_i32_e32 v6, 31, v6
	v_and_b32_e32 v4, exec_lo, v4
	v_xor_b32_e32 v30, s27, v6
	v_xor_b32_e32 v6, s26, v6
	v_and_b32_e32 v4, v4, v6
	v_lshlrev_b32_e32 v6, 29, v1
	v_cmp_gt_i64_e64 s[26:27], 0, v[5:6]
	v_not_b32_e32 v6, v6
	v_and_b32_e32 v2, exec_hi, v2
	v_ashrrev_i32_e32 v6, 31, v6
	v_and_b32_e32 v2, v2, v30
	v_xor_b32_e32 v30, s27, v6
	v_xor_b32_e32 v6, s26, v6
	v_and_b32_e32 v4, v4, v6
	v_lshlrev_b32_e32 v6, 28, v1
	v_cmp_gt_i64_e64 s[26:27], 0, v[5:6]
	v_not_b32_e32 v6, v6
	v_ashrrev_i32_e32 v6, 31, v6
	v_and_b32_e32 v2, v2, v30
	v_xor_b32_e32 v30, s27, v6
	v_xor_b32_e32 v6, s26, v6
	v_and_b32_e32 v4, v4, v6
	v_lshlrev_b32_e32 v6, 27, v1
	v_cmp_gt_i64_e64 s[26:27], 0, v[5:6]
	v_not_b32_e32 v6, v6
	;; [unrolled: 8-line block ×4, first 2 shown]
	v_ashrrev_i32_e32 v6, 31, v6
	v_and_b32_e32 v2, v2, v30
	v_xor_b32_e32 v30, s27, v6
	v_xor_b32_e32 v6, s26, v6
	v_and_b32_e32 v4, v4, v6
	v_lshlrev_b32_e32 v6, 24, v1
	v_lshlrev_b32_sdwa v3, v13, v1 dst_sel:DWORD dst_unused:UNUSED_PAD src0_sel:DWORD src1_sel:BYTE_0
	v_cmp_gt_i64_e64 s[26:27], 0, v[5:6]
	v_not_b32_e32 v1, v6
	v_ashrrev_i32_e32 v1, 31, v1
	v_xor_b32_e32 v6, s27, v1
	v_xor_b32_e32 v1, s26, v1
	v_and_b32_e32 v2, v2, v30
	v_and_b32_e32 v1, v4, v1
	;; [unrolled: 1-line block ×3, first 2 shown]
	v_mbcnt_lo_u32_b32 v4, v1, 0
	v_mbcnt_hi_u32_b32 v6, v2, v4
	v_cmp_ne_u64_e64 s[26:27], 0, v[1:2]
	v_cmp_eq_u32_e64 s[28:29], 0, v6
	s_and_b64 s[28:29], s[28:29], s[26:27]
	v_add_u32_e32 v30, v29, v3
	s_waitcnt lgkmcnt(0)
	s_barrier
	; wave barrier
	s_and_saveexec_b64 s[26:27], s[28:29]
; %bb.43:                               ;   in Loop: Header=BB376_2 Depth=1
	v_bcnt_u32_b32 v1, v1, 0
	v_bcnt_u32_b32 v1, v2, v1
	ds_write_b32 v30, v1 offset:32
; %bb.44:                               ;   in Loop: Header=BB376_2 Depth=1
	s_or_b64 exec, exec, s[26:27]
	; wave barrier
	s_waitcnt lgkmcnt(0)
	s_barrier
	ds_read2_b64 v[1:4], v22 offset0:4 offset1:5
	s_waitcnt lgkmcnt(0)
	v_add_u32_e32 v31, v2, v1
	v_add3_u32 v4, v31, v3, v4
	s_nop 1
	v_mov_b32_dpp v31, v4 row_shr:1 row_mask:0xf bank_mask:0xf
	v_cndmask_b32_e64 v31, v31, 0, s[8:9]
	v_add_u32_e32 v4, v31, v4
	s_nop 1
	v_mov_b32_dpp v31, v4 row_shr:2 row_mask:0xf bank_mask:0xf
	v_cndmask_b32_e64 v31, 0, v31, s[10:11]
	v_add_u32_e32 v4, v4, v31
	;; [unrolled: 4-line block ×4, first 2 shown]
	s_nop 1
	v_mov_b32_dpp v31, v4 row_bcast:15 row_mask:0xf bank_mask:0xf
	v_cndmask_b32_e64 v31, v31, 0, s[16:17]
	v_add_u32_e32 v4, v4, v31
	s_nop 1
	v_mov_b32_dpp v31, v4 row_bcast:31 row_mask:0xf bank_mask:0xf
	v_cndmask_b32_e64 v31, 0, v31, s[6:7]
	v_add_u32_e32 v4, v4, v31
	s_and_saveexec_b64 s[26:27], s[18:19]
; %bb.45:                               ;   in Loop: Header=BB376_2 Depth=1
	ds_write_b32 v23, v4
; %bb.46:                               ;   in Loop: Header=BB376_2 Depth=1
	s_or_b64 exec, exec, s[26:27]
	s_waitcnt lgkmcnt(0)
	s_barrier
	s_and_saveexec_b64 s[26:27], vcc
	s_cbranch_execz .LBB376_48
; %bb.47:                               ;   in Loop: Header=BB376_2 Depth=1
	ds_read_b32 v31, v24
	s_waitcnt lgkmcnt(0)
	s_nop 0
	v_mov_b32_dpp v32, v31 row_shr:1 row_mask:0xf bank_mask:0xf
	v_cndmask_b32_e64 v32, v32, 0, s[20:21]
	v_add_u32_e32 v31, v32, v31
	s_nop 1
	v_mov_b32_dpp v32, v31 row_shr:2 row_mask:0xf bank_mask:0xf
	v_cndmask_b32_e64 v32, 0, v32, s[22:23]
	v_add_u32_e32 v31, v31, v32
	;; [unrolled: 4-line block ×3, first 2 shown]
	ds_write_b32 v24, v31
.LBB376_48:                             ;   in Loop: Header=BB376_2 Depth=1
	s_or_b64 exec, exec, s[26:27]
	v_mov_b32_e32 v31, 0
	s_waitcnt lgkmcnt(0)
	s_barrier
	s_and_saveexec_b64 s[26:27], s[0:1]
; %bb.49:                               ;   in Loop: Header=BB376_2 Depth=1
	ds_read_b32 v31, v27
; %bb.50:                               ;   in Loop: Header=BB376_2 Depth=1
	s_or_b64 exec, exec, s[26:27]
	s_waitcnt lgkmcnt(0)
	v_add_u32_e32 v4, v31, v4
	ds_bpermute_b32 v4, v28, v4
	s_waitcnt lgkmcnt(0)
	v_cndmask_b32_e64 v4, v4, v31, s[4:5]
	v_cndmask_b32_e64 v31, v4, 0, s[2:3]
	v_add_u32_e32 v32, v31, v1
	v_add_u32_e32 v1, v32, v2
	v_add_u32_e32 v2, v1, v3
	ds_write2_b64 v22, v[31:32], v[1:2] offset0:4 offset1:5
	s_waitcnt lgkmcnt(0)
	s_barrier
	ds_read_b32 v1, v30 offset:32
	v_lshlrev_b32_e32 v2, 3, v6
	s_waitcnt lgkmcnt(0)
	s_barrier
	v_lshl_add_u32 v1, v1, 3, v2
	ds_write_b64 v1, v[11:12]
	s_waitcnt lgkmcnt(0)
	s_barrier
	ds_read_b64 v[11:12], v25
	v_mov_b32_e32 v1, s36
	v_mov_b32_e32 v3, s38
	;; [unrolled: 1-line block ×4, first 2 shown]
	s_waitcnt lgkmcnt(0)
	s_barrier
	ds_write2_b64 v22, v[1:2], v[3:4] offset0:4 offset1:5
	v_and_b32_sdwa v1, v11, s40 dst_sel:DWORD dst_unused:UNUSED_PAD src0_sel:WORD_1 src1_sel:DWORD
	v_lshlrev_b32_e32 v3, 5, v1
	v_and_b32_sdwa v1, v11, v14 dst_sel:DWORD dst_unused:UNUSED_PAD src0_sel:WORD_1 src1_sel:DWORD
	v_add_co_u32_e64 v2, s[26:27], -1, v1
	v_addc_co_u32_e64 v4, s[26:27], 0, -1, s[26:27]
	v_cmp_ne_u32_e64 s[26:27], 0, v1
	v_lshlrev_b32_sdwa v6, v15, v11 dst_sel:DWORD dst_unused:UNUSED_PAD src0_sel:DWORD src1_sel:WORD_1
	v_xor_b32_e32 v1, s27, v4
	v_xor_b32_e32 v2, s26, v2
	v_cmp_gt_i64_e64 s[26:27], 0, v[5:6]
	v_not_b32_e32 v4, v6
	v_ashrrev_i32_e32 v4, 31, v4
	v_and_b32_e32 v1, exec_hi, v1
	v_xor_b32_e32 v6, s27, v4
	v_and_b32_e32 v2, exec_lo, v2
	v_xor_b32_e32 v4, s26, v4
	v_and_b32_e32 v1, v1, v6
	v_lshlrev_b32_sdwa v6, v16, v11 dst_sel:DWORD dst_unused:UNUSED_PAD src0_sel:DWORD src1_sel:WORD_1
	v_and_b32_e32 v2, v2, v4
	v_cmp_gt_i64_e64 s[26:27], 0, v[5:6]
	v_not_b32_e32 v4, v6
	v_ashrrev_i32_e32 v4, 31, v4
	v_xor_b32_e32 v6, s27, v4
	v_xor_b32_e32 v4, s26, v4
	v_and_b32_e32 v1, v1, v6
	v_lshlrev_b32_sdwa v6, v17, v11 dst_sel:DWORD dst_unused:UNUSED_PAD src0_sel:DWORD src1_sel:WORD_1
	v_and_b32_e32 v2, v2, v4
	v_cmp_gt_i64_e64 s[26:27], 0, v[5:6]
	v_not_b32_e32 v4, v6
	v_ashrrev_i32_e32 v4, 31, v4
	v_xor_b32_e32 v6, s27, v4
	;; [unrolled: 8-line block ×6, first 2 shown]
	v_xor_b32_e32 v30, s26, v2
	v_and_b32_e32 v2, v1, v6
	v_and_b32_e32 v1, v4, v30
	v_mbcnt_lo_u32_b32 v4, v1, 0
	v_mbcnt_hi_u32_b32 v6, v2, v4
	v_cmp_ne_u64_e64 s[26:27], 0, v[1:2]
	v_cmp_eq_u32_e64 s[28:29], 0, v6
	s_and_b64 s[28:29], s[28:29], s[26:27]
	v_add_u32_e32 v30, v29, v3
	s_waitcnt lgkmcnt(0)
	s_barrier
	; wave barrier
	s_and_saveexec_b64 s[26:27], s[28:29]
; %bb.51:                               ;   in Loop: Header=BB376_2 Depth=1
	v_bcnt_u32_b32 v1, v1, 0
	v_bcnt_u32_b32 v1, v2, v1
	ds_write_b32 v30, v1 offset:32
; %bb.52:                               ;   in Loop: Header=BB376_2 Depth=1
	s_or_b64 exec, exec, s[26:27]
	; wave barrier
	s_waitcnt lgkmcnt(0)
	s_barrier
	ds_read2_b64 v[1:4], v22 offset0:4 offset1:5
	s_waitcnt lgkmcnt(0)
	v_add_u32_e32 v31, v2, v1
	v_add3_u32 v4, v31, v3, v4
	s_nop 1
	v_mov_b32_dpp v31, v4 row_shr:1 row_mask:0xf bank_mask:0xf
	v_cndmask_b32_e64 v31, v31, 0, s[8:9]
	v_add_u32_e32 v4, v31, v4
	s_nop 1
	v_mov_b32_dpp v31, v4 row_shr:2 row_mask:0xf bank_mask:0xf
	v_cndmask_b32_e64 v31, 0, v31, s[10:11]
	v_add_u32_e32 v4, v4, v31
	;; [unrolled: 4-line block ×4, first 2 shown]
	s_nop 1
	v_mov_b32_dpp v31, v4 row_bcast:15 row_mask:0xf bank_mask:0xf
	v_cndmask_b32_e64 v31, v31, 0, s[16:17]
	v_add_u32_e32 v4, v4, v31
	s_nop 1
	v_mov_b32_dpp v31, v4 row_bcast:31 row_mask:0xf bank_mask:0xf
	v_cndmask_b32_e64 v31, 0, v31, s[6:7]
	v_add_u32_e32 v4, v4, v31
	s_and_saveexec_b64 s[26:27], s[18:19]
; %bb.53:                               ;   in Loop: Header=BB376_2 Depth=1
	ds_write_b32 v23, v4
; %bb.54:                               ;   in Loop: Header=BB376_2 Depth=1
	s_or_b64 exec, exec, s[26:27]
	s_waitcnt lgkmcnt(0)
	s_barrier
	s_and_saveexec_b64 s[26:27], vcc
	s_cbranch_execz .LBB376_56
; %bb.55:                               ;   in Loop: Header=BB376_2 Depth=1
	ds_read_b32 v31, v24
	s_waitcnt lgkmcnt(0)
	s_nop 0
	v_mov_b32_dpp v32, v31 row_shr:1 row_mask:0xf bank_mask:0xf
	v_cndmask_b32_e64 v32, v32, 0, s[20:21]
	v_add_u32_e32 v31, v32, v31
	s_nop 1
	v_mov_b32_dpp v32, v31 row_shr:2 row_mask:0xf bank_mask:0xf
	v_cndmask_b32_e64 v32, 0, v32, s[22:23]
	v_add_u32_e32 v31, v31, v32
	;; [unrolled: 4-line block ×3, first 2 shown]
	ds_write_b32 v24, v31
.LBB376_56:                             ;   in Loop: Header=BB376_2 Depth=1
	s_or_b64 exec, exec, s[26:27]
	v_mov_b32_e32 v31, 0
	s_waitcnt lgkmcnt(0)
	s_barrier
	s_and_saveexec_b64 s[26:27], s[0:1]
; %bb.57:                               ;   in Loop: Header=BB376_2 Depth=1
	ds_read_b32 v31, v27
; %bb.58:                               ;   in Loop: Header=BB376_2 Depth=1
	s_or_b64 exec, exec, s[26:27]
	s_waitcnt lgkmcnt(0)
	v_add_u32_e32 v4, v31, v4
	ds_bpermute_b32 v4, v28, v4
	s_waitcnt lgkmcnt(0)
	v_cndmask_b32_e64 v4, v4, v31, s[4:5]
	v_cndmask_b32_e64 v31, v4, 0, s[2:3]
	v_add_u32_e32 v32, v31, v1
	v_add_u32_e32 v1, v32, v2
	;; [unrolled: 1-line block ×3, first 2 shown]
	ds_write2_b64 v22, v[31:32], v[1:2] offset0:4 offset1:5
	s_waitcnt lgkmcnt(0)
	s_barrier
	ds_read_b32 v1, v30 offset:32
	v_lshlrev_b32_e32 v2, 3, v6
	s_waitcnt lgkmcnt(0)
	s_barrier
	v_lshl_add_u32 v1, v1, 3, v2
	ds_write_b64 v1, v[11:12]
	s_waitcnt lgkmcnt(0)
	s_barrier
	ds_read_b64 v[11:12], v25
	v_mov_b32_e32 v1, s36
	v_mov_b32_e32 v3, s38
	;; [unrolled: 1-line block ×4, first 2 shown]
	s_waitcnt lgkmcnt(0)
	s_barrier
	ds_write2_b64 v22, v[1:2], v[3:4] offset0:4 offset1:5
	v_and_b32_sdwa v1, v11, v14 dst_sel:DWORD dst_unused:UNUSED_PAD src0_sel:BYTE_3 src1_sel:DWORD
	v_add_co_u32_e64 v2, s[26:27], -1, v1
	v_addc_co_u32_e64 v4, s[26:27], 0, -1, s[26:27]
	v_cmp_ne_u32_e64 s[26:27], 0, v1
	v_lshlrev_b32_sdwa v6, v15, v11 dst_sel:DWORD dst_unused:UNUSED_PAD src0_sel:DWORD src1_sel:BYTE_3
	v_xor_b32_e32 v1, s27, v4
	v_xor_b32_e32 v2, s26, v2
	v_cmp_gt_i64_e64 s[26:27], 0, v[5:6]
	v_not_b32_e32 v4, v6
	v_ashrrev_i32_e32 v4, 31, v4
	v_and_b32_e32 v1, exec_hi, v1
	v_xor_b32_e32 v6, s27, v4
	v_and_b32_e32 v2, exec_lo, v2
	v_xor_b32_e32 v4, s26, v4
	v_and_b32_e32 v1, v1, v6
	v_lshlrev_b32_sdwa v6, v16, v11 dst_sel:DWORD dst_unused:UNUSED_PAD src0_sel:DWORD src1_sel:BYTE_3
	v_and_b32_e32 v2, v2, v4
	v_cmp_gt_i64_e64 s[26:27], 0, v[5:6]
	v_not_b32_e32 v4, v6
	v_ashrrev_i32_e32 v4, 31, v4
	v_xor_b32_e32 v6, s27, v4
	v_xor_b32_e32 v4, s26, v4
	v_and_b32_e32 v1, v1, v6
	v_lshlrev_b32_sdwa v6, v17, v11 dst_sel:DWORD dst_unused:UNUSED_PAD src0_sel:DWORD src1_sel:BYTE_3
	v_and_b32_e32 v2, v2, v4
	v_cmp_gt_i64_e64 s[26:27], 0, v[5:6]
	v_not_b32_e32 v4, v6
	v_ashrrev_i32_e32 v4, 31, v4
	v_xor_b32_e32 v6, s27, v4
	;; [unrolled: 8-line block ×6, first 2 shown]
	v_xor_b32_e32 v30, s26, v2
	v_and_b32_e32 v2, v1, v6
	v_and_b32_e32 v1, v4, v30
	v_mbcnt_lo_u32_b32 v4, v1, 0
	v_mbcnt_hi_u32_b32 v6, v2, v4
	v_cmp_ne_u64_e64 s[26:27], 0, v[1:2]
	v_lshlrev_b32_sdwa v3, v13, v11 dst_sel:DWORD dst_unused:UNUSED_PAD src0_sel:DWORD src1_sel:BYTE_3
	v_cmp_eq_u32_e64 s[28:29], 0, v6
	s_and_b64 s[28:29], s[28:29], s[26:27]
	v_add_u32_e32 v30, v29, v3
	s_waitcnt lgkmcnt(0)
	s_barrier
	; wave barrier
	s_and_saveexec_b64 s[26:27], s[28:29]
; %bb.59:                               ;   in Loop: Header=BB376_2 Depth=1
	v_bcnt_u32_b32 v1, v1, 0
	v_bcnt_u32_b32 v1, v2, v1
	ds_write_b32 v30, v1 offset:32
; %bb.60:                               ;   in Loop: Header=BB376_2 Depth=1
	s_or_b64 exec, exec, s[26:27]
	; wave barrier
	s_waitcnt lgkmcnt(0)
	s_barrier
	ds_read2_b64 v[1:4], v22 offset0:4 offset1:5
	s_waitcnt lgkmcnt(0)
	v_add_u32_e32 v31, v2, v1
	v_add3_u32 v4, v31, v3, v4
	s_nop 1
	v_mov_b32_dpp v31, v4 row_shr:1 row_mask:0xf bank_mask:0xf
	v_cndmask_b32_e64 v31, v31, 0, s[8:9]
	v_add_u32_e32 v4, v31, v4
	s_nop 1
	v_mov_b32_dpp v31, v4 row_shr:2 row_mask:0xf bank_mask:0xf
	v_cndmask_b32_e64 v31, 0, v31, s[10:11]
	v_add_u32_e32 v4, v4, v31
	;; [unrolled: 4-line block ×4, first 2 shown]
	s_nop 1
	v_mov_b32_dpp v31, v4 row_bcast:15 row_mask:0xf bank_mask:0xf
	v_cndmask_b32_e64 v31, v31, 0, s[16:17]
	v_add_u32_e32 v4, v4, v31
	s_nop 1
	v_mov_b32_dpp v31, v4 row_bcast:31 row_mask:0xf bank_mask:0xf
	v_cndmask_b32_e64 v31, 0, v31, s[6:7]
	v_add_u32_e32 v4, v4, v31
	s_and_saveexec_b64 s[26:27], s[18:19]
; %bb.61:                               ;   in Loop: Header=BB376_2 Depth=1
	ds_write_b32 v23, v4
; %bb.62:                               ;   in Loop: Header=BB376_2 Depth=1
	s_or_b64 exec, exec, s[26:27]
	s_waitcnt lgkmcnt(0)
	s_barrier
	s_and_saveexec_b64 s[26:27], vcc
	s_cbranch_execz .LBB376_64
; %bb.63:                               ;   in Loop: Header=BB376_2 Depth=1
	ds_read_b32 v31, v24
	s_waitcnt lgkmcnt(0)
	s_nop 0
	v_mov_b32_dpp v32, v31 row_shr:1 row_mask:0xf bank_mask:0xf
	v_cndmask_b32_e64 v32, v32, 0, s[20:21]
	v_add_u32_e32 v31, v32, v31
	s_nop 1
	v_mov_b32_dpp v32, v31 row_shr:2 row_mask:0xf bank_mask:0xf
	v_cndmask_b32_e64 v32, 0, v32, s[22:23]
	v_add_u32_e32 v31, v31, v32
	;; [unrolled: 4-line block ×3, first 2 shown]
	ds_write_b32 v24, v31
.LBB376_64:                             ;   in Loop: Header=BB376_2 Depth=1
	s_or_b64 exec, exec, s[26:27]
	v_mov_b32_e32 v31, 0
	s_waitcnt lgkmcnt(0)
	s_barrier
	s_and_saveexec_b64 s[26:27], s[0:1]
	s_cbranch_execz .LBB376_1
; %bb.65:                               ;   in Loop: Header=BB376_2 Depth=1
	ds_read_b32 v31, v27
	s_branch .LBB376_1
.LBB376_66:
	s_add_u32 s0, s30, s34
	s_waitcnt lgkmcnt(0)
	v_xor_b32_e32 v2, 0x80000000, v12
	v_xor_b32_e32 v1, 0x80000000, v11
	s_addc_u32 s1, s31, s35
	v_lshlrev_b32_e32 v0, 3, v0
	global_store_dwordx2 v0, v[1:2], s[0:1]
	s_endpgm
	.section	.rodata,"a",@progbits
	.p2align	6, 0x0
	.amdhsa_kernel _Z16sort_keys_kernelI22helper_blocked_stripedN15benchmark_utils11custom_typeIiiEELj512ELj1ELj10EEvPKT0_PS4_
		.amdhsa_group_segment_fixed_size 8224
		.amdhsa_private_segment_fixed_size 0
		.amdhsa_kernarg_size 272
		.amdhsa_user_sgpr_count 6
		.amdhsa_user_sgpr_private_segment_buffer 1
		.amdhsa_user_sgpr_dispatch_ptr 0
		.amdhsa_user_sgpr_queue_ptr 0
		.amdhsa_user_sgpr_kernarg_segment_ptr 1
		.amdhsa_user_sgpr_dispatch_id 0
		.amdhsa_user_sgpr_flat_scratch_init 0
		.amdhsa_user_sgpr_private_segment_size 0
		.amdhsa_uses_dynamic_stack 0
		.amdhsa_system_sgpr_private_segment_wavefront_offset 0
		.amdhsa_system_sgpr_workgroup_id_x 1
		.amdhsa_system_sgpr_workgroup_id_y 0
		.amdhsa_system_sgpr_workgroup_id_z 0
		.amdhsa_system_sgpr_workgroup_info 0
		.amdhsa_system_vgpr_workitem_id 2
		.amdhsa_next_free_vgpr 33
		.amdhsa_next_free_sgpr 42
		.amdhsa_reserve_vcc 1
		.amdhsa_reserve_flat_scratch 0
		.amdhsa_float_round_mode_32 0
		.amdhsa_float_round_mode_16_64 0
		.amdhsa_float_denorm_mode_32 3
		.amdhsa_float_denorm_mode_16_64 3
		.amdhsa_dx10_clamp 1
		.amdhsa_ieee_mode 1
		.amdhsa_fp16_overflow 0
		.amdhsa_exception_fp_ieee_invalid_op 0
		.amdhsa_exception_fp_denorm_src 0
		.amdhsa_exception_fp_ieee_div_zero 0
		.amdhsa_exception_fp_ieee_overflow 0
		.amdhsa_exception_fp_ieee_underflow 0
		.amdhsa_exception_fp_ieee_inexact 0
		.amdhsa_exception_int_div_zero 0
	.end_amdhsa_kernel
	.section	.text._Z16sort_keys_kernelI22helper_blocked_stripedN15benchmark_utils11custom_typeIiiEELj512ELj1ELj10EEvPKT0_PS4_,"axG",@progbits,_Z16sort_keys_kernelI22helper_blocked_stripedN15benchmark_utils11custom_typeIiiEELj512ELj1ELj10EEvPKT0_PS4_,comdat
.Lfunc_end376:
	.size	_Z16sort_keys_kernelI22helper_blocked_stripedN15benchmark_utils11custom_typeIiiEELj512ELj1ELj10EEvPKT0_PS4_, .Lfunc_end376-_Z16sort_keys_kernelI22helper_blocked_stripedN15benchmark_utils11custom_typeIiiEELj512ELj1ELj10EEvPKT0_PS4_
                                        ; -- End function
	.set _Z16sort_keys_kernelI22helper_blocked_stripedN15benchmark_utils11custom_typeIiiEELj512ELj1ELj10EEvPKT0_PS4_.num_vgpr, 33
	.set _Z16sort_keys_kernelI22helper_blocked_stripedN15benchmark_utils11custom_typeIiiEELj512ELj1ELj10EEvPKT0_PS4_.num_agpr, 0
	.set _Z16sort_keys_kernelI22helper_blocked_stripedN15benchmark_utils11custom_typeIiiEELj512ELj1ELj10EEvPKT0_PS4_.numbered_sgpr, 42
	.set _Z16sort_keys_kernelI22helper_blocked_stripedN15benchmark_utils11custom_typeIiiEELj512ELj1ELj10EEvPKT0_PS4_.num_named_barrier, 0
	.set _Z16sort_keys_kernelI22helper_blocked_stripedN15benchmark_utils11custom_typeIiiEELj512ELj1ELj10EEvPKT0_PS4_.private_seg_size, 0
	.set _Z16sort_keys_kernelI22helper_blocked_stripedN15benchmark_utils11custom_typeIiiEELj512ELj1ELj10EEvPKT0_PS4_.uses_vcc, 1
	.set _Z16sort_keys_kernelI22helper_blocked_stripedN15benchmark_utils11custom_typeIiiEELj512ELj1ELj10EEvPKT0_PS4_.uses_flat_scratch, 0
	.set _Z16sort_keys_kernelI22helper_blocked_stripedN15benchmark_utils11custom_typeIiiEELj512ELj1ELj10EEvPKT0_PS4_.has_dyn_sized_stack, 0
	.set _Z16sort_keys_kernelI22helper_blocked_stripedN15benchmark_utils11custom_typeIiiEELj512ELj1ELj10EEvPKT0_PS4_.has_recursion, 0
	.set _Z16sort_keys_kernelI22helper_blocked_stripedN15benchmark_utils11custom_typeIiiEELj512ELj1ELj10EEvPKT0_PS4_.has_indirect_call, 0
	.section	.AMDGPU.csdata,"",@progbits
; Kernel info:
; codeLenInByte = 7476
; TotalNumSgprs: 46
; NumVgprs: 33
; ScratchSize: 0
; MemoryBound: 0
; FloatMode: 240
; IeeeMode: 1
; LDSByteSize: 8224 bytes/workgroup (compile time only)
; SGPRBlocks: 5
; VGPRBlocks: 8
; NumSGPRsForWavesPerEU: 46
; NumVGPRsForWavesPerEU: 33
; Occupancy: 7
; WaveLimiterHint : 0
; COMPUTE_PGM_RSRC2:SCRATCH_EN: 0
; COMPUTE_PGM_RSRC2:USER_SGPR: 6
; COMPUTE_PGM_RSRC2:TRAP_HANDLER: 0
; COMPUTE_PGM_RSRC2:TGID_X_EN: 1
; COMPUTE_PGM_RSRC2:TGID_Y_EN: 0
; COMPUTE_PGM_RSRC2:TGID_Z_EN: 0
; COMPUTE_PGM_RSRC2:TIDIG_COMP_CNT: 2
	.section	.text._Z17sort_pairs_kernelI22helper_blocked_stripedN15benchmark_utils11custom_typeIiiEELj512ELj1ELj10EEvPKT0_PS4_,"axG",@progbits,_Z17sort_pairs_kernelI22helper_blocked_stripedN15benchmark_utils11custom_typeIiiEELj512ELj1ELj10EEvPKT0_PS4_,comdat
	.protected	_Z17sort_pairs_kernelI22helper_blocked_stripedN15benchmark_utils11custom_typeIiiEELj512ELj1ELj10EEvPKT0_PS4_ ; -- Begin function _Z17sort_pairs_kernelI22helper_blocked_stripedN15benchmark_utils11custom_typeIiiEELj512ELj1ELj10EEvPKT0_PS4_
	.globl	_Z17sort_pairs_kernelI22helper_blocked_stripedN15benchmark_utils11custom_typeIiiEELj512ELj1ELj10EEvPKT0_PS4_
	.p2align	8
	.type	_Z17sort_pairs_kernelI22helper_blocked_stripedN15benchmark_utils11custom_typeIiiEELj512ELj1ELj10EEvPKT0_PS4_,@function
_Z17sort_pairs_kernelI22helper_blocked_stripedN15benchmark_utils11custom_typeIiiEELj512ELj1ELj10EEvPKT0_PS4_: ; @_Z17sort_pairs_kernelI22helper_blocked_stripedN15benchmark_utils11custom_typeIiiEELj512ELj1ELj10EEvPKT0_PS4_
; %bb.0:
	s_load_dwordx4 s[28:31], s[4:5], 0x0
	s_load_dword s41, s[4:5], 0x1c
	s_lshl_b32 s36, s6, 9
	s_mov_b32 s37, 0
	s_lshl_b64 s[34:35], s[36:37], 3
	s_waitcnt lgkmcnt(0)
	s_add_u32 s0, s28, s34
	s_addc_u32 s1, s29, s35
	v_lshlrev_b32_e32 v3, 3, v0
	global_load_dwordx2 v[3:4], v3, s[0:1]
	s_lshr_b32 s28, s41, 16
	v_mbcnt_lo_u32_b32 v6, -1, 0
	s_and_b32 s29, s41, 0xffff
	v_mad_u32_u24 v1, v2, s28, v1
	v_mbcnt_hi_u32_b32 v6, -1, v6
	v_mad_u64_u32 v[1:2], s[28:29], v1, s29, v[0:1]
	v_subrev_co_u32_e64 v13, s[6:7], 1, v6
	v_and_b32_e32 v14, 64, v6
	v_lshlrev_b32_e32 v20, 4, v0
	v_and_b32_e32 v7, 0x1c0, v0
	v_and_b32_e32 v10, 15, v6
	v_cmp_lt_i32_e32 vcc, v13, v14
	v_lshrrev_b32_e32 v8, 4, v0
	v_lshlrev_b32_e32 v9, 2, v0
	s_mov_b32 s38, s37
	v_or_b32_e32 v12, 63, v7
	v_and_b32_e32 v23, 7, v6
	v_lshlrev_b32_e32 v7, 3, v7
	v_mad_i32_i24 v22, v0, -12, v20
	s_mov_b32 s36, s37
	v_cmp_eq_u32_e64 s[10:11], 0, v10
	v_cmp_lt_u32_e64 s[12:13], 1, v10
	v_cmp_lt_u32_e64 s[14:15], 3, v10
	;; [unrolled: 1-line block ×3, first 2 shown]
	v_cndmask_b32_e32 v10, v13, v6, vcc
	s_mov_b32 s39, s37
	v_and_b32_e32 v11, 16, v6
	v_and_b32_e32 v21, 28, v8
	v_cmp_eq_u32_e64 s[22:23], 0, v23
	v_cmp_lt_u32_e64 s[24:25], 1, v23
	v_cmp_lt_u32_e64 s[26:27], 3, v23
	v_lshl_add_u32 v23, v6, 3, v7
	v_add_u32_e32 v24, v22, v9
	v_mov_b32_e32 v7, s36
	v_lshlrev_b32_e32 v26, 2, v10
	v_lshrrev_b32_e32 v1, 4, v1
	v_mov_b32_e32 v9, s38
	s_movk_i32 s33, 0xff
	v_mov_b32_e32 v15, 5
	v_mov_b32_e32 v16, 27
	;; [unrolled: 1-line block ×6, first 2 shown]
	v_cmp_gt_u32_e64 s[0:1], 8, v0
	v_cmp_lt_u32_e64 s[2:3], 63, v0
	v_cmp_eq_u32_e64 s[4:5], 0, v0
	s_mov_b32 s40, s37
	v_cmp_lt_u32_e64 s[8:9], 31, v6
	v_cmp_eq_u32_e64 s[18:19], 0, v11
	v_cmp_eq_u32_e64 s[20:21], v0, v12
	v_add_u32_e32 v25, -4, v21
	v_mov_b32_e32 v8, s37
	v_and_b32_e32 v27, 0xffffffc, v1
	v_mov_b32_e32 v10, s39
	s_waitcnt vmcnt(0)
	v_add_u32_e32 v14, 1, v4
	v_add_u32_e32 v13, 1, v3
	v_xor_b32_e32 v11, 0x80000000, v3
	v_xor_b32_e32 v12, 0x80000000, v4
	s_branch .LBB377_2
.LBB377_1:                              ;   in Loop: Header=BB377_2 Depth=1
	s_barrier
	ds_write_b64 v6, v[3:4]
	s_waitcnt lgkmcnt(0)
	s_barrier
	ds_read_b64 v[11:12], v24
	s_waitcnt lgkmcnt(0)
	s_barrier
	ds_write_b64 v6, v[1:2]
	s_waitcnt lgkmcnt(0)
	s_barrier
	ds_read_b64 v[13:14], v24
	s_add_i32 s40, s40, 1
	s_cmp_eq_u32 s40, 10
	s_cbranch_scc1 .LBB377_38
.LBB377_2:                              ; =>This Loop Header: Depth=1
                                        ;     Child Loop BB377_28 Depth 2
	v_and_b32_e32 v1, 1, v12
	v_add_co_u32_e32 v2, vcc, -1, v1
	v_addc_co_u32_e64 v4, s[28:29], 0, -1, vcc
	v_cmp_ne_u32_e32 vcc, 0, v1
	v_lshlrev_b32_e32 v6, 30, v12
	v_xor_b32_e32 v1, vcc_hi, v4
	v_xor_b32_e32 v2, vcc_lo, v2
	v_cmp_gt_i64_e32 vcc, 0, v[5:6]
	v_not_b32_e32 v4, v6
	v_ashrrev_i32_e32 v4, 31, v4
	v_and_b32_e32 v1, exec_hi, v1
	v_xor_b32_e32 v6, vcc_hi, v4
	v_and_b32_e32 v2, exec_lo, v2
	v_xor_b32_e32 v4, vcc_lo, v4
	v_and_b32_e32 v1, v1, v6
	v_lshlrev_b32_e32 v6, 29, v12
	v_and_b32_e32 v2, v2, v4
	v_cmp_gt_i64_e32 vcc, 0, v[5:6]
	v_not_b32_e32 v4, v6
	v_ashrrev_i32_e32 v4, 31, v4
	v_xor_b32_e32 v6, vcc_hi, v4
	v_xor_b32_e32 v4, vcc_lo, v4
	v_and_b32_e32 v1, v1, v6
	v_lshlrev_b32_e32 v6, 28, v12
	v_and_b32_e32 v2, v2, v4
	v_cmp_gt_i64_e32 vcc, 0, v[5:6]
	v_not_b32_e32 v4, v6
	v_ashrrev_i32_e32 v4, 31, v4
	v_xor_b32_e32 v6, vcc_hi, v4
	;; [unrolled: 8-line block ×6, first 2 shown]
	v_xor_b32_e32 v28, vcc_lo, v2
	v_and_b32_e32 v2, v1, v6
	v_and_b32_e32 v1, v4, v28
	v_mbcnt_lo_u32_b32 v4, v1, 0
	v_mbcnt_hi_u32_b32 v6, v2, v4
	v_cmp_ne_u64_e32 vcc, 0, v[1:2]
	v_lshlrev_b32_sdwa v3, v15, v12 dst_sel:DWORD dst_unused:UNUSED_PAD src0_sel:DWORD src1_sel:BYTE_0
	v_cmp_eq_u32_e64 s[28:29], 0, v6
	s_and_b64 s[42:43], s[28:29], vcc
	v_add_u32_e32 v28, v27, v3
	ds_write2_b64 v20, v[7:8], v[9:10] offset0:4 offset1:5
	s_waitcnt lgkmcnt(0)
	s_barrier
	; wave barrier
	s_and_saveexec_b64 s[28:29], s[42:43]
; %bb.3:                                ;   in Loop: Header=BB377_2 Depth=1
	v_bcnt_u32_b32 v1, v1, 0
	v_bcnt_u32_b32 v1, v2, v1
	ds_write_b32 v28, v1 offset:32
; %bb.4:                                ;   in Loop: Header=BB377_2 Depth=1
	s_or_b64 exec, exec, s[28:29]
	; wave barrier
	s_waitcnt lgkmcnt(0)
	s_barrier
	ds_read2_b64 v[1:4], v20 offset0:4 offset1:5
	s_waitcnt lgkmcnt(0)
	v_add_u32_e32 v29, v2, v1
	v_add3_u32 v4, v29, v3, v4
	s_nop 1
	v_mov_b32_dpp v29, v4 row_shr:1 row_mask:0xf bank_mask:0xf
	v_cndmask_b32_e64 v29, v29, 0, s[10:11]
	v_add_u32_e32 v4, v29, v4
	s_nop 1
	v_mov_b32_dpp v29, v4 row_shr:2 row_mask:0xf bank_mask:0xf
	v_cndmask_b32_e64 v29, 0, v29, s[12:13]
	v_add_u32_e32 v4, v4, v29
	;; [unrolled: 4-line block ×4, first 2 shown]
	s_nop 1
	v_mov_b32_dpp v29, v4 row_bcast:15 row_mask:0xf bank_mask:0xf
	v_cndmask_b32_e64 v29, v29, 0, s[18:19]
	v_add_u32_e32 v4, v4, v29
	s_nop 1
	v_mov_b32_dpp v29, v4 row_bcast:31 row_mask:0xf bank_mask:0xf
	v_cndmask_b32_e64 v29, 0, v29, s[8:9]
	v_add_u32_e32 v4, v4, v29
	s_and_saveexec_b64 s[28:29], s[20:21]
; %bb.5:                                ;   in Loop: Header=BB377_2 Depth=1
	ds_write_b32 v21, v4
; %bb.6:                                ;   in Loop: Header=BB377_2 Depth=1
	s_or_b64 exec, exec, s[28:29]
	s_waitcnt lgkmcnt(0)
	s_barrier
	s_and_saveexec_b64 s[28:29], s[0:1]
	s_cbranch_execz .LBB377_8
; %bb.7:                                ;   in Loop: Header=BB377_2 Depth=1
	ds_read_b32 v29, v22
	s_waitcnt lgkmcnt(0)
	s_nop 0
	v_mov_b32_dpp v30, v29 row_shr:1 row_mask:0xf bank_mask:0xf
	v_cndmask_b32_e64 v30, v30, 0, s[22:23]
	v_add_u32_e32 v29, v30, v29
	s_nop 1
	v_mov_b32_dpp v30, v29 row_shr:2 row_mask:0xf bank_mask:0xf
	v_cndmask_b32_e64 v30, 0, v30, s[24:25]
	v_add_u32_e32 v29, v29, v30
	;; [unrolled: 4-line block ×3, first 2 shown]
	ds_write_b32 v22, v29
.LBB377_8:                              ;   in Loop: Header=BB377_2 Depth=1
	s_or_b64 exec, exec, s[28:29]
	v_mov_b32_e32 v29, 0
	s_waitcnt lgkmcnt(0)
	s_barrier
	s_and_saveexec_b64 s[28:29], s[2:3]
; %bb.9:                                ;   in Loop: Header=BB377_2 Depth=1
	ds_read_b32 v29, v25
; %bb.10:                               ;   in Loop: Header=BB377_2 Depth=1
	s_or_b64 exec, exec, s[28:29]
	s_waitcnt lgkmcnt(0)
	v_add_u32_e32 v4, v29, v4
	ds_bpermute_b32 v4, v26, v4
	s_waitcnt lgkmcnt(0)
	v_cndmask_b32_e64 v4, v4, v29, s[6:7]
	v_cndmask_b32_e64 v29, v4, 0, s[4:5]
	v_add_u32_e32 v30, v29, v1
	v_add_u32_e32 v1, v30, v2
	;; [unrolled: 1-line block ×3, first 2 shown]
	ds_write2_b64 v20, v[29:30], v[1:2] offset0:4 offset1:5
	s_waitcnt lgkmcnt(0)
	s_barrier
	ds_read_b32 v1, v28 offset:32
	v_lshlrev_b32_e32 v2, 3, v6
	s_waitcnt lgkmcnt(0)
	s_barrier
	v_lshl_add_u32 v1, v1, 3, v2
	ds_write_b64 v1, v[11:12]
	s_waitcnt lgkmcnt(0)
	s_barrier
	ds_read_b64 v[11:12], v23
	s_waitcnt lgkmcnt(0)
	s_barrier
	ds_write_b64 v1, v[13:14]
	v_lshrrev_b32_e32 v1, 8, v12
	v_and_b32_e32 v2, 1, v1
	v_add_co_u32_e32 v4, vcc, -1, v2
	v_addc_co_u32_e64 v6, s[28:29], 0, -1, vcc
	v_cmp_ne_u32_e32 vcc, 0, v2
	v_xor_b32_e32 v2, vcc_hi, v6
	v_lshlrev_b32_e32 v6, 30, v1
	v_xor_b32_e32 v4, vcc_lo, v4
	v_cmp_gt_i64_e32 vcc, 0, v[5:6]
	v_not_b32_e32 v6, v6
	v_ashrrev_i32_e32 v6, 31, v6
	v_and_b32_e32 v4, exec_lo, v4
	v_xor_b32_e32 v28, vcc_hi, v6
	v_xor_b32_e32 v6, vcc_lo, v6
	v_and_b32_e32 v4, v4, v6
	v_lshlrev_b32_e32 v6, 29, v1
	v_cmp_gt_i64_e32 vcc, 0, v[5:6]
	v_not_b32_e32 v6, v6
	v_and_b32_e32 v2, exec_hi, v2
	v_ashrrev_i32_e32 v6, 31, v6
	v_and_b32_e32 v2, v2, v28
	v_xor_b32_e32 v28, vcc_hi, v6
	v_xor_b32_e32 v6, vcc_lo, v6
	v_and_b32_e32 v4, v4, v6
	v_lshlrev_b32_e32 v6, 28, v1
	v_cmp_gt_i64_e32 vcc, 0, v[5:6]
	v_not_b32_e32 v6, v6
	v_ashrrev_i32_e32 v6, 31, v6
	v_and_b32_e32 v2, v2, v28
	v_xor_b32_e32 v28, vcc_hi, v6
	v_xor_b32_e32 v6, vcc_lo, v6
	v_and_b32_e32 v4, v4, v6
	v_lshlrev_b32_e32 v6, 27, v1
	v_cmp_gt_i64_e32 vcc, 0, v[5:6]
	v_not_b32_e32 v6, v6
	;; [unrolled: 8-line block ×4, first 2 shown]
	v_ashrrev_i32_e32 v6, 31, v6
	v_and_b32_e32 v2, v2, v28
	v_xor_b32_e32 v28, vcc_hi, v6
	v_xor_b32_e32 v6, vcc_lo, v6
	v_and_b32_e32 v4, v4, v6
	v_lshlrev_b32_e32 v6, 24, v1
	v_lshlrev_b32_sdwa v3, v15, v1 dst_sel:DWORD dst_unused:UNUSED_PAD src0_sel:DWORD src1_sel:BYTE_0
	v_cmp_gt_i64_e32 vcc, 0, v[5:6]
	v_not_b32_e32 v1, v6
	v_ashrrev_i32_e32 v1, 31, v1
	v_xor_b32_e32 v6, vcc_hi, v1
	v_xor_b32_e32 v1, vcc_lo, v1
	s_waitcnt lgkmcnt(0)
	s_barrier
	ds_read_b64 v[13:14], v23
	v_and_b32_e32 v2, v2, v28
	v_and_b32_e32 v1, v4, v1
	;; [unrolled: 1-line block ×3, first 2 shown]
	v_mbcnt_lo_u32_b32 v4, v1, 0
	v_mbcnt_hi_u32_b32 v6, v2, v4
	v_cmp_ne_u64_e32 vcc, 0, v[1:2]
	v_cmp_eq_u32_e64 s[28:29], 0, v6
	s_and_b64 s[42:43], s[28:29], vcc
	v_add_u32_e32 v28, v27, v3
	s_waitcnt lgkmcnt(0)
	s_barrier
	ds_write2_b64 v20, v[7:8], v[9:10] offset0:4 offset1:5
	s_waitcnt lgkmcnt(0)
	s_barrier
	; wave barrier
	s_and_saveexec_b64 s[28:29], s[42:43]
; %bb.11:                               ;   in Loop: Header=BB377_2 Depth=1
	v_bcnt_u32_b32 v1, v1, 0
	v_bcnt_u32_b32 v1, v2, v1
	ds_write_b32 v28, v1 offset:32
; %bb.12:                               ;   in Loop: Header=BB377_2 Depth=1
	s_or_b64 exec, exec, s[28:29]
	; wave barrier
	s_waitcnt lgkmcnt(0)
	s_barrier
	ds_read2_b64 v[1:4], v20 offset0:4 offset1:5
	s_waitcnt lgkmcnt(0)
	v_add_u32_e32 v29, v2, v1
	v_add3_u32 v4, v29, v3, v4
	s_nop 1
	v_mov_b32_dpp v29, v4 row_shr:1 row_mask:0xf bank_mask:0xf
	v_cndmask_b32_e64 v29, v29, 0, s[10:11]
	v_add_u32_e32 v4, v29, v4
	s_nop 1
	v_mov_b32_dpp v29, v4 row_shr:2 row_mask:0xf bank_mask:0xf
	v_cndmask_b32_e64 v29, 0, v29, s[12:13]
	v_add_u32_e32 v4, v4, v29
	;; [unrolled: 4-line block ×4, first 2 shown]
	s_nop 1
	v_mov_b32_dpp v29, v4 row_bcast:15 row_mask:0xf bank_mask:0xf
	v_cndmask_b32_e64 v29, v29, 0, s[18:19]
	v_add_u32_e32 v4, v4, v29
	s_nop 1
	v_mov_b32_dpp v29, v4 row_bcast:31 row_mask:0xf bank_mask:0xf
	v_cndmask_b32_e64 v29, 0, v29, s[8:9]
	v_add_u32_e32 v4, v4, v29
	s_and_saveexec_b64 s[28:29], s[20:21]
; %bb.13:                               ;   in Loop: Header=BB377_2 Depth=1
	ds_write_b32 v21, v4
; %bb.14:                               ;   in Loop: Header=BB377_2 Depth=1
	s_or_b64 exec, exec, s[28:29]
	s_waitcnt lgkmcnt(0)
	s_barrier
	s_and_saveexec_b64 s[28:29], s[0:1]
	s_cbranch_execz .LBB377_16
; %bb.15:                               ;   in Loop: Header=BB377_2 Depth=1
	ds_read_b32 v29, v22
	s_waitcnt lgkmcnt(0)
	s_nop 0
	v_mov_b32_dpp v30, v29 row_shr:1 row_mask:0xf bank_mask:0xf
	v_cndmask_b32_e64 v30, v30, 0, s[22:23]
	v_add_u32_e32 v29, v30, v29
	s_nop 1
	v_mov_b32_dpp v30, v29 row_shr:2 row_mask:0xf bank_mask:0xf
	v_cndmask_b32_e64 v30, 0, v30, s[24:25]
	v_add_u32_e32 v29, v29, v30
	;; [unrolled: 4-line block ×3, first 2 shown]
	ds_write_b32 v22, v29
.LBB377_16:                             ;   in Loop: Header=BB377_2 Depth=1
	s_or_b64 exec, exec, s[28:29]
	v_mov_b32_e32 v29, 0
	s_waitcnt lgkmcnt(0)
	s_barrier
	s_and_saveexec_b64 s[28:29], s[2:3]
; %bb.17:                               ;   in Loop: Header=BB377_2 Depth=1
	ds_read_b32 v29, v25
; %bb.18:                               ;   in Loop: Header=BB377_2 Depth=1
	s_or_b64 exec, exec, s[28:29]
	s_waitcnt lgkmcnt(0)
	v_add_u32_e32 v4, v29, v4
	ds_bpermute_b32 v4, v26, v4
	s_waitcnt lgkmcnt(0)
	v_cndmask_b32_e64 v4, v4, v29, s[6:7]
	v_cndmask_b32_e64 v29, v4, 0, s[4:5]
	v_add_u32_e32 v30, v29, v1
	v_add_u32_e32 v1, v30, v2
	;; [unrolled: 1-line block ×3, first 2 shown]
	ds_write2_b64 v20, v[29:30], v[1:2] offset0:4 offset1:5
	s_waitcnt lgkmcnt(0)
	s_barrier
	ds_read_b32 v1, v28 offset:32
	v_lshlrev_b32_e32 v2, 3, v6
	s_waitcnt lgkmcnt(0)
	s_barrier
	v_lshl_add_u32 v1, v1, 3, v2
	ds_write_b64 v1, v[11:12]
	s_waitcnt lgkmcnt(0)
	s_barrier
	ds_read_b64 v[11:12], v23
	s_waitcnt lgkmcnt(0)
	s_barrier
	ds_write_b64 v1, v[13:14]
	v_and_b32_sdwa v1, v12, s33 dst_sel:DWORD dst_unused:UNUSED_PAD src0_sel:WORD_1 src1_sel:DWORD
	v_lshlrev_b32_e32 v3, 5, v1
	v_mov_b32_e32 v1, 1
	v_and_b32_sdwa v1, v12, v1 dst_sel:DWORD dst_unused:UNUSED_PAD src0_sel:WORD_1 src1_sel:DWORD
	v_add_co_u32_e32 v2, vcc, -1, v1
	v_addc_co_u32_e64 v4, s[28:29], 0, -1, vcc
	v_cmp_ne_u32_e32 vcc, 0, v1
	v_xor_b32_e32 v1, vcc_hi, v4
	v_mov_b32_e32 v4, 30
	v_lshlrev_b32_sdwa v6, v4, v12 dst_sel:DWORD dst_unused:UNUSED_PAD src0_sel:DWORD src1_sel:WORD_1
	v_xor_b32_e32 v2, vcc_lo, v2
	v_cmp_gt_i64_e32 vcc, 0, v[5:6]
	v_not_b32_e32 v4, v6
	v_ashrrev_i32_e32 v4, 31, v4
	v_and_b32_e32 v2, exec_lo, v2
	v_xor_b32_e32 v6, vcc_hi, v4
	v_xor_b32_e32 v4, vcc_lo, v4
	v_and_b32_e32 v1, exec_hi, v1
	v_and_b32_e32 v2, v2, v4
	v_mov_b32_e32 v4, 29
	v_and_b32_e32 v1, v1, v6
	v_lshlrev_b32_sdwa v6, v4, v12 dst_sel:DWORD dst_unused:UNUSED_PAD src0_sel:DWORD src1_sel:WORD_1
	v_cmp_gt_i64_e32 vcc, 0, v[5:6]
	v_not_b32_e32 v4, v6
	v_ashrrev_i32_e32 v4, 31, v4
	v_xor_b32_e32 v6, vcc_hi, v4
	v_xor_b32_e32 v4, vcc_lo, v4
	v_and_b32_e32 v2, v2, v4
	v_mov_b32_e32 v4, 28
	v_and_b32_e32 v1, v1, v6
	v_lshlrev_b32_sdwa v6, v4, v12 dst_sel:DWORD dst_unused:UNUSED_PAD src0_sel:DWORD src1_sel:WORD_1
	v_cmp_gt_i64_e32 vcc, 0, v[5:6]
	v_not_b32_e32 v4, v6
	v_ashrrev_i32_e32 v4, 31, v4
	v_xor_b32_e32 v6, vcc_hi, v4
	v_xor_b32_e32 v4, vcc_lo, v4
	v_and_b32_e32 v1, v1, v6
	v_lshlrev_b32_sdwa v6, v16, v12 dst_sel:DWORD dst_unused:UNUSED_PAD src0_sel:DWORD src1_sel:WORD_1
	v_and_b32_e32 v2, v2, v4
	v_cmp_gt_i64_e32 vcc, 0, v[5:6]
	v_not_b32_e32 v4, v6
	v_ashrrev_i32_e32 v4, 31, v4
	v_xor_b32_e32 v6, vcc_hi, v4
	v_xor_b32_e32 v4, vcc_lo, v4
	v_and_b32_e32 v1, v1, v6
	v_lshlrev_b32_sdwa v6, v17, v12 dst_sel:DWORD dst_unused:UNUSED_PAD src0_sel:DWORD src1_sel:WORD_1
	v_and_b32_e32 v2, v2, v4
	;; [unrolled: 8-line block ×4, first 2 shown]
	v_cmp_gt_i64_e32 vcc, 0, v[5:6]
	v_not_b32_e32 v2, v6
	v_ashrrev_i32_e32 v2, 31, v2
	v_xor_b32_e32 v6, vcc_hi, v2
	v_xor_b32_e32 v28, vcc_lo, v2
	s_waitcnt lgkmcnt(0)
	s_barrier
	ds_read_b64 v[13:14], v23
	v_and_b32_e32 v2, v1, v6
	v_and_b32_e32 v1, v4, v28
	v_mbcnt_lo_u32_b32 v4, v1, 0
	v_mbcnt_hi_u32_b32 v6, v2, v4
	v_cmp_ne_u64_e32 vcc, 0, v[1:2]
	v_cmp_eq_u32_e64 s[28:29], 0, v6
	s_and_b64 s[42:43], s[28:29], vcc
	v_add_u32_e32 v28, v27, v3
	s_waitcnt lgkmcnt(0)
	s_barrier
	ds_write2_b64 v20, v[7:8], v[9:10] offset0:4 offset1:5
	s_waitcnt lgkmcnt(0)
	s_barrier
	; wave barrier
	s_and_saveexec_b64 s[28:29], s[42:43]
; %bb.19:                               ;   in Loop: Header=BB377_2 Depth=1
	v_bcnt_u32_b32 v1, v1, 0
	v_bcnt_u32_b32 v1, v2, v1
	ds_write_b32 v28, v1 offset:32
; %bb.20:                               ;   in Loop: Header=BB377_2 Depth=1
	s_or_b64 exec, exec, s[28:29]
	; wave barrier
	s_waitcnt lgkmcnt(0)
	s_barrier
	ds_read2_b64 v[1:4], v20 offset0:4 offset1:5
	s_waitcnt lgkmcnt(0)
	v_add_u32_e32 v29, v2, v1
	v_add3_u32 v4, v29, v3, v4
	s_nop 1
	v_mov_b32_dpp v29, v4 row_shr:1 row_mask:0xf bank_mask:0xf
	v_cndmask_b32_e64 v29, v29, 0, s[10:11]
	v_add_u32_e32 v4, v29, v4
	s_nop 1
	v_mov_b32_dpp v29, v4 row_shr:2 row_mask:0xf bank_mask:0xf
	v_cndmask_b32_e64 v29, 0, v29, s[12:13]
	v_add_u32_e32 v4, v4, v29
	;; [unrolled: 4-line block ×4, first 2 shown]
	s_nop 1
	v_mov_b32_dpp v29, v4 row_bcast:15 row_mask:0xf bank_mask:0xf
	v_cndmask_b32_e64 v29, v29, 0, s[18:19]
	v_add_u32_e32 v4, v4, v29
	s_nop 1
	v_mov_b32_dpp v29, v4 row_bcast:31 row_mask:0xf bank_mask:0xf
	v_cndmask_b32_e64 v29, 0, v29, s[8:9]
	v_add_u32_e32 v4, v4, v29
	s_and_saveexec_b64 s[28:29], s[20:21]
; %bb.21:                               ;   in Loop: Header=BB377_2 Depth=1
	ds_write_b32 v21, v4
; %bb.22:                               ;   in Loop: Header=BB377_2 Depth=1
	s_or_b64 exec, exec, s[28:29]
	s_waitcnt lgkmcnt(0)
	s_barrier
	s_and_saveexec_b64 s[28:29], s[0:1]
	s_cbranch_execz .LBB377_24
; %bb.23:                               ;   in Loop: Header=BB377_2 Depth=1
	ds_read_b32 v29, v22
	s_waitcnt lgkmcnt(0)
	s_nop 0
	v_mov_b32_dpp v30, v29 row_shr:1 row_mask:0xf bank_mask:0xf
	v_cndmask_b32_e64 v30, v30, 0, s[22:23]
	v_add_u32_e32 v29, v30, v29
	s_nop 1
	v_mov_b32_dpp v30, v29 row_shr:2 row_mask:0xf bank_mask:0xf
	v_cndmask_b32_e64 v30, 0, v30, s[24:25]
	v_add_u32_e32 v29, v29, v30
	;; [unrolled: 4-line block ×3, first 2 shown]
	ds_write_b32 v22, v29
.LBB377_24:                             ;   in Loop: Header=BB377_2 Depth=1
	s_or_b64 exec, exec, s[28:29]
	v_mov_b32_e32 v29, 0
	s_waitcnt lgkmcnt(0)
	s_barrier
	s_and_saveexec_b64 s[28:29], s[2:3]
; %bb.25:                               ;   in Loop: Header=BB377_2 Depth=1
	ds_read_b32 v29, v25
; %bb.26:                               ;   in Loop: Header=BB377_2 Depth=1
	s_or_b64 exec, exec, s[28:29]
	s_waitcnt lgkmcnt(0)
	v_add_u32_e32 v4, v29, v4
	ds_bpermute_b32 v4, v26, v4
	s_mov_b32 s41, 24
	s_mov_b32 s42, 8
	s_waitcnt lgkmcnt(0)
	v_cndmask_b32_e64 v4, v4, v29, s[6:7]
	v_cndmask_b32_e64 v29, v4, 0, s[4:5]
	v_add_u32_e32 v30, v29, v1
	v_add_u32_e32 v1, v30, v2
	;; [unrolled: 1-line block ×3, first 2 shown]
	ds_write2_b64 v20, v[29:30], v[1:2] offset0:4 offset1:5
	s_waitcnt lgkmcnt(0)
	s_barrier
	ds_read_b32 v1, v28 offset:32
	v_lshlrev_b32_e32 v2, 3, v6
	s_waitcnt lgkmcnt(0)
	s_barrier
	v_lshl_add_u32 v1, v1, 3, v2
	ds_write_b64 v1, v[11:12]
	s_waitcnt lgkmcnt(0)
	s_barrier
	ds_read_b64 v[11:12], v23
	s_waitcnt lgkmcnt(0)
	s_barrier
	ds_write_b64 v1, v[13:14]
	s_waitcnt lgkmcnt(0)
	s_barrier
	ds_read_b64 v[13:14], v23
	s_waitcnt lgkmcnt(0)
	s_barrier
	s_branch .LBB377_28
.LBB377_27:                             ;   in Loop: Header=BB377_28 Depth=2
	s_barrier
	ds_write_b64 v6, v[3:4]
	s_waitcnt lgkmcnt(0)
	s_barrier
	ds_read_b64 v[11:12], v23
	s_waitcnt lgkmcnt(0)
	s_barrier
	ds_write_b64 v6, v[1:2]
	s_waitcnt lgkmcnt(0)
	s_barrier
	ds_read_b64 v[13:14], v23
	s_add_i32 s42, s42, -8
	s_add_i32 s41, s41, 8
	s_waitcnt lgkmcnt(0)
	s_barrier
	s_cbranch_execz .LBB377_1
.LBB377_28:                             ;   Parent Loop BB377_2 Depth=1
                                        ; =>  This Inner Loop Header: Depth=2
	s_cmp_lt_u32 s41, 32
	s_cselect_b64 vcc, -1, 0
	s_cmp_gt_u32 s41, 31
	s_cselect_b64 s[28:29], -1, 0
	s_max_i32 s43, s42, 0
	s_max_i32 s44, s41, 32
	s_sub_i32 s45, s44, 32
	s_sub_i32 s44, s44, s43
	;; [unrolled: 1-line block ×3, first 2 shown]
	s_min_i32 s44, s44, 32
	s_sub_i32 s44, s44, s45
	s_lshl_b32 s46, -1, s44
	v_mov_b32_e32 v1, s36
	v_mov_b32_e32 v3, s38
	s_not_b32 s46, s46
	v_mov_b32_e32 v2, s37
	v_mov_b32_e32 v4, s39
	s_cmp_lg_u32 s44, 32
	ds_write2_b64 v20, v[1:2], v[3:4] offset0:4 offset1:5
	s_cselect_b32 s44, s46, -1
	v_lshrrev_b32_e32 v2, s45, v11
	v_lshrrev_b32_e32 v1, s41, v12
	v_and_b32_e32 v2, s44, v2
	v_bfe_u32 v1, v1, 0, s42
	v_lshlrev_b32_e32 v2, s43, v2
	v_cndmask_b32_e32 v1, 0, v1, vcc
	v_cndmask_b32_e64 v2, 0, v2, s[28:29]
	v_or_b32_e32 v1, v1, v2
	v_and_b32_e32 v2, 1, v1
	v_add_co_u32_e32 v4, vcc, -1, v2
	v_addc_co_u32_e64 v6, s[28:29], 0, -1, vcc
	v_cmp_ne_u32_e32 vcc, 0, v2
	v_xor_b32_e32 v2, vcc_hi, v6
	v_lshlrev_b32_e32 v6, 30, v1
	v_xor_b32_e32 v4, vcc_lo, v4
	v_cmp_gt_i64_e32 vcc, 0, v[5:6]
	v_not_b32_e32 v6, v6
	v_ashrrev_i32_e32 v6, 31, v6
	v_and_b32_e32 v4, exec_lo, v4
	v_xor_b32_e32 v28, vcc_hi, v6
	v_xor_b32_e32 v6, vcc_lo, v6
	v_and_b32_e32 v4, v4, v6
	v_lshlrev_b32_e32 v6, 29, v1
	v_cmp_gt_i64_e32 vcc, 0, v[5:6]
	v_not_b32_e32 v6, v6
	v_and_b32_e32 v2, exec_hi, v2
	v_ashrrev_i32_e32 v6, 31, v6
	v_and_b32_e32 v2, v2, v28
	v_xor_b32_e32 v28, vcc_hi, v6
	v_xor_b32_e32 v6, vcc_lo, v6
	v_and_b32_e32 v4, v4, v6
	v_lshlrev_b32_e32 v6, 28, v1
	v_cmp_gt_i64_e32 vcc, 0, v[5:6]
	v_not_b32_e32 v6, v6
	v_ashrrev_i32_e32 v6, 31, v6
	v_and_b32_e32 v2, v2, v28
	v_xor_b32_e32 v28, vcc_hi, v6
	v_xor_b32_e32 v6, vcc_lo, v6
	v_and_b32_e32 v4, v4, v6
	v_lshlrev_b32_e32 v6, 27, v1
	v_cmp_gt_i64_e32 vcc, 0, v[5:6]
	v_not_b32_e32 v6, v6
	;; [unrolled: 8-line block ×4, first 2 shown]
	v_ashrrev_i32_e32 v6, 31, v6
	v_and_b32_e32 v2, v2, v28
	v_xor_b32_e32 v28, vcc_hi, v6
	v_xor_b32_e32 v6, vcc_lo, v6
	v_and_b32_e32 v4, v4, v6
	v_lshlrev_b32_e32 v6, 24, v1
	v_lshlrev_b32_e32 v3, 5, v1
	v_cmp_gt_i64_e32 vcc, 0, v[5:6]
	v_not_b32_e32 v1, v6
	v_ashrrev_i32_e32 v1, 31, v1
	v_xor_b32_e32 v6, vcc_hi, v1
	v_xor_b32_e32 v1, vcc_lo, v1
	v_and_b32_e32 v2, v2, v28
	v_and_b32_e32 v1, v4, v1
	;; [unrolled: 1-line block ×3, first 2 shown]
	v_mbcnt_lo_u32_b32 v4, v1, 0
	v_mbcnt_hi_u32_b32 v6, v2, v4
	v_cmp_ne_u64_e32 vcc, 0, v[1:2]
	v_cmp_eq_u32_e64 s[28:29], 0, v6
	s_and_b64 s[44:45], s[28:29], vcc
	v_add_u32_e32 v28, v27, v3
	s_waitcnt lgkmcnt(0)
	s_barrier
	; wave barrier
	s_and_saveexec_b64 s[28:29], s[44:45]
; %bb.29:                               ;   in Loop: Header=BB377_28 Depth=2
	v_bcnt_u32_b32 v1, v1, 0
	v_bcnt_u32_b32 v1, v2, v1
	ds_write_b32 v28, v1 offset:32
; %bb.30:                               ;   in Loop: Header=BB377_28 Depth=2
	s_or_b64 exec, exec, s[28:29]
	; wave barrier
	s_waitcnt lgkmcnt(0)
	s_barrier
	ds_read2_b64 v[1:4], v20 offset0:4 offset1:5
	s_waitcnt lgkmcnt(0)
	v_add_u32_e32 v29, v2, v1
	v_add3_u32 v4, v29, v3, v4
	s_nop 1
	v_mov_b32_dpp v29, v4 row_shr:1 row_mask:0xf bank_mask:0xf
	v_cndmask_b32_e64 v29, v29, 0, s[10:11]
	v_add_u32_e32 v4, v29, v4
	s_nop 1
	v_mov_b32_dpp v29, v4 row_shr:2 row_mask:0xf bank_mask:0xf
	v_cndmask_b32_e64 v29, 0, v29, s[12:13]
	v_add_u32_e32 v4, v4, v29
	;; [unrolled: 4-line block ×4, first 2 shown]
	s_nop 1
	v_mov_b32_dpp v29, v4 row_bcast:15 row_mask:0xf bank_mask:0xf
	v_cndmask_b32_e64 v29, v29, 0, s[18:19]
	v_add_u32_e32 v4, v4, v29
	s_nop 1
	v_mov_b32_dpp v29, v4 row_bcast:31 row_mask:0xf bank_mask:0xf
	v_cndmask_b32_e64 v29, 0, v29, s[8:9]
	v_add_u32_e32 v4, v4, v29
	s_and_saveexec_b64 s[28:29], s[20:21]
; %bb.31:                               ;   in Loop: Header=BB377_28 Depth=2
	ds_write_b32 v21, v4
; %bb.32:                               ;   in Loop: Header=BB377_28 Depth=2
	s_or_b64 exec, exec, s[28:29]
	s_waitcnt lgkmcnt(0)
	s_barrier
	s_and_saveexec_b64 s[28:29], s[0:1]
	s_cbranch_execz .LBB377_34
; %bb.33:                               ;   in Loop: Header=BB377_28 Depth=2
	ds_read_b32 v29, v22
	s_waitcnt lgkmcnt(0)
	s_nop 0
	v_mov_b32_dpp v30, v29 row_shr:1 row_mask:0xf bank_mask:0xf
	v_cndmask_b32_e64 v30, v30, 0, s[22:23]
	v_add_u32_e32 v29, v30, v29
	s_nop 1
	v_mov_b32_dpp v30, v29 row_shr:2 row_mask:0xf bank_mask:0xf
	v_cndmask_b32_e64 v30, 0, v30, s[24:25]
	v_add_u32_e32 v29, v29, v30
	;; [unrolled: 4-line block ×3, first 2 shown]
	ds_write_b32 v22, v29
.LBB377_34:                             ;   in Loop: Header=BB377_28 Depth=2
	s_or_b64 exec, exec, s[28:29]
	v_mov_b32_e32 v29, 0
	s_waitcnt lgkmcnt(0)
	s_barrier
	s_and_saveexec_b64 s[28:29], s[2:3]
; %bb.35:                               ;   in Loop: Header=BB377_28 Depth=2
	ds_read_b32 v29, v25
; %bb.36:                               ;   in Loop: Header=BB377_28 Depth=2
	s_or_b64 exec, exec, s[28:29]
	s_waitcnt lgkmcnt(0)
	v_add_u32_e32 v4, v29, v4
	ds_bpermute_b32 v4, v26, v4
	s_cmp_gt_u32 s41, 55
	s_waitcnt lgkmcnt(0)
	v_cndmask_b32_e64 v4, v4, v29, s[6:7]
	v_cndmask_b32_e64 v29, v4, 0, s[4:5]
	v_add_u32_e32 v30, v29, v1
	v_add_u32_e32 v1, v30, v2
	;; [unrolled: 1-line block ×3, first 2 shown]
	ds_write2_b64 v20, v[29:30], v[1:2] offset0:4 offset1:5
	s_waitcnt lgkmcnt(0)
	s_barrier
	ds_read_b32 v1, v28 offset:32
	v_lshlrev_b32_e32 v2, 3, v6
	v_mov_b32_e32 v3, v11
	v_mov_b32_e32 v4, v12
	s_waitcnt lgkmcnt(0)
	v_lshl_add_u32 v6, v1, 3, v2
	v_mov_b32_e32 v1, v13
	v_mov_b32_e32 v2, v14
	s_cbranch_scc0 .LBB377_27
; %bb.37:                               ;   in Loop: Header=BB377_2 Depth=1
                                        ; implicit-def: $sgpr41
                                        ; implicit-def: $vgpr13
                                        ; implicit-def: $vgpr11
                                        ; implicit-def: $sgpr42
	s_branch .LBB377_1
.LBB377_38:
	s_brev_b32 s0, 1
	s_waitcnt lgkmcnt(0)
	v_add3_u32 v1, v13, v11, s0
	v_add3_u32 v2, v14, v12, s0
	s_add_u32 s0, s30, s34
	s_addc_u32 s1, s31, s35
	v_lshlrev_b32_e32 v0, 3, v0
	global_store_dwordx2 v0, v[1:2], s[0:1]
	s_endpgm
	.section	.rodata,"a",@progbits
	.p2align	6, 0x0
	.amdhsa_kernel _Z17sort_pairs_kernelI22helper_blocked_stripedN15benchmark_utils11custom_typeIiiEELj512ELj1ELj10EEvPKT0_PS4_
		.amdhsa_group_segment_fixed_size 8224
		.amdhsa_private_segment_fixed_size 0
		.amdhsa_kernarg_size 272
		.amdhsa_user_sgpr_count 6
		.amdhsa_user_sgpr_private_segment_buffer 1
		.amdhsa_user_sgpr_dispatch_ptr 0
		.amdhsa_user_sgpr_queue_ptr 0
		.amdhsa_user_sgpr_kernarg_segment_ptr 1
		.amdhsa_user_sgpr_dispatch_id 0
		.amdhsa_user_sgpr_flat_scratch_init 0
		.amdhsa_user_sgpr_private_segment_size 0
		.amdhsa_uses_dynamic_stack 0
		.amdhsa_system_sgpr_private_segment_wavefront_offset 0
		.amdhsa_system_sgpr_workgroup_id_x 1
		.amdhsa_system_sgpr_workgroup_id_y 0
		.amdhsa_system_sgpr_workgroup_id_z 0
		.amdhsa_system_sgpr_workgroup_info 0
		.amdhsa_system_vgpr_workitem_id 2
		.amdhsa_next_free_vgpr 31
		.amdhsa_next_free_sgpr 47
		.amdhsa_reserve_vcc 1
		.amdhsa_reserve_flat_scratch 0
		.amdhsa_float_round_mode_32 0
		.amdhsa_float_round_mode_16_64 0
		.amdhsa_float_denorm_mode_32 3
		.amdhsa_float_denorm_mode_16_64 3
		.amdhsa_dx10_clamp 1
		.amdhsa_ieee_mode 1
		.amdhsa_fp16_overflow 0
		.amdhsa_exception_fp_ieee_invalid_op 0
		.amdhsa_exception_fp_denorm_src 0
		.amdhsa_exception_fp_ieee_div_zero 0
		.amdhsa_exception_fp_ieee_overflow 0
		.amdhsa_exception_fp_ieee_underflow 0
		.amdhsa_exception_fp_ieee_inexact 0
		.amdhsa_exception_int_div_zero 0
	.end_amdhsa_kernel
	.section	.text._Z17sort_pairs_kernelI22helper_blocked_stripedN15benchmark_utils11custom_typeIiiEELj512ELj1ELj10EEvPKT0_PS4_,"axG",@progbits,_Z17sort_pairs_kernelI22helper_blocked_stripedN15benchmark_utils11custom_typeIiiEELj512ELj1ELj10EEvPKT0_PS4_,comdat
.Lfunc_end377:
	.size	_Z17sort_pairs_kernelI22helper_blocked_stripedN15benchmark_utils11custom_typeIiiEELj512ELj1ELj10EEvPKT0_PS4_, .Lfunc_end377-_Z17sort_pairs_kernelI22helper_blocked_stripedN15benchmark_utils11custom_typeIiiEELj512ELj1ELj10EEvPKT0_PS4_
                                        ; -- End function
	.set _Z17sort_pairs_kernelI22helper_blocked_stripedN15benchmark_utils11custom_typeIiiEELj512ELj1ELj10EEvPKT0_PS4_.num_vgpr, 31
	.set _Z17sort_pairs_kernelI22helper_blocked_stripedN15benchmark_utils11custom_typeIiiEELj512ELj1ELj10EEvPKT0_PS4_.num_agpr, 0
	.set _Z17sort_pairs_kernelI22helper_blocked_stripedN15benchmark_utils11custom_typeIiiEELj512ELj1ELj10EEvPKT0_PS4_.numbered_sgpr, 47
	.set _Z17sort_pairs_kernelI22helper_blocked_stripedN15benchmark_utils11custom_typeIiiEELj512ELj1ELj10EEvPKT0_PS4_.num_named_barrier, 0
	.set _Z17sort_pairs_kernelI22helper_blocked_stripedN15benchmark_utils11custom_typeIiiEELj512ELj1ELj10EEvPKT0_PS4_.private_seg_size, 0
	.set _Z17sort_pairs_kernelI22helper_blocked_stripedN15benchmark_utils11custom_typeIiiEELj512ELj1ELj10EEvPKT0_PS4_.uses_vcc, 1
	.set _Z17sort_pairs_kernelI22helper_blocked_stripedN15benchmark_utils11custom_typeIiiEELj512ELj1ELj10EEvPKT0_PS4_.uses_flat_scratch, 0
	.set _Z17sort_pairs_kernelI22helper_blocked_stripedN15benchmark_utils11custom_typeIiiEELj512ELj1ELj10EEvPKT0_PS4_.has_dyn_sized_stack, 0
	.set _Z17sort_pairs_kernelI22helper_blocked_stripedN15benchmark_utils11custom_typeIiiEELj512ELj1ELj10EEvPKT0_PS4_.has_recursion, 0
	.set _Z17sort_pairs_kernelI22helper_blocked_stripedN15benchmark_utils11custom_typeIiiEELj512ELj1ELj10EEvPKT0_PS4_.has_indirect_call, 0
	.section	.AMDGPU.csdata,"",@progbits
; Kernel info:
; codeLenInByte = 4096
; TotalNumSgprs: 51
; NumVgprs: 31
; ScratchSize: 0
; MemoryBound: 0
; FloatMode: 240
; IeeeMode: 1
; LDSByteSize: 8224 bytes/workgroup (compile time only)
; SGPRBlocks: 6
; VGPRBlocks: 7
; NumSGPRsForWavesPerEU: 51
; NumVGPRsForWavesPerEU: 31
; Occupancy: 8
; WaveLimiterHint : 0
; COMPUTE_PGM_RSRC2:SCRATCH_EN: 0
; COMPUTE_PGM_RSRC2:USER_SGPR: 6
; COMPUTE_PGM_RSRC2:TRAP_HANDLER: 0
; COMPUTE_PGM_RSRC2:TGID_X_EN: 1
; COMPUTE_PGM_RSRC2:TGID_Y_EN: 0
; COMPUTE_PGM_RSRC2:TGID_Z_EN: 0
; COMPUTE_PGM_RSRC2:TIDIG_COMP_CNT: 2
	.section	.text._Z16sort_keys_kernelI22helper_blocked_stripedN15benchmark_utils11custom_typeIiiEELj512ELj3ELj10EEvPKT0_PS4_,"axG",@progbits,_Z16sort_keys_kernelI22helper_blocked_stripedN15benchmark_utils11custom_typeIiiEELj512ELj3ELj10EEvPKT0_PS4_,comdat
	.protected	_Z16sort_keys_kernelI22helper_blocked_stripedN15benchmark_utils11custom_typeIiiEELj512ELj3ELj10EEvPKT0_PS4_ ; -- Begin function _Z16sort_keys_kernelI22helper_blocked_stripedN15benchmark_utils11custom_typeIiiEELj512ELj3ELj10EEvPKT0_PS4_
	.globl	_Z16sort_keys_kernelI22helper_blocked_stripedN15benchmark_utils11custom_typeIiiEELj512ELj3ELj10EEvPKT0_PS4_
	.p2align	8
	.type	_Z16sort_keys_kernelI22helper_blocked_stripedN15benchmark_utils11custom_typeIiiEELj512ELj3ELj10EEvPKT0_PS4_,@function
_Z16sort_keys_kernelI22helper_blocked_stripedN15benchmark_utils11custom_typeIiiEELj512ELj3ELj10EEvPKT0_PS4_: ; @_Z16sort_keys_kernelI22helper_blocked_stripedN15benchmark_utils11custom_typeIiiEELj512ELj3ELj10EEvPKT0_PS4_
; %bb.0:
	s_load_dwordx4 s[36:39], s[4:5], 0x0
	s_load_dword s0, s[4:5], 0x1c
	s_mul_i32 s40, s6, 0x600
	s_mov_b32 s41, 0
	s_lshl_b64 s[42:43], s[40:41], 3
	s_waitcnt lgkmcnt(0)
	s_add_u32 s28, s36, s42
	s_addc_u32 s29, s37, s43
	v_mul_u32_u24_e32 v3, 3, v0
	s_lshr_b32 s1, s0, 16
	v_lshlrev_b32_e32 v14, 3, v3
	v_mbcnt_lo_u32_b32 v3, -1, 0
	s_and_b32 s0, s0, 0xffff
	v_mad_u32_u24 v1, v2, s1, v1
	v_mbcnt_hi_u32_b32 v3, -1, v3
	v_mad_u64_u32 v[1:2], s[0:1], v1, s0, v[0:1]
	v_lshrrev_b32_e32 v4, 6, v0
	v_and_b32_e32 v2, 15, v3
	v_mul_u32_u24_e32 v5, 0xc0, v4
	v_cmp_eq_u32_e64 s[0:1], 0, v2
	v_cmp_lt_u32_e64 s[2:3], 1, v2
	v_cmp_lt_u32_e64 s[4:5], 3, v2
	;; [unrolled: 1-line block ×3, first 2 shown]
	v_and_b32_e32 v2, 16, v3
	v_lshlrev_b32_e32 v5, 3, v5
	v_lshlrev_b32_e32 v9, 3, v3
	v_cmp_eq_u32_e64 s[8:9], 0, v2
	v_and_b32_e32 v2, 0x1c0, v0
	v_mad_u32_u24 v19, v3, 24, v5
	v_add_u32_e32 v20, v9, v5
	v_or_b32_e32 v5, 63, v2
	v_cmp_eq_u32_e64 s[12:13], v0, v5
	v_subrev_co_u32_e64 v5, s[18:19], 1, v3
	v_and_b32_e32 v6, 64, v3
	v_lshlrev_b32_e32 v21, 4, v0
	v_cmp_lt_i32_e32 vcc, v5, v6
	v_lshrrev_b32_e32 v1, 4, v1
	v_cmp_lt_u32_e64 s[10:11], 31, v3
	v_cndmask_b32_e32 v5, v5, v3, vcc
	v_mad_i32_i24 v24, v0, -12, v21
	v_and_b32_e32 v3, 7, v3
	v_mul_u32_u24_e32 v2, 24, v2
	v_and_b32_e32 v25, 0xffffffc, v1
	v_lshlrev_b32_e32 v1, 2, v0
	global_load_dwordx2 v[10:11], v14, s[28:29] offset:16
	v_lshlrev_b32_e32 v23, 2, v4
	v_cmp_eq_u32_e64 s[22:23], 0, v3
	v_cmp_lt_u32_e64 s[24:25], 1, v3
	v_cmp_lt_u32_e64 s[26:27], 3, v3
	v_add_u32_e32 v26, v9, v2
	v_add_u32_e32 v27, v24, v1
	global_load_dwordx2 v[12:13], v14, s[28:29]
	global_load_dwordx4 v[1:4], v14, s[28:29]
	s_mov_b32 s40, s41
	s_mov_b32 s30, s41
	v_lshlrev_b32_e32 v22, 2, v5
	s_mov_b32 s31, s41
	v_mov_b32_e32 v5, s40
	v_mov_b32_e32 v7, s30
	v_cmp_gt_u32_e64 s[14:15], 8, v0
	v_cmp_lt_u32_e64 s[16:17], 63, v0
	v_cmp_eq_u32_e64 s[20:21], 0, v0
	v_mov_b32_e32 v6, s41
	v_mov_b32_e32 v8, s31
	;; [unrolled: 1-line block ×3, first 2 shown]
	s_branch .LBB378_2
.LBB378_1:                              ;   in Loop: Header=BB378_2 Depth=1
	s_barrier
	ds_write_b64 v29, v[15:16]
	ds_write_b64 v28, v[13:14]
	;; [unrolled: 1-line block ×3, first 2 shown]
	s_waitcnt lgkmcnt(0)
	s_barrier
	ds_read2st64_b64 v[1:4], v27 offset1:8
	ds_read_b64 v[10:11], v27 offset:8192
	s_add_i32 s41, s41, 1
	s_cmp_eq_u32 s41, 10
	s_waitcnt lgkmcnt(1)
	v_xor_b32_e32 v12, 0x80000000, v1
	v_xor_b32_e32 v13, 0x80000000, v2
	;; [unrolled: 1-line block ×4, first 2 shown]
	s_waitcnt lgkmcnt(0)
	v_xor_b32_e32 v10, 0x80000000, v10
	v_xor_b32_e32 v11, 0x80000000, v11
	s_cbranch_scc1 .LBB378_18
.LBB378_2:                              ; =>This Loop Header: Depth=1
                                        ;     Child Loop BB378_4 Depth 2
	s_waitcnt vmcnt(0)
	v_xor_b32_e32 v2, 0x80000000, v13
	v_xor_b32_e32 v1, 0x80000000, v12
	v_xor_b32_e32 v4, 0x80000000, v4
	v_xor_b32_e32 v3, 0x80000000, v3
	v_xor_b32_e32 v11, 0x80000000, v11
	v_xor_b32_e32 v10, 0x80000000, v10
	ds_write2_b64 v19, v[1:2], v[3:4] offset1:1
	ds_write_b64 v19, v[10:11] offset:16
	; wave barrier
	ds_read2st64_b64 v[1:4], v20 offset1:1
	ds_read_b64 v[17:18], v20 offset:1024
	s_mov_b32 s33, 8
	s_mov_b32 s36, 32
	;; [unrolled: 1-line block ×3, first 2 shown]
	s_waitcnt lgkmcnt(0)
	s_barrier
	; wave barrier
	s_barrier
	s_branch .LBB378_4
.LBB378_3:                              ;   in Loop: Header=BB378_4 Depth=2
	s_andn2_b64 vcc, exec, s[28:29]
	s_cbranch_vccz .LBB378_1
.LBB378_4:                              ;   Parent Loop BB378_2 Depth=1
                                        ; =>  This Inner Loop Header: Depth=2
	s_min_i32 s30, s33, 32
	s_cmp_lt_u32 s37, 32
	s_cselect_b64 s[28:29], -1, 0
	s_cmp_gt_u32 s37, 31
	s_cselect_b64 vcc, -1, 0
	s_sub_i32 s30, s30, 32
	s_add_i32 s31, s30, s36
	s_lshl_b32 s31, -1, s31
	s_not_b32 s31, s31
	s_cmp_lg_u32 s30, s37
	s_cselect_b32 s44, s31, -1
	s_max_i32 s40, s36, 0
	s_max_i32 s30, s37, 32
	s_sub_i32 s45, s30, 32
	s_sub_i32 s30, s30, s40
	;; [unrolled: 1-line block ×3, first 2 shown]
	s_min_i32 s30, s30, 32
	s_sub_i32 s30, s30, s45
	s_lshl_b32 s31, -1, s30
	v_mov_b32_e32 v16, v2
	s_not_b32 s31, s31
	v_mov_b32_e32 v15, v1
	s_cmp_lg_u32 s30, 32
	s_cselect_b32 s46, s31, -1
	v_lshrrev_b32_e32 v2, s45, v15
	v_lshrrev_b32_e32 v1, s37, v16
	v_and_b32_e32 v2, s46, v2
	v_and_b32_e32 v1, s44, v1
	v_lshlrev_b32_e32 v2, s40, v2
	v_cndmask_b32_e64 v1, 0, v1, s[28:29]
	v_cndmask_b32_e32 v2, 0, v2, vcc
	v_or_b32_e32 v1, v1, v2
	v_mov_b32_e32 v14, v4
	v_and_b32_e32 v2, 1, v1
	v_mov_b32_e32 v13, v3
	v_add_co_u32_e64 v4, s[30:31], -1, v2
	v_addc_co_u32_e64 v10, s[30:31], 0, -1, s[30:31]
	v_cmp_ne_u32_e64 s[30:31], 0, v2
	v_xor_b32_e32 v2, s31, v10
	v_lshlrev_b32_e32 v10, 30, v1
	v_xor_b32_e32 v4, s30, v4
	v_cmp_gt_i64_e64 s[30:31], 0, v[9:10]
	v_not_b32_e32 v10, v10
	v_mov_b32_e32 v11, v17
	v_ashrrev_i32_e32 v10, 31, v10
	v_mov_b32_e32 v12, v18
	v_and_b32_e32 v4, exec_lo, v4
	v_xor_b32_e32 v17, s31, v10
	v_xor_b32_e32 v10, s30, v10
	v_and_b32_e32 v4, v4, v10
	v_lshlrev_b32_e32 v10, 29, v1
	v_cmp_gt_i64_e64 s[30:31], 0, v[9:10]
	v_not_b32_e32 v10, v10
	v_and_b32_e32 v2, exec_hi, v2
	v_ashrrev_i32_e32 v10, 31, v10
	v_and_b32_e32 v2, v2, v17
	v_xor_b32_e32 v17, s31, v10
	v_xor_b32_e32 v10, s30, v10
	v_and_b32_e32 v4, v4, v10
	v_lshlrev_b32_e32 v10, 28, v1
	v_cmp_gt_i64_e64 s[30:31], 0, v[9:10]
	v_not_b32_e32 v10, v10
	v_ashrrev_i32_e32 v10, 31, v10
	v_and_b32_e32 v2, v2, v17
	v_xor_b32_e32 v17, s31, v10
	v_xor_b32_e32 v10, s30, v10
	v_and_b32_e32 v4, v4, v10
	v_lshlrev_b32_e32 v10, 27, v1
	v_cmp_gt_i64_e64 s[30:31], 0, v[9:10]
	v_not_b32_e32 v10, v10
	;; [unrolled: 8-line block ×4, first 2 shown]
	v_ashrrev_i32_e32 v10, 31, v10
	v_and_b32_e32 v2, v2, v17
	v_xor_b32_e32 v17, s31, v10
	v_xor_b32_e32 v10, s30, v10
	v_and_b32_e32 v4, v4, v10
	v_lshlrev_b32_e32 v10, 24, v1
	v_lshlrev_b32_e32 v3, 5, v1
	v_cmp_gt_i64_e64 s[30:31], 0, v[9:10]
	v_not_b32_e32 v1, v10
	v_ashrrev_i32_e32 v1, 31, v1
	v_xor_b32_e32 v10, s31, v1
	v_xor_b32_e32 v1, s30, v1
	v_and_b32_e32 v2, v2, v17
	v_and_b32_e32 v1, v4, v1
	;; [unrolled: 1-line block ×3, first 2 shown]
	v_mbcnt_lo_u32_b32 v4, v1, 0
	v_mbcnt_hi_u32_b32 v17, v2, v4
	v_cmp_ne_u64_e64 s[30:31], 0, v[1:2]
	v_cmp_eq_u32_e64 s[34:35], 0, v17
	s_and_b64 s[34:35], s[34:35], s[30:31]
	v_add_u32_e32 v18, v25, v3
	ds_write2_b64 v21, v[5:6], v[7:8] offset0:4 offset1:5
	s_waitcnt lgkmcnt(0)
	s_barrier
	; wave barrier
	s_and_saveexec_b64 s[30:31], s[34:35]
; %bb.5:                                ;   in Loop: Header=BB378_4 Depth=2
	v_bcnt_u32_b32 v1, v1, 0
	v_bcnt_u32_b32 v1, v2, v1
	ds_write_b32 v18, v1 offset:32
; %bb.6:                                ;   in Loop: Header=BB378_4 Depth=2
	s_or_b64 exec, exec, s[30:31]
	v_lshrrev_b32_e32 v2, s45, v13
	v_lshrrev_b32_e32 v1, s37, v14
	v_and_b32_e32 v2, s46, v2
	v_and_b32_e32 v1, s44, v1
	v_lshlrev_b32_e32 v2, s40, v2
	v_cndmask_b32_e64 v1, 0, v1, s[28:29]
	v_cndmask_b32_e32 v2, 0, v2, vcc
	v_or_b32_e32 v1, v1, v2
	v_lshlrev_b32_e32 v2, 5, v1
	v_add_u32_e32 v29, v25, v2
	v_and_b32_e32 v2, 1, v1
	v_add_co_u32_e64 v3, s[30:31], -1, v2
	v_addc_co_u32_e64 v4, s[30:31], 0, -1, s[30:31]
	v_cmp_ne_u32_e64 s[30:31], 0, v2
	v_lshlrev_b32_e32 v10, 30, v1
	v_xor_b32_e32 v2, s31, v4
	v_xor_b32_e32 v3, s30, v3
	v_cmp_gt_i64_e64 s[30:31], 0, v[9:10]
	v_not_b32_e32 v4, v10
	v_ashrrev_i32_e32 v4, 31, v4
	v_and_b32_e32 v2, exec_hi, v2
	v_xor_b32_e32 v10, s31, v4
	v_and_b32_e32 v3, exec_lo, v3
	v_xor_b32_e32 v4, s30, v4
	v_and_b32_e32 v2, v2, v10
	v_lshlrev_b32_e32 v10, 29, v1
	v_and_b32_e32 v3, v3, v4
	v_cmp_gt_i64_e64 s[30:31], 0, v[9:10]
	v_not_b32_e32 v4, v10
	v_ashrrev_i32_e32 v4, 31, v4
	v_xor_b32_e32 v10, s31, v4
	v_xor_b32_e32 v4, s30, v4
	v_and_b32_e32 v2, v2, v10
	v_lshlrev_b32_e32 v10, 28, v1
	v_and_b32_e32 v3, v3, v4
	v_cmp_gt_i64_e64 s[30:31], 0, v[9:10]
	v_not_b32_e32 v4, v10
	v_ashrrev_i32_e32 v4, 31, v4
	v_xor_b32_e32 v10, s31, v4
	;; [unrolled: 8-line block ×5, first 2 shown]
	v_and_b32_e32 v2, v2, v10
	v_lshlrev_b32_e32 v10, 24, v1
	v_xor_b32_e32 v4, s30, v4
	v_cmp_gt_i64_e64 s[30:31], 0, v[9:10]
	v_not_b32_e32 v1, v10
	v_ashrrev_i32_e32 v1, 31, v1
	v_and_b32_e32 v3, v3, v4
	v_xor_b32_e32 v4, s31, v1
	v_xor_b32_e32 v1, s30, v1
	; wave barrier
	ds_read_b32 v28, v29 offset:32
	v_and_b32_e32 v1, v3, v1
	v_and_b32_e32 v2, v2, v4
	v_mbcnt_lo_u32_b32 v3, v1, 0
	v_mbcnt_hi_u32_b32 v30, v2, v3
	v_cmp_ne_u64_e64 s[30:31], 0, v[1:2]
	v_cmp_eq_u32_e64 s[34:35], 0, v30
	s_and_b64 s[34:35], s[34:35], s[30:31]
	; wave barrier
	s_and_saveexec_b64 s[30:31], s[34:35]
	s_cbranch_execz .LBB378_8
; %bb.7:                                ;   in Loop: Header=BB378_4 Depth=2
	v_bcnt_u32_b32 v1, v1, 0
	v_bcnt_u32_b32 v1, v2, v1
	s_waitcnt lgkmcnt(0)
	v_add_u32_e32 v1, v28, v1
	ds_write_b32 v29, v1 offset:32
.LBB378_8:                              ;   in Loop: Header=BB378_4 Depth=2
	s_or_b64 exec, exec, s[30:31]
	v_lshrrev_b32_e32 v2, s45, v11
	v_lshrrev_b32_e32 v1, s37, v12
	v_and_b32_e32 v2, s46, v2
	v_and_b32_e32 v1, s44, v1
	v_lshlrev_b32_e32 v2, s40, v2
	v_cndmask_b32_e64 v1, 0, v1, s[28:29]
	v_cndmask_b32_e32 v2, 0, v2, vcc
	v_or_b32_e32 v1, v1, v2
	v_lshlrev_b32_e32 v2, 5, v1
	v_add_u32_e32 v32, v25, v2
	v_and_b32_e32 v2, 1, v1
	v_add_co_u32_e32 v3, vcc, -1, v2
	v_addc_co_u32_e64 v4, s[28:29], 0, -1, vcc
	v_cmp_ne_u32_e32 vcc, 0, v2
	v_lshlrev_b32_e32 v10, 30, v1
	v_xor_b32_e32 v2, vcc_hi, v4
	v_xor_b32_e32 v3, vcc_lo, v3
	v_cmp_gt_i64_e32 vcc, 0, v[9:10]
	v_not_b32_e32 v4, v10
	v_ashrrev_i32_e32 v4, 31, v4
	v_and_b32_e32 v2, exec_hi, v2
	v_xor_b32_e32 v10, vcc_hi, v4
	v_and_b32_e32 v3, exec_lo, v3
	v_xor_b32_e32 v4, vcc_lo, v4
	v_and_b32_e32 v2, v2, v10
	v_lshlrev_b32_e32 v10, 29, v1
	v_and_b32_e32 v3, v3, v4
	v_cmp_gt_i64_e32 vcc, 0, v[9:10]
	v_not_b32_e32 v4, v10
	v_ashrrev_i32_e32 v4, 31, v4
	v_xor_b32_e32 v10, vcc_hi, v4
	v_xor_b32_e32 v4, vcc_lo, v4
	v_and_b32_e32 v2, v2, v10
	v_lshlrev_b32_e32 v10, 28, v1
	v_and_b32_e32 v3, v3, v4
	v_cmp_gt_i64_e32 vcc, 0, v[9:10]
	v_not_b32_e32 v4, v10
	v_ashrrev_i32_e32 v4, 31, v4
	v_xor_b32_e32 v10, vcc_hi, v4
	;; [unrolled: 8-line block ×5, first 2 shown]
	v_and_b32_e32 v2, v2, v10
	v_lshlrev_b32_e32 v10, 24, v1
	v_xor_b32_e32 v4, vcc_lo, v4
	v_cmp_gt_i64_e32 vcc, 0, v[9:10]
	v_not_b32_e32 v1, v10
	v_ashrrev_i32_e32 v1, 31, v1
	v_and_b32_e32 v3, v3, v4
	v_xor_b32_e32 v4, vcc_hi, v1
	v_xor_b32_e32 v1, vcc_lo, v1
	; wave barrier
	ds_read_b32 v31, v32 offset:32
	v_and_b32_e32 v1, v3, v1
	v_and_b32_e32 v2, v2, v4
	v_mbcnt_lo_u32_b32 v3, v1, 0
	v_mbcnt_hi_u32_b32 v10, v2, v3
	v_cmp_ne_u64_e32 vcc, 0, v[1:2]
	v_cmp_eq_u32_e64 s[28:29], 0, v10
	s_and_b64 s[30:31], s[28:29], vcc
	; wave barrier
	s_and_saveexec_b64 s[28:29], s[30:31]
	s_cbranch_execz .LBB378_10
; %bb.9:                                ;   in Loop: Header=BB378_4 Depth=2
	v_bcnt_u32_b32 v1, v1, 0
	v_bcnt_u32_b32 v1, v2, v1
	s_waitcnt lgkmcnt(0)
	v_add_u32_e32 v1, v31, v1
	ds_write_b32 v32, v1 offset:32
.LBB378_10:                             ;   in Loop: Header=BB378_4 Depth=2
	s_or_b64 exec, exec, s[28:29]
	; wave barrier
	s_waitcnt lgkmcnt(0)
	s_barrier
	ds_read2_b64 v[1:4], v21 offset0:4 offset1:5
	s_waitcnt lgkmcnt(0)
	v_add_u32_e32 v33, v2, v1
	v_add3_u32 v4, v33, v3, v4
	s_nop 1
	v_mov_b32_dpp v33, v4 row_shr:1 row_mask:0xf bank_mask:0xf
	v_cndmask_b32_e64 v33, v33, 0, s[0:1]
	v_add_u32_e32 v4, v33, v4
	s_nop 1
	v_mov_b32_dpp v33, v4 row_shr:2 row_mask:0xf bank_mask:0xf
	v_cndmask_b32_e64 v33, 0, v33, s[2:3]
	v_add_u32_e32 v4, v4, v33
	;; [unrolled: 4-line block ×4, first 2 shown]
	s_nop 1
	v_mov_b32_dpp v33, v4 row_bcast:15 row_mask:0xf bank_mask:0xf
	v_cndmask_b32_e64 v33, v33, 0, s[8:9]
	v_add_u32_e32 v4, v4, v33
	s_nop 1
	v_mov_b32_dpp v33, v4 row_bcast:31 row_mask:0xf bank_mask:0xf
	v_cndmask_b32_e64 v33, 0, v33, s[10:11]
	v_add_u32_e32 v4, v4, v33
	s_and_saveexec_b64 s[28:29], s[12:13]
; %bb.11:                               ;   in Loop: Header=BB378_4 Depth=2
	ds_write_b32 v23, v4
; %bb.12:                               ;   in Loop: Header=BB378_4 Depth=2
	s_or_b64 exec, exec, s[28:29]
	s_waitcnt lgkmcnt(0)
	s_barrier
	s_and_saveexec_b64 s[28:29], s[14:15]
	s_cbranch_execz .LBB378_14
; %bb.13:                               ;   in Loop: Header=BB378_4 Depth=2
	ds_read_b32 v33, v24
	s_waitcnt lgkmcnt(0)
	s_nop 0
	v_mov_b32_dpp v34, v33 row_shr:1 row_mask:0xf bank_mask:0xf
	v_cndmask_b32_e64 v34, v34, 0, s[22:23]
	v_add_u32_e32 v33, v34, v33
	s_nop 1
	v_mov_b32_dpp v34, v33 row_shr:2 row_mask:0xf bank_mask:0xf
	v_cndmask_b32_e64 v34, 0, v34, s[24:25]
	v_add_u32_e32 v33, v33, v34
	;; [unrolled: 4-line block ×3, first 2 shown]
	ds_write_b32 v24, v33
.LBB378_14:                             ;   in Loop: Header=BB378_4 Depth=2
	s_or_b64 exec, exec, s[28:29]
	v_mov_b32_e32 v33, 0
	s_waitcnt lgkmcnt(0)
	s_barrier
	s_and_saveexec_b64 s[28:29], s[16:17]
; %bb.15:                               ;   in Loop: Header=BB378_4 Depth=2
	v_add_u32_e32 v33, -4, v23
	ds_read_b32 v33, v33
; %bb.16:                               ;   in Loop: Header=BB378_4 Depth=2
	s_or_b64 exec, exec, s[28:29]
	s_waitcnt lgkmcnt(0)
	v_add_u32_e32 v4, v33, v4
	ds_bpermute_b32 v4, v22, v4
	s_cmp_gt_u32 s37, 55
	s_mov_b64 s[28:29], -1
	s_waitcnt lgkmcnt(0)
	v_cndmask_b32_e64 v4, v4, v33, s[18:19]
	v_cndmask_b32_e64 v33, v4, 0, s[20:21]
	v_add_u32_e32 v34, v33, v1
	v_add_u32_e32 v1, v34, v2
	;; [unrolled: 1-line block ×3, first 2 shown]
	ds_write2_b64 v21, v[33:34], v[1:2] offset0:4 offset1:5
	s_waitcnt lgkmcnt(0)
	s_barrier
	ds_read_b32 v1, v18 offset:32
	ds_read_b32 v2, v29 offset:32
	;; [unrolled: 1-line block ×3, first 2 shown]
	v_lshlrev_b32_e32 v4, 3, v17
	s_waitcnt lgkmcnt(0)
	v_lshl_add_u32 v29, v1, 3, v4
	v_lshlrev_b32_e32 v1, 3, v30
	v_lshlrev_b32_e32 v4, 3, v28
	;; [unrolled: 1-line block ×3, first 2 shown]
	v_add3_u32 v28, v1, v4, v2
	v_lshlrev_b32_e32 v1, 3, v10
	v_lshlrev_b32_e32 v2, 3, v31
	;; [unrolled: 1-line block ×3, first 2 shown]
	v_add3_u32 v10, v1, v2, v3
                                        ; implicit-def: $vgpr1_vgpr2
                                        ; implicit-def: $vgpr17_vgpr18
	s_cbranch_scc1 .LBB378_3
; %bb.17:                               ;   in Loop: Header=BB378_4 Depth=2
	s_barrier
	ds_write_b64 v29, v[15:16]
	ds_write_b64 v28, v[13:14]
	;; [unrolled: 1-line block ×3, first 2 shown]
	s_waitcnt lgkmcnt(0)
	s_barrier
	ds_read2st64_b64 v[1:4], v26 offset1:1
	ds_read_b64 v[17:18], v26 offset:1024
	s_add_i32 s36, s36, -8
	s_add_i32 s33, s33, 8
	s_add_i32 s37, s37, 8
	s_mov_b64 s[28:29], 0
	s_waitcnt lgkmcnt(0)
	s_barrier
	s_branch .LBB378_3
.LBB378_18:
	s_add_u32 s0, s38, s42
	s_addc_u32 s1, s39, s43
	v_lshlrev_b32_e32 v0, 3, v0
	v_mov_b32_e32 v1, s1
	v_add_co_u32_e32 v2, vcc, s0, v0
	v_addc_co_u32_e32 v5, vcc, 0, v1, vcc
	global_store_dwordx2 v0, v[12:13], s[0:1]
	v_add_co_u32_e32 v0, vcc, 0x1000, v2
	v_addc_co_u32_e32 v1, vcc, 0, v5, vcc
	global_store_dwordx2 v[0:1], v[3:4], off
	v_add_co_u32_e32 v0, vcc, 0x2000, v2
	v_addc_co_u32_e32 v1, vcc, 0, v5, vcc
	global_store_dwordx2 v[0:1], v[10:11], off
	s_endpgm
	.section	.rodata,"a",@progbits
	.p2align	6, 0x0
	.amdhsa_kernel _Z16sort_keys_kernelI22helper_blocked_stripedN15benchmark_utils11custom_typeIiiEELj512ELj3ELj10EEvPKT0_PS4_
		.amdhsa_group_segment_fixed_size 12288
		.amdhsa_private_segment_fixed_size 0
		.amdhsa_kernarg_size 272
		.amdhsa_user_sgpr_count 6
		.amdhsa_user_sgpr_private_segment_buffer 1
		.amdhsa_user_sgpr_dispatch_ptr 0
		.amdhsa_user_sgpr_queue_ptr 0
		.amdhsa_user_sgpr_kernarg_segment_ptr 1
		.amdhsa_user_sgpr_dispatch_id 0
		.amdhsa_user_sgpr_flat_scratch_init 0
		.amdhsa_user_sgpr_private_segment_size 0
		.amdhsa_uses_dynamic_stack 0
		.amdhsa_system_sgpr_private_segment_wavefront_offset 0
		.amdhsa_system_sgpr_workgroup_id_x 1
		.amdhsa_system_sgpr_workgroup_id_y 0
		.amdhsa_system_sgpr_workgroup_id_z 0
		.amdhsa_system_sgpr_workgroup_info 0
		.amdhsa_system_vgpr_workitem_id 2
		.amdhsa_next_free_vgpr 35
		.amdhsa_next_free_sgpr 47
		.amdhsa_reserve_vcc 1
		.amdhsa_reserve_flat_scratch 0
		.amdhsa_float_round_mode_32 0
		.amdhsa_float_round_mode_16_64 0
		.amdhsa_float_denorm_mode_32 3
		.amdhsa_float_denorm_mode_16_64 3
		.amdhsa_dx10_clamp 1
		.amdhsa_ieee_mode 1
		.amdhsa_fp16_overflow 0
		.amdhsa_exception_fp_ieee_invalid_op 0
		.amdhsa_exception_fp_denorm_src 0
		.amdhsa_exception_fp_ieee_div_zero 0
		.amdhsa_exception_fp_ieee_overflow 0
		.amdhsa_exception_fp_ieee_underflow 0
		.amdhsa_exception_fp_ieee_inexact 0
		.amdhsa_exception_int_div_zero 0
	.end_amdhsa_kernel
	.section	.text._Z16sort_keys_kernelI22helper_blocked_stripedN15benchmark_utils11custom_typeIiiEELj512ELj3ELj10EEvPKT0_PS4_,"axG",@progbits,_Z16sort_keys_kernelI22helper_blocked_stripedN15benchmark_utils11custom_typeIiiEELj512ELj3ELj10EEvPKT0_PS4_,comdat
.Lfunc_end378:
	.size	_Z16sort_keys_kernelI22helper_blocked_stripedN15benchmark_utils11custom_typeIiiEELj512ELj3ELj10EEvPKT0_PS4_, .Lfunc_end378-_Z16sort_keys_kernelI22helper_blocked_stripedN15benchmark_utils11custom_typeIiiEELj512ELj3ELj10EEvPKT0_PS4_
                                        ; -- End function
	.set _Z16sort_keys_kernelI22helper_blocked_stripedN15benchmark_utils11custom_typeIiiEELj512ELj3ELj10EEvPKT0_PS4_.num_vgpr, 35
	.set _Z16sort_keys_kernelI22helper_blocked_stripedN15benchmark_utils11custom_typeIiiEELj512ELj3ELj10EEvPKT0_PS4_.num_agpr, 0
	.set _Z16sort_keys_kernelI22helper_blocked_stripedN15benchmark_utils11custom_typeIiiEELj512ELj3ELj10EEvPKT0_PS4_.numbered_sgpr, 47
	.set _Z16sort_keys_kernelI22helper_blocked_stripedN15benchmark_utils11custom_typeIiiEELj512ELj3ELj10EEvPKT0_PS4_.num_named_barrier, 0
	.set _Z16sort_keys_kernelI22helper_blocked_stripedN15benchmark_utils11custom_typeIiiEELj512ELj3ELj10EEvPKT0_PS4_.private_seg_size, 0
	.set _Z16sort_keys_kernelI22helper_blocked_stripedN15benchmark_utils11custom_typeIiiEELj512ELj3ELj10EEvPKT0_PS4_.uses_vcc, 1
	.set _Z16sort_keys_kernelI22helper_blocked_stripedN15benchmark_utils11custom_typeIiiEELj512ELj3ELj10EEvPKT0_PS4_.uses_flat_scratch, 0
	.set _Z16sort_keys_kernelI22helper_blocked_stripedN15benchmark_utils11custom_typeIiiEELj512ELj3ELj10EEvPKT0_PS4_.has_dyn_sized_stack, 0
	.set _Z16sort_keys_kernelI22helper_blocked_stripedN15benchmark_utils11custom_typeIiiEELj512ELj3ELj10EEvPKT0_PS4_.has_recursion, 0
	.set _Z16sort_keys_kernelI22helper_blocked_stripedN15benchmark_utils11custom_typeIiiEELj512ELj3ELj10EEvPKT0_PS4_.has_indirect_call, 0
	.section	.AMDGPU.csdata,"",@progbits
; Kernel info:
; codeLenInByte = 2624
; TotalNumSgprs: 51
; NumVgprs: 35
; ScratchSize: 0
; MemoryBound: 0
; FloatMode: 240
; IeeeMode: 1
; LDSByteSize: 12288 bytes/workgroup (compile time only)
; SGPRBlocks: 6
; VGPRBlocks: 8
; NumSGPRsForWavesPerEU: 51
; NumVGPRsForWavesPerEU: 35
; Occupancy: 7
; WaveLimiterHint : 1
; COMPUTE_PGM_RSRC2:SCRATCH_EN: 0
; COMPUTE_PGM_RSRC2:USER_SGPR: 6
; COMPUTE_PGM_RSRC2:TRAP_HANDLER: 0
; COMPUTE_PGM_RSRC2:TGID_X_EN: 1
; COMPUTE_PGM_RSRC2:TGID_Y_EN: 0
; COMPUTE_PGM_RSRC2:TGID_Z_EN: 0
; COMPUTE_PGM_RSRC2:TIDIG_COMP_CNT: 2
	.section	.text._Z17sort_pairs_kernelI22helper_blocked_stripedN15benchmark_utils11custom_typeIiiEELj512ELj3ELj10EEvPKT0_PS4_,"axG",@progbits,_Z17sort_pairs_kernelI22helper_blocked_stripedN15benchmark_utils11custom_typeIiiEELj512ELj3ELj10EEvPKT0_PS4_,comdat
	.protected	_Z17sort_pairs_kernelI22helper_blocked_stripedN15benchmark_utils11custom_typeIiiEELj512ELj3ELj10EEvPKT0_PS4_ ; -- Begin function _Z17sort_pairs_kernelI22helper_blocked_stripedN15benchmark_utils11custom_typeIiiEELj512ELj3ELj10EEvPKT0_PS4_
	.globl	_Z17sort_pairs_kernelI22helper_blocked_stripedN15benchmark_utils11custom_typeIiiEELj512ELj3ELj10EEvPKT0_PS4_
	.p2align	8
	.type	_Z17sort_pairs_kernelI22helper_blocked_stripedN15benchmark_utils11custom_typeIiiEELj512ELj3ELj10EEvPKT0_PS4_,@function
_Z17sort_pairs_kernelI22helper_blocked_stripedN15benchmark_utils11custom_typeIiiEELj512ELj3ELj10EEvPKT0_PS4_: ; @_Z17sort_pairs_kernelI22helper_blocked_stripedN15benchmark_utils11custom_typeIiiEELj512ELj3ELj10EEvPKT0_PS4_
; %bb.0:
	s_load_dwordx4 s[36:39], s[4:5], 0x0
	s_load_dword s28, s[4:5], 0x1c
	s_mul_i32 s42, s6, 0x600
	s_mov_b32 s43, 0
	s_lshl_b64 s[40:41], s[42:43], 3
	s_waitcnt lgkmcnt(0)
	s_add_u32 s0, s36, s40
	v_mul_u32_u24_e32 v3, 3, v0
	s_addc_u32 s1, s37, s41
	v_lshlrev_b32_e32 v7, 3, v3
	global_load_dwordx4 v[3:6], v7, s[0:1]
	global_load_dwordx2 v[16:17], v7, s[0:1] offset:16
	s_lshr_b32 s29, s28, 16
	s_and_b32 s28, s28, 0xffff
	v_mad_u32_u24 v1, v2, s29, v1
	v_mbcnt_lo_u32_b32 v7, -1, 0
	v_mad_u64_u32 v[1:2], s[28:29], v1, s28, v[0:1]
	v_mbcnt_hi_u32_b32 v7, -1, v7
	v_lshrrev_b32_e32 v8, 6, v0
	v_and_b32_e32 v9, 0x1c0, v0
	s_mov_b32 s11, s43
	v_subrev_co_u32_e64 v20, s[8:9], 1, v7
	v_and_b32_e32 v21, 64, v7
	v_lshlrev_b32_e32 v31, 4, v0
	s_mov_b32 s10, s43
	v_mul_u32_u24_e32 v13, 0xc0, v8
	v_and_b32_e32 v14, 15, v7
	v_and_b32_e32 v18, 16, v7
	v_or_b32_e32 v19, 63, v9
	s_mov_b32 s42, s43
	v_mov_b32_e32 v12, s11
	v_cmp_lt_i32_e32 vcc, v20, v21
	v_lshlrev_b32_e32 v10, 2, v0
	v_lshlrev_b32_e32 v15, 3, v7
	;; [unrolled: 1-line block ×3, first 2 shown]
	v_mad_i32_i24 v33, v0, -12, v31
	v_and_b32_e32 v8, 7, v7
	v_mul_u32_u24_e32 v9, 24, v9
	v_mov_b32_e32 v11, s10
	v_cmp_eq_u32_e64 s[10:11], 0, v14
	v_cmp_lt_u32_e64 s[12:13], 1, v14
	v_cmp_lt_u32_e64 s[14:15], 3, v14
	;; [unrolled: 1-line block ×3, first 2 shown]
	v_cmp_eq_u32_e64 s[18:19], 0, v18
	v_cmp_eq_u32_e64 s[20:21], v0, v19
	v_lshlrev_b32_e32 v18, 3, v13
	v_cndmask_b32_e32 v19, v20, v7, vcc
	v_mov_b32_e32 v13, s42
	v_lshrrev_b32_e32 v1, 4, v1
	v_cmp_gt_u32_e64 s[0:1], 8, v0
	v_cmp_lt_u32_e64 s[2:3], 63, v0
	v_cmp_eq_u32_e64 s[4:5], 0, v0
	v_cmp_lt_u32_e64 s[6:7], 31, v7
	v_cmp_eq_u32_e64 s[22:23], 0, v8
	v_cmp_lt_u32_e64 s[24:25], 1, v8
	v_cmp_lt_u32_e64 s[26:27], 3, v8
	v_add_u32_e32 v34, v15, v9
	v_add_u32_e32 v35, v33, v10
	v_add_u32_e32 v36, -4, v32
	v_mov_b32_e32 v14, s43
	v_mad_u32_u24 v37, v7, 24, v18
	v_add_u32_e32 v38, v15, v18
	v_lshlrev_b32_e32 v39, 2, v19
	v_and_b32_e32 v40, 0xffffffc, v1
	v_mov_b32_e32 v15, 0
	s_waitcnt vmcnt(1)
	v_add_u32_e32 v8, 1, v4
	v_add_u32_e32 v7, 1, v3
	;; [unrolled: 1-line block ×4, first 2 shown]
	s_waitcnt vmcnt(0)
	v_add_u32_e32 v19, 1, v17
	v_add_u32_e32 v18, 1, v16
	s_branch .LBB379_2
.LBB379_1:                              ;   in Loop: Header=BB379_2 Depth=1
	s_barrier
	ds_write_b64 v41, v[25:26]
	ds_write_b64 v42, v[23:24]
	;; [unrolled: 1-line block ×3, first 2 shown]
	s_waitcnt lgkmcnt(0)
	s_barrier
	ds_read2st64_b64 v[3:6], v35 offset1:8
	ds_read_b64 v[1:2], v35 offset:8192
	s_waitcnt lgkmcnt(0)
	s_barrier
	ds_write_b64 v41, v[19:20]
	ds_write_b64 v42, v[17:18]
	;; [unrolled: 1-line block ×3, first 2 shown]
	s_waitcnt lgkmcnt(0)
	s_barrier
	ds_read2st64_b64 v[7:10], v35 offset1:8
	ds_read_b64 v[18:19], v35 offset:8192
	s_add_i32 s43, s43, 1
	v_xor_b32_e32 v3, 0x80000000, v3
	v_xor_b32_e32 v4, 0x80000000, v4
	v_xor_b32_e32 v5, 0x80000000, v5
	v_xor_b32_e32 v6, 0x80000000, v6
	v_xor_b32_e32 v16, 0x80000000, v1
	s_cmp_lg_u32 s43, 10
	v_xor_b32_e32 v17, 0x80000000, v2
	s_cbranch_scc0 .LBB379_18
.LBB379_2:                              ; =>This Loop Header: Depth=1
                                        ;     Child Loop BB379_4 Depth 2
	v_xor_b32_e32 v2, 0x80000000, v4
	v_xor_b32_e32 v1, 0x80000000, v3
	;; [unrolled: 1-line block ×6, first 2 shown]
	ds_write2_b64 v37, v[1:2], v[3:4] offset1:1
	ds_write_b64 v37, v[5:6] offset:16
	; wave barrier
	ds_read2st64_b64 v[1:4], v38 offset1:1
	ds_read_b64 v[27:28], v38 offset:1024
	; wave barrier
	s_waitcnt lgkmcnt(5)
	ds_write2_b64 v37, v[7:8], v[9:10] offset1:1
	s_waitcnt lgkmcnt(5)
	ds_write_b64 v37, v[18:19] offset:16
	; wave barrier
	ds_read2st64_b64 v[5:8], v38 offset1:1
	ds_read_b64 v[29:30], v38 offset:1024
	s_mov_b32 s33, 8
	s_mov_b32 s36, 32
	;; [unrolled: 1-line block ×3, first 2 shown]
	s_waitcnt lgkmcnt(0)
	s_barrier
	s_branch .LBB379_4
.LBB379_3:                              ;   in Loop: Header=BB379_4 Depth=2
	s_andn2_b64 vcc, exec, s[28:29]
	s_cbranch_vccz .LBB379_1
.LBB379_4:                              ;   Parent Loop BB379_2 Depth=1
                                        ; =>  This Inner Loop Header: Depth=2
	s_min_i32 s30, s33, 32
	s_cmp_lt_u32 s37, 32
	s_cselect_b64 s[28:29], -1, 0
	s_cmp_gt_u32 s37, 31
	s_cselect_b64 vcc, -1, 0
	s_sub_i32 s30, s30, 32
	s_add_i32 s31, s30, s36
	s_lshl_b32 s31, -1, s31
	s_not_b32 s31, s31
	s_cmp_lg_u32 s30, s37
	s_cselect_b32 s44, s31, -1
	s_max_i32 s42, s36, 0
	s_max_i32 s30, s37, 32
	s_sub_i32 s45, s30, 32
	s_sub_i32 s30, s30, s42
	;; [unrolled: 1-line block ×3, first 2 shown]
	s_min_i32 s30, s30, 32
	s_sub_i32 s30, s30, s45
	s_lshl_b32 s31, -1, s30
	v_mov_b32_e32 v26, v2
	s_not_b32 s31, s31
	v_mov_b32_e32 v25, v1
	s_cmp_lg_u32 s30, 32
	s_cselect_b32 s46, s31, -1
	v_lshrrev_b32_e32 v2, s45, v25
	v_lshrrev_b32_e32 v1, s37, v26
	v_and_b32_e32 v2, s46, v2
	v_and_b32_e32 v1, s44, v1
	v_lshlrev_b32_e32 v2, s42, v2
	v_cndmask_b32_e64 v1, 0, v1, s[28:29]
	v_cndmask_b32_e32 v2, 0, v2, vcc
	v_or_b32_e32 v1, v1, v2
	v_mov_b32_e32 v24, v4
	v_and_b32_e32 v2, 1, v1
	v_mov_b32_e32 v20, v6
	v_mov_b32_e32 v23, v3
	v_add_co_u32_e64 v4, s[30:31], -1, v2
	v_mov_b32_e32 v19, v5
	v_addc_co_u32_e64 v5, s[30:31], 0, -1, s[30:31]
	v_cmp_ne_u32_e64 s[30:31], 0, v2
	v_lshlrev_b32_e32 v16, 30, v1
	v_xor_b32_e32 v2, s31, v5
	v_xor_b32_e32 v4, s30, v4
	v_cmp_gt_i64_e64 s[30:31], 0, v[15:16]
	v_not_b32_e32 v5, v16
	v_ashrrev_i32_e32 v5, 31, v5
	v_and_b32_e32 v4, exec_lo, v4
	v_xor_b32_e32 v6, s31, v5
	v_xor_b32_e32 v5, s30, v5
	v_lshlrev_b32_e32 v16, 29, v1
	v_and_b32_e32 v4, v4, v5
	v_cmp_gt_i64_e64 s[30:31], 0, v[15:16]
	v_not_b32_e32 v5, v16
	v_and_b32_e32 v2, exec_hi, v2
	v_ashrrev_i32_e32 v5, 31, v5
	v_and_b32_e32 v2, v2, v6
	v_xor_b32_e32 v6, s31, v5
	v_xor_b32_e32 v5, s30, v5
	v_lshlrev_b32_e32 v16, 28, v1
	v_and_b32_e32 v4, v4, v5
	v_cmp_gt_i64_e64 s[30:31], 0, v[15:16]
	v_not_b32_e32 v5, v16
	v_ashrrev_i32_e32 v5, 31, v5
	v_and_b32_e32 v2, v2, v6
	v_xor_b32_e32 v6, s31, v5
	v_xor_b32_e32 v5, s30, v5
	v_lshlrev_b32_e32 v16, 27, v1
	v_and_b32_e32 v4, v4, v5
	v_cmp_gt_i64_e64 s[30:31], 0, v[15:16]
	v_not_b32_e32 v5, v16
	;; [unrolled: 8-line block ×4, first 2 shown]
	v_ashrrev_i32_e32 v5, 31, v5
	v_lshlrev_b32_e32 v16, 24, v1
	v_lshlrev_b32_e32 v3, 5, v1
	v_and_b32_e32 v2, v2, v6
	v_xor_b32_e32 v6, s31, v5
	v_xor_b32_e32 v5, s30, v5
	v_cmp_gt_i64_e64 s[30:31], 0, v[15:16]
	v_not_b32_e32 v1, v16
	v_ashrrev_i32_e32 v1, 31, v1
	v_and_b32_e32 v4, v4, v5
	v_xor_b32_e32 v5, s31, v1
	v_xor_b32_e32 v1, s30, v1
	v_and_b32_e32 v2, v2, v6
	v_and_b32_e32 v1, v4, v1
	;; [unrolled: 1-line block ×3, first 2 shown]
	v_mbcnt_lo_u32_b32 v4, v1, 0
	v_mbcnt_hi_u32_b32 v5, v2, v4
	v_cmp_ne_u64_e64 s[30:31], 0, v[1:2]
	v_mov_b32_e32 v18, v8
	v_mov_b32_e32 v9, v29
	;; [unrolled: 1-line block ×3, first 2 shown]
	v_cmp_eq_u32_e64 s[34:35], 0, v5
	v_mov_b32_e32 v17, v7
	v_mov_b32_e32 v10, v30
	;; [unrolled: 1-line block ×3, first 2 shown]
	s_and_b64 s[34:35], s[34:35], s[30:31]
	v_add_u32_e32 v6, v40, v3
	ds_write2_b64 v31, v[13:14], v[11:12] offset0:4 offset1:5
	s_waitcnt lgkmcnt(0)
	s_barrier
	; wave barrier
	s_and_saveexec_b64 s[30:31], s[34:35]
; %bb.5:                                ;   in Loop: Header=BB379_4 Depth=2
	v_bcnt_u32_b32 v1, v1, 0
	v_bcnt_u32_b32 v1, v2, v1
	ds_write_b32 v6, v1 offset:32
; %bb.6:                                ;   in Loop: Header=BB379_4 Depth=2
	s_or_b64 exec, exec, s[30:31]
	v_lshrrev_b32_e32 v2, s45, v23
	v_lshrrev_b32_e32 v1, s37, v24
	v_and_b32_e32 v2, s46, v2
	v_and_b32_e32 v1, s44, v1
	v_lshlrev_b32_e32 v2, s42, v2
	v_cndmask_b32_e64 v1, 0, v1, s[28:29]
	v_cndmask_b32_e32 v2, 0, v2, vcc
	v_or_b32_e32 v1, v1, v2
	v_lshlrev_b32_e32 v2, 5, v1
	v_add_u32_e32 v8, v40, v2
	v_and_b32_e32 v2, 1, v1
	v_add_co_u32_e64 v3, s[30:31], -1, v2
	v_addc_co_u32_e64 v4, s[30:31], 0, -1, s[30:31]
	v_cmp_ne_u32_e64 s[30:31], 0, v2
	v_lshlrev_b32_e32 v16, 30, v1
	v_xor_b32_e32 v2, s31, v4
	v_xor_b32_e32 v3, s30, v3
	v_cmp_gt_i64_e64 s[30:31], 0, v[15:16]
	v_not_b32_e32 v4, v16
	v_ashrrev_i32_e32 v4, 31, v4
	v_and_b32_e32 v2, exec_hi, v2
	v_xor_b32_e32 v16, s31, v4
	v_and_b32_e32 v3, exec_lo, v3
	v_xor_b32_e32 v4, s30, v4
	v_and_b32_e32 v2, v2, v16
	v_lshlrev_b32_e32 v16, 29, v1
	v_and_b32_e32 v3, v3, v4
	v_cmp_gt_i64_e64 s[30:31], 0, v[15:16]
	v_not_b32_e32 v4, v16
	v_ashrrev_i32_e32 v4, 31, v4
	v_xor_b32_e32 v16, s31, v4
	v_xor_b32_e32 v4, s30, v4
	v_and_b32_e32 v2, v2, v16
	v_lshlrev_b32_e32 v16, 28, v1
	v_and_b32_e32 v3, v3, v4
	v_cmp_gt_i64_e64 s[30:31], 0, v[15:16]
	v_not_b32_e32 v4, v16
	v_ashrrev_i32_e32 v4, 31, v4
	v_xor_b32_e32 v16, s31, v4
	;; [unrolled: 8-line block ×5, first 2 shown]
	v_and_b32_e32 v2, v2, v16
	v_lshlrev_b32_e32 v16, 24, v1
	v_xor_b32_e32 v4, s30, v4
	v_cmp_gt_i64_e64 s[30:31], 0, v[15:16]
	v_not_b32_e32 v1, v16
	v_ashrrev_i32_e32 v1, 31, v1
	v_and_b32_e32 v3, v3, v4
	v_xor_b32_e32 v4, s31, v1
	v_xor_b32_e32 v1, s30, v1
	; wave barrier
	ds_read_b32 v7, v8 offset:32
	v_and_b32_e32 v1, v3, v1
	v_and_b32_e32 v2, v2, v4
	v_mbcnt_lo_u32_b32 v3, v1, 0
	v_mbcnt_hi_u32_b32 v27, v2, v3
	v_cmp_ne_u64_e64 s[30:31], 0, v[1:2]
	v_cmp_eq_u32_e64 s[34:35], 0, v27
	s_and_b64 s[34:35], s[34:35], s[30:31]
	; wave barrier
	s_and_saveexec_b64 s[30:31], s[34:35]
	s_cbranch_execz .LBB379_8
; %bb.7:                                ;   in Loop: Header=BB379_4 Depth=2
	v_bcnt_u32_b32 v1, v1, 0
	v_bcnt_u32_b32 v1, v2, v1
	s_waitcnt lgkmcnt(0)
	v_add_u32_e32 v1, v7, v1
	ds_write_b32 v8, v1 offset:32
.LBB379_8:                              ;   in Loop: Header=BB379_4 Depth=2
	s_or_b64 exec, exec, s[30:31]
	v_lshrrev_b32_e32 v2, s45, v21
	v_lshrrev_b32_e32 v1, s37, v22
	v_and_b32_e32 v2, s46, v2
	v_and_b32_e32 v1, s44, v1
	v_lshlrev_b32_e32 v2, s42, v2
	v_cndmask_b32_e64 v1, 0, v1, s[28:29]
	v_cndmask_b32_e32 v2, 0, v2, vcc
	v_or_b32_e32 v1, v1, v2
	v_lshlrev_b32_e32 v2, 5, v1
	v_add_u32_e32 v29, v40, v2
	v_and_b32_e32 v2, 1, v1
	v_add_co_u32_e32 v3, vcc, -1, v2
	v_addc_co_u32_e64 v4, s[28:29], 0, -1, vcc
	v_cmp_ne_u32_e32 vcc, 0, v2
	v_lshlrev_b32_e32 v16, 30, v1
	v_xor_b32_e32 v2, vcc_hi, v4
	v_xor_b32_e32 v3, vcc_lo, v3
	v_cmp_gt_i64_e32 vcc, 0, v[15:16]
	v_not_b32_e32 v4, v16
	v_ashrrev_i32_e32 v4, 31, v4
	v_and_b32_e32 v2, exec_hi, v2
	v_xor_b32_e32 v16, vcc_hi, v4
	v_and_b32_e32 v3, exec_lo, v3
	v_xor_b32_e32 v4, vcc_lo, v4
	v_and_b32_e32 v2, v2, v16
	v_lshlrev_b32_e32 v16, 29, v1
	v_and_b32_e32 v3, v3, v4
	v_cmp_gt_i64_e32 vcc, 0, v[15:16]
	v_not_b32_e32 v4, v16
	v_ashrrev_i32_e32 v4, 31, v4
	v_xor_b32_e32 v16, vcc_hi, v4
	v_xor_b32_e32 v4, vcc_lo, v4
	v_and_b32_e32 v2, v2, v16
	v_lshlrev_b32_e32 v16, 28, v1
	v_and_b32_e32 v3, v3, v4
	v_cmp_gt_i64_e32 vcc, 0, v[15:16]
	v_not_b32_e32 v4, v16
	v_ashrrev_i32_e32 v4, 31, v4
	v_xor_b32_e32 v16, vcc_hi, v4
	;; [unrolled: 8-line block ×5, first 2 shown]
	v_and_b32_e32 v2, v2, v16
	v_lshlrev_b32_e32 v16, 24, v1
	v_xor_b32_e32 v4, vcc_lo, v4
	v_cmp_gt_i64_e32 vcc, 0, v[15:16]
	v_not_b32_e32 v1, v16
	v_ashrrev_i32_e32 v1, 31, v1
	v_and_b32_e32 v3, v3, v4
	v_xor_b32_e32 v4, vcc_hi, v1
	v_xor_b32_e32 v1, vcc_lo, v1
	; wave barrier
	ds_read_b32 v28, v29 offset:32
	v_and_b32_e32 v1, v3, v1
	v_and_b32_e32 v2, v2, v4
	v_mbcnt_lo_u32_b32 v3, v1, 0
	v_mbcnt_hi_u32_b32 v16, v2, v3
	v_cmp_ne_u64_e32 vcc, 0, v[1:2]
	v_cmp_eq_u32_e64 s[28:29], 0, v16
	s_and_b64 s[30:31], s[28:29], vcc
	; wave barrier
	s_and_saveexec_b64 s[28:29], s[30:31]
	s_cbranch_execz .LBB379_10
; %bb.9:                                ;   in Loop: Header=BB379_4 Depth=2
	v_bcnt_u32_b32 v1, v1, 0
	v_bcnt_u32_b32 v1, v2, v1
	s_waitcnt lgkmcnt(0)
	v_add_u32_e32 v1, v28, v1
	ds_write_b32 v29, v1 offset:32
.LBB379_10:                             ;   in Loop: Header=BB379_4 Depth=2
	s_or_b64 exec, exec, s[28:29]
	; wave barrier
	s_waitcnt lgkmcnt(0)
	s_barrier
	ds_read2_b64 v[1:4], v31 offset0:4 offset1:5
	s_waitcnt lgkmcnt(0)
	v_add_u32_e32 v30, v2, v1
	v_add3_u32 v4, v30, v3, v4
	s_nop 1
	v_mov_b32_dpp v30, v4 row_shr:1 row_mask:0xf bank_mask:0xf
	v_cndmask_b32_e64 v30, v30, 0, s[10:11]
	v_add_u32_e32 v4, v30, v4
	s_nop 1
	v_mov_b32_dpp v30, v4 row_shr:2 row_mask:0xf bank_mask:0xf
	v_cndmask_b32_e64 v30, 0, v30, s[12:13]
	v_add_u32_e32 v4, v4, v30
	s_nop 1
	v_mov_b32_dpp v30, v4 row_shr:4 row_mask:0xf bank_mask:0xf
	v_cndmask_b32_e64 v30, 0, v30, s[14:15]
	v_add_u32_e32 v4, v4, v30
	s_nop 1
	v_mov_b32_dpp v30, v4 row_shr:8 row_mask:0xf bank_mask:0xf
	v_cndmask_b32_e64 v30, 0, v30, s[16:17]
	v_add_u32_e32 v4, v4, v30
	s_nop 1
	v_mov_b32_dpp v30, v4 row_bcast:15 row_mask:0xf bank_mask:0xf
	v_cndmask_b32_e64 v30, v30, 0, s[18:19]
	v_add_u32_e32 v4, v4, v30
	s_nop 1
	v_mov_b32_dpp v30, v4 row_bcast:31 row_mask:0xf bank_mask:0xf
	v_cndmask_b32_e64 v30, 0, v30, s[6:7]
	v_add_u32_e32 v4, v4, v30
	s_and_saveexec_b64 s[28:29], s[20:21]
; %bb.11:                               ;   in Loop: Header=BB379_4 Depth=2
	ds_write_b32 v32, v4
; %bb.12:                               ;   in Loop: Header=BB379_4 Depth=2
	s_or_b64 exec, exec, s[28:29]
	s_waitcnt lgkmcnt(0)
	s_barrier
	s_and_saveexec_b64 s[28:29], s[0:1]
	s_cbranch_execz .LBB379_14
; %bb.13:                               ;   in Loop: Header=BB379_4 Depth=2
	ds_read_b32 v30, v33
	s_waitcnt lgkmcnt(0)
	s_nop 0
	v_mov_b32_dpp v41, v30 row_shr:1 row_mask:0xf bank_mask:0xf
	v_cndmask_b32_e64 v41, v41, 0, s[22:23]
	v_add_u32_e32 v30, v41, v30
	s_nop 1
	v_mov_b32_dpp v41, v30 row_shr:2 row_mask:0xf bank_mask:0xf
	v_cndmask_b32_e64 v41, 0, v41, s[24:25]
	v_add_u32_e32 v30, v30, v41
	;; [unrolled: 4-line block ×3, first 2 shown]
	ds_write_b32 v33, v30
.LBB379_14:                             ;   in Loop: Header=BB379_4 Depth=2
	s_or_b64 exec, exec, s[28:29]
	v_mov_b32_e32 v30, 0
	s_waitcnt lgkmcnt(0)
	s_barrier
	s_and_saveexec_b64 s[28:29], s[2:3]
; %bb.15:                               ;   in Loop: Header=BB379_4 Depth=2
	ds_read_b32 v30, v36
; %bb.16:                               ;   in Loop: Header=BB379_4 Depth=2
	s_or_b64 exec, exec, s[28:29]
	s_waitcnt lgkmcnt(0)
	v_add_u32_e32 v4, v30, v4
	ds_bpermute_b32 v4, v39, v4
	s_cmp_gt_u32 s37, 55
	s_mov_b64 s[28:29], -1
	s_waitcnt lgkmcnt(0)
	v_cndmask_b32_e64 v4, v4, v30, s[8:9]
	v_cndmask_b32_e64 v41, v4, 0, s[4:5]
	v_add_u32_e32 v42, v41, v1
	v_add_u32_e32 v1, v42, v2
	;; [unrolled: 1-line block ×3, first 2 shown]
	ds_write2_b64 v31, v[41:42], v[1:2] offset0:4 offset1:5
	s_waitcnt lgkmcnt(0)
	s_barrier
	ds_read_b32 v1, v6 offset:32
	ds_read_b32 v2, v8 offset:32
	;; [unrolled: 1-line block ×3, first 2 shown]
	v_lshlrev_b32_e32 v4, 3, v5
	s_waitcnt lgkmcnt(0)
	v_lshl_add_u32 v41, v1, 3, v4
	v_lshlrev_b32_e32 v1, 3, v27
	v_lshlrev_b32_e32 v4, 3, v7
	;; [unrolled: 1-line block ×3, first 2 shown]
	v_add3_u32 v42, v1, v4, v2
	v_lshlrev_b32_e32 v1, 3, v16
	v_lshlrev_b32_e32 v2, 3, v28
	;; [unrolled: 1-line block ×3, first 2 shown]
	v_add3_u32 v16, v1, v2, v3
                                        ; implicit-def: $vgpr5_vgpr6
                                        ; implicit-def: $vgpr29_vgpr30
                                        ; implicit-def: $vgpr1_vgpr2
                                        ; implicit-def: $vgpr27_vgpr28
	s_cbranch_scc1 .LBB379_3
; %bb.17:                               ;   in Loop: Header=BB379_4 Depth=2
	s_barrier
	ds_write_b64 v41, v[25:26]
	ds_write_b64 v42, v[23:24]
	ds_write_b64 v16, v[21:22]
	s_waitcnt lgkmcnt(0)
	s_barrier
	ds_read2st64_b64 v[1:4], v34 offset1:1
	ds_read_b64 v[27:28], v34 offset:1024
	s_waitcnt lgkmcnt(0)
	s_barrier
	ds_write_b64 v41, v[19:20]
	ds_write_b64 v42, v[17:18]
	;; [unrolled: 1-line block ×3, first 2 shown]
	s_waitcnt lgkmcnt(0)
	s_barrier
	ds_read2st64_b64 v[5:8], v34 offset1:1
	ds_read_b64 v[29:30], v34 offset:1024
	s_add_i32 s36, s36, -8
	s_add_i32 s33, s33, 8
	s_add_i32 s37, s37, 8
	s_mov_b64 s[28:29], 0
	s_waitcnt lgkmcnt(0)
	s_barrier
	s_branch .LBB379_3
.LBB379_18:
	s_add_u32 s0, s38, s40
	s_addc_u32 s1, s39, s41
	v_lshlrev_b32_e32 v0, 3, v0
	s_waitcnt lgkmcnt(1)
	v_add_u32_e32 v1, v3, v7
	v_add_u32_e32 v2, v4, v8
	v_mov_b32_e32 v7, s1
	v_add_co_u32_e32 v8, vcc, s0, v0
	v_addc_co_u32_e32 v7, vcc, 0, v7, vcc
	global_store_dwordx2 v0, v[1:2], s[0:1]
	v_add_co_u32_e32 v0, vcc, 0x1000, v8
	v_add_u32_e32 v3, v5, v9
	v_add_u32_e32 v4, v6, v10
	v_addc_co_u32_e32 v1, vcc, 0, v7, vcc
	global_store_dwordx2 v[0:1], v[3:4], off
	v_add_co_u32_e32 v0, vcc, 0x2000, v8
	s_waitcnt lgkmcnt(0)
	v_add_u32_e32 v5, v16, v18
	v_add_u32_e32 v6, v17, v19
	v_addc_co_u32_e32 v1, vcc, 0, v7, vcc
	global_store_dwordx2 v[0:1], v[5:6], off
	s_endpgm
	.section	.rodata,"a",@progbits
	.p2align	6, 0x0
	.amdhsa_kernel _Z17sort_pairs_kernelI22helper_blocked_stripedN15benchmark_utils11custom_typeIiiEELj512ELj3ELj10EEvPKT0_PS4_
		.amdhsa_group_segment_fixed_size 12288
		.amdhsa_private_segment_fixed_size 0
		.amdhsa_kernarg_size 272
		.amdhsa_user_sgpr_count 6
		.amdhsa_user_sgpr_private_segment_buffer 1
		.amdhsa_user_sgpr_dispatch_ptr 0
		.amdhsa_user_sgpr_queue_ptr 0
		.amdhsa_user_sgpr_kernarg_segment_ptr 1
		.amdhsa_user_sgpr_dispatch_id 0
		.amdhsa_user_sgpr_flat_scratch_init 0
		.amdhsa_user_sgpr_private_segment_size 0
		.amdhsa_uses_dynamic_stack 0
		.amdhsa_system_sgpr_private_segment_wavefront_offset 0
		.amdhsa_system_sgpr_workgroup_id_x 1
		.amdhsa_system_sgpr_workgroup_id_y 0
		.amdhsa_system_sgpr_workgroup_id_z 0
		.amdhsa_system_sgpr_workgroup_info 0
		.amdhsa_system_vgpr_workitem_id 2
		.amdhsa_next_free_vgpr 43
		.amdhsa_next_free_sgpr 47
		.amdhsa_reserve_vcc 1
		.amdhsa_reserve_flat_scratch 0
		.amdhsa_float_round_mode_32 0
		.amdhsa_float_round_mode_16_64 0
		.amdhsa_float_denorm_mode_32 3
		.amdhsa_float_denorm_mode_16_64 3
		.amdhsa_dx10_clamp 1
		.amdhsa_ieee_mode 1
		.amdhsa_fp16_overflow 0
		.amdhsa_exception_fp_ieee_invalid_op 0
		.amdhsa_exception_fp_denorm_src 0
		.amdhsa_exception_fp_ieee_div_zero 0
		.amdhsa_exception_fp_ieee_overflow 0
		.amdhsa_exception_fp_ieee_underflow 0
		.amdhsa_exception_fp_ieee_inexact 0
		.amdhsa_exception_int_div_zero 0
	.end_amdhsa_kernel
	.section	.text._Z17sort_pairs_kernelI22helper_blocked_stripedN15benchmark_utils11custom_typeIiiEELj512ELj3ELj10EEvPKT0_PS4_,"axG",@progbits,_Z17sort_pairs_kernelI22helper_blocked_stripedN15benchmark_utils11custom_typeIiiEELj512ELj3ELj10EEvPKT0_PS4_,comdat
.Lfunc_end379:
	.size	_Z17sort_pairs_kernelI22helper_blocked_stripedN15benchmark_utils11custom_typeIiiEELj512ELj3ELj10EEvPKT0_PS4_, .Lfunc_end379-_Z17sort_pairs_kernelI22helper_blocked_stripedN15benchmark_utils11custom_typeIiiEELj512ELj3ELj10EEvPKT0_PS4_
                                        ; -- End function
	.set _Z17sort_pairs_kernelI22helper_blocked_stripedN15benchmark_utils11custom_typeIiiEELj512ELj3ELj10EEvPKT0_PS4_.num_vgpr, 43
	.set _Z17sort_pairs_kernelI22helper_blocked_stripedN15benchmark_utils11custom_typeIiiEELj512ELj3ELj10EEvPKT0_PS4_.num_agpr, 0
	.set _Z17sort_pairs_kernelI22helper_blocked_stripedN15benchmark_utils11custom_typeIiiEELj512ELj3ELj10EEvPKT0_PS4_.numbered_sgpr, 47
	.set _Z17sort_pairs_kernelI22helper_blocked_stripedN15benchmark_utils11custom_typeIiiEELj512ELj3ELj10EEvPKT0_PS4_.num_named_barrier, 0
	.set _Z17sort_pairs_kernelI22helper_blocked_stripedN15benchmark_utils11custom_typeIiiEELj512ELj3ELj10EEvPKT0_PS4_.private_seg_size, 0
	.set _Z17sort_pairs_kernelI22helper_blocked_stripedN15benchmark_utils11custom_typeIiiEELj512ELj3ELj10EEvPKT0_PS4_.uses_vcc, 1
	.set _Z17sort_pairs_kernelI22helper_blocked_stripedN15benchmark_utils11custom_typeIiiEELj512ELj3ELj10EEvPKT0_PS4_.uses_flat_scratch, 0
	.set _Z17sort_pairs_kernelI22helper_blocked_stripedN15benchmark_utils11custom_typeIiiEELj512ELj3ELj10EEvPKT0_PS4_.has_dyn_sized_stack, 0
	.set _Z17sort_pairs_kernelI22helper_blocked_stripedN15benchmark_utils11custom_typeIiiEELj512ELj3ELj10EEvPKT0_PS4_.has_recursion, 0
	.set _Z17sort_pairs_kernelI22helper_blocked_stripedN15benchmark_utils11custom_typeIiiEELj512ELj3ELj10EEvPKT0_PS4_.has_indirect_call, 0
	.section	.AMDGPU.csdata,"",@progbits
; Kernel info:
; codeLenInByte = 2840
; TotalNumSgprs: 51
; NumVgprs: 43
; ScratchSize: 0
; MemoryBound: 0
; FloatMode: 240
; IeeeMode: 1
; LDSByteSize: 12288 bytes/workgroup (compile time only)
; SGPRBlocks: 6
; VGPRBlocks: 10
; NumSGPRsForWavesPerEU: 51
; NumVGPRsForWavesPerEU: 43
; Occupancy: 5
; WaveLimiterHint : 1
; COMPUTE_PGM_RSRC2:SCRATCH_EN: 0
; COMPUTE_PGM_RSRC2:USER_SGPR: 6
; COMPUTE_PGM_RSRC2:TRAP_HANDLER: 0
; COMPUTE_PGM_RSRC2:TGID_X_EN: 1
; COMPUTE_PGM_RSRC2:TGID_Y_EN: 0
; COMPUTE_PGM_RSRC2:TGID_Z_EN: 0
; COMPUTE_PGM_RSRC2:TIDIG_COMP_CNT: 2
	.section	.text._Z16sort_keys_kernelI22helper_blocked_stripedN15benchmark_utils11custom_typeIiiEELj512ELj4ELj10EEvPKT0_PS4_,"axG",@progbits,_Z16sort_keys_kernelI22helper_blocked_stripedN15benchmark_utils11custom_typeIiiEELj512ELj4ELj10EEvPKT0_PS4_,comdat
	.protected	_Z16sort_keys_kernelI22helper_blocked_stripedN15benchmark_utils11custom_typeIiiEELj512ELj4ELj10EEvPKT0_PS4_ ; -- Begin function _Z16sort_keys_kernelI22helper_blocked_stripedN15benchmark_utils11custom_typeIiiEELj512ELj4ELj10EEvPKT0_PS4_
	.globl	_Z16sort_keys_kernelI22helper_blocked_stripedN15benchmark_utils11custom_typeIiiEELj512ELj4ELj10EEvPKT0_PS4_
	.p2align	8
	.type	_Z16sort_keys_kernelI22helper_blocked_stripedN15benchmark_utils11custom_typeIiiEELj512ELj4ELj10EEvPKT0_PS4_,@function
_Z16sort_keys_kernelI22helper_blocked_stripedN15benchmark_utils11custom_typeIiiEELj512ELj4ELj10EEvPKT0_PS4_: ; @_Z16sort_keys_kernelI22helper_blocked_stripedN15benchmark_utils11custom_typeIiiEELj512ELj4ELj10EEvPKT0_PS4_
; %bb.0:
	s_load_dwordx4 s[44:47], s[4:5], 0x0
	s_load_dword s8, s[4:5], 0x1c
	s_lshl_b32 s48, s6, 11
	s_mov_b32 s49, 0
	s_lshl_b64 s[50:51], s[48:49], 3
	s_waitcnt lgkmcnt(0)
	s_add_u32 s0, s44, s50
	s_addc_u32 s1, s45, s51
	v_lshlrev_b32_e32 v11, 5, v0
	global_load_dwordx4 v[3:6], v11, s[0:1] offset:16
	global_load_dwordx4 v[7:10], v11, s[0:1]
	global_load_dwordx2 v[7:8], v11, s[0:1]
	s_lshr_b32 s9, s8, 16
	v_mbcnt_lo_u32_b32 v12, -1, 0
	s_and_b32 s8, s8, 0xffff
	v_mad_u32_u24 v1, v2, s9, v1
	v_mbcnt_hi_u32_b32 v12, -1, v12
	v_mad_u64_u32 v[1:2], s[8:9], v1, s8, v[0:1]
	v_and_b32_e32 v2, 15, v12
	v_cmp_eq_u32_e64 s[8:9], 0, v2
	v_cmp_lt_u32_e64 s[10:11], 1, v2
	v_cmp_lt_u32_e64 s[12:13], 3, v2
	;; [unrolled: 1-line block ×3, first 2 shown]
	v_and_b32_e32 v2, 16, v12
	v_cmp_eq_u32_e64 s[16:17], 0, v2
	v_or_b32_e32 v2, 63, v0
	v_and_b32_e32 v16, 64, v12
	v_cmp_eq_u32_e64 s[20:21], v0, v2
	v_subrev_co_u32_e64 v2, s[26:27], 1, v12
	v_cmp_lt_i32_e32 vcc, v2, v16
	v_cndmask_b32_e32 v2, v2, v12, vcc
	v_lshrrev_b32_e32 v13, 2, v12
	v_lshlrev_b32_e32 v28, 2, v2
	v_lshrrev_b32_e32 v2, 4, v0
	v_or_b32_e32 v17, v13, v16
	v_add_u32_e32 v13, 48, v13
	v_and_b32_e32 v29, 28, v2
	v_and_b32_e32 v2, 7, v12
	;; [unrolled: 1-line block ×3, first 2 shown]
	v_and_or_b32 v13, v13, 63, v16
	v_lshlrev_b32_e32 v27, 4, v0
	v_cmp_eq_u32_e64 s[30:31], 0, v2
	v_cmp_lt_u32_e64 s[34:35], 1, v2
	v_cmp_lt_u32_e64 s[36:37], 3, v2
	v_and_b32_e32 v2, 0x3800, v11
	s_mov_b32 s48, s49
	s_mov_b32 s38, s49
                                        ; kill: killed $sgpr0 killed $sgpr1
	v_lshlrev_b32_e32 v15, 2, v0
	v_lshlrev_b32_e32 v23, 2, v17
	v_cmp_eq_u32_e64 s[0:1], 0, v14
	v_cmp_eq_u32_e64 s[2:3], 1, v14
	;; [unrolled: 1-line block ×4, first 2 shown]
	v_lshlrev_b32_e32 v26, 2, v13
	v_cmp_lt_u32_e64 s[18:19], 31, v12
	v_mad_i32_i24 v30, v0, -12, v27
	v_lshl_or_b32 v32, v12, 3, v2
	v_lshrrev_b32_e32 v1, 4, v1
	s_mov_b32 s39, s49
	v_mov_b32_e32 v11, s48
	v_mov_b32_e32 v13, s38
	v_add_u32_e32 v24, 64, v23
	v_or_b32_e32 v25, 0x80, v23
	v_cmp_gt_u32_e64 s[22:23], 8, v0
	v_cmp_lt_u32_e64 s[24:25], 63, v0
	v_cmp_eq_u32_e64 s[28:29], 0, v0
	v_add_u32_e32 v31, -4, v29
	v_and_b32_e32 v33, 0xffffffc, v1
	v_mov_b32_e32 v12, s49
	v_mov_b32_e32 v14, s39
	v_add_u32_e32 v34, v30, v15
	v_mov_b32_e32 v15, 0
	s_branch .LBB380_2
.LBB380_1:                              ;   in Loop: Header=BB380_2 Depth=1
	s_barrier
	ds_write_b64 v37, v[21:22]
	ds_write_b64 v35, v[19:20]
	;; [unrolled: 1-line block ×4, first 2 shown]
	s_waitcnt lgkmcnt(0)
	s_barrier
	ds_read2st64_b64 v[1:4], v34 offset1:8
	ds_read2st64_b64 v[16:19], v34 offset0:16 offset1:24
	s_add_i32 s49, s49, 1
	s_cmp_eq_u32 s49, 10
	s_waitcnt lgkmcnt(1)
	v_xor_b32_e32 v7, 0x80000000, v1
	v_xor_b32_e32 v8, 0x80000000, v2
	;; [unrolled: 1-line block ×4, first 2 shown]
	s_waitcnt lgkmcnt(0)
	v_xor_b32_e32 v3, 0x80000000, v16
	v_xor_b32_e32 v4, 0x80000000, v17
	;; [unrolled: 1-line block ×4, first 2 shown]
	s_cbranch_scc1 .LBB380_20
.LBB380_2:                              ; =>This Loop Header: Depth=1
                                        ;     Child Loop BB380_4 Depth 2
	s_waitcnt vmcnt(0)
	v_xor_b32_e32 v8, 0x80000000, v8
	v_xor_b32_e32 v10, 0x80000000, v10
	ds_bpermute_b32 v1, v23, v8
	v_xor_b32_e32 v16, 0x80000000, v3
	v_xor_b32_e32 v17, 0x80000000, v4
	ds_bpermute_b32 v3, v23, v10
	v_xor_b32_e32 v18, 0x80000000, v5
	ds_bpermute_b32 v5, v23, v17
	v_xor_b32_e32 v7, 0x80000000, v7
	v_xor_b32_e32 v9, 0x80000000, v9
	ds_bpermute_b32 v2, v23, v7
	s_waitcnt lgkmcnt(3)
	v_cndmask_b32_e64 v1, 0, v1, s[0:1]
	ds_bpermute_b32 v4, v23, v9
	v_xor_b32_e32 v19, 0x80000000, v6
	ds_bpermute_b32 v6, v23, v16
	s_waitcnt lgkmcnt(4)
	v_cndmask_b32_e64 v1, v1, v3, s[2:3]
	ds_bpermute_b32 v3, v23, v19
	s_waitcnt lgkmcnt(4)
	v_cndmask_b32_e64 v1, v1, v5, s[4:5]
	;; [unrolled: 3-line block ×3, first 2 shown]
	s_waitcnt lgkmcnt(3)
	v_cndmask_b32_e64 v2, v2, v4, s[2:3]
	s_waitcnt lgkmcnt(2)
	v_cndmask_b32_e64 v4, v2, v6, s[4:5]
	ds_bpermute_b32 v6, v24, v7
	s_waitcnt lgkmcnt(2)
	v_cndmask_b32_e64 v2, v1, v3, s[6:7]
	ds_bpermute_b32 v3, v24, v8
	;; [unrolled: 3-line block ×3, first 2 shown]
	ds_bpermute_b32 v20, v24, v10
	s_waitcnt lgkmcnt(3)
	v_cndmask_b32_e64 v5, 0, v6, s[0:1]
	s_waitcnt lgkmcnt(2)
	v_cndmask_b32_e64 v3, 0, v3, s[0:1]
	ds_bpermute_b32 v6, v24, v17
	s_waitcnt lgkmcnt(2)
	v_cndmask_b32_e64 v4, v5, v4, s[2:3]
	ds_bpermute_b32 v5, v24, v16
	;; [unrolled: 3-line block ×3, first 2 shown]
	ds_bpermute_b32 v21, v24, v18
	s_waitcnt lgkmcnt(3)
	v_cndmask_b32_e64 v3, v3, v6, s[4:5]
	ds_bpermute_b32 v6, v25, v8
	s_waitcnt lgkmcnt(3)
	v_cndmask_b32_e64 v5, v4, v5, s[4:5]
	;; [unrolled: 3-line block ×3, first 2 shown]
	s_waitcnt lgkmcnt(2)
	v_cndmask_b32_e64 v3, v5, v21, s[6:7]
	ds_bpermute_b32 v5, v25, v7
	ds_bpermute_b32 v20, v25, v10
	;; [unrolled: 1-line block ×5, first 2 shown]
	s_waitcnt lgkmcnt(5)
	v_cndmask_b32_e64 v8, 0, v8, s[0:1]
	ds_bpermute_b32 v9, v26, v9
	v_cndmask_b32_e64 v6, 0, v6, s[0:1]
	ds_bpermute_b32 v22, v25, v17
	s_waitcnt lgkmcnt(6)
	v_cndmask_b32_e64 v5, 0, v5, s[0:1]
	ds_bpermute_b32 v35, v25, v16
	s_waitcnt lgkmcnt(5)
	v_cndmask_b32_e64 v8, v8, v10, s[2:3]
	ds_bpermute_b32 v10, v26, v17
	ds_bpermute_b32 v16, v26, v16
	v_cndmask_b32_e64 v6, v6, v20, s[2:3]
	s_waitcnt lgkmcnt(6)
	v_cndmask_b32_e64 v5, v5, v21, s[2:3]
	ds_bpermute_b32 v20, v25, v19
	ds_bpermute_b32 v21, v25, v18
	;; [unrolled: 1-line block ×4, first 2 shown]
	s_waitcnt lgkmcnt(9)
	v_cndmask_b32_e64 v7, 0, v7, s[0:1]
	s_waitcnt lgkmcnt(8)
	v_cndmask_b32_e64 v7, v7, v9, s[2:3]
	;; [unrolled: 2-line block ×10, first 2 shown]
	s_mov_b32 s33, 8
	s_mov_b32 s44, 32
	;; [unrolled: 1-line block ×3, first 2 shown]
	s_barrier
	s_branch .LBB380_4
.LBB380_3:                              ;   in Loop: Header=BB380_4 Depth=2
	s_andn2_b64 vcc, exec, s[38:39]
	s_cbranch_vccz .LBB380_1
.LBB380_4:                              ;   Parent Loop BB380_2 Depth=1
                                        ; =>  This Inner Loop Header: Depth=2
	s_min_i32 s40, s33, 32
	s_cmp_lt_u32 s45, 32
	s_cselect_b64 s[38:39], -1, 0
	s_cmp_gt_u32 s45, 31
	s_cselect_b64 vcc, -1, 0
	s_sub_i32 s40, s40, 32
	s_add_i32 s41, s40, s44
	s_lshl_b32 s41, -1, s41
	s_not_b32 s41, s41
	s_cmp_lg_u32 s40, s45
	s_cselect_b32 s52, s41, -1
	s_max_i32 s48, s44, 0
	s_max_i32 s40, s45, 32
	s_sub_i32 s53, s40, 32
	s_sub_i32 s40, s40, s48
	s_sub_i32 s40, s40, 24
	s_min_i32 s40, s40, 32
	s_sub_i32 s40, s40, s53
	s_lshl_b32 s41, -1, s40
	v_mov_b32_e32 v22, v2
	s_not_b32 s41, s41
	v_mov_b32_e32 v21, v1
	s_cmp_lg_u32 s40, 32
	s_cselect_b32 s54, s41, -1
	v_lshrrev_b32_e32 v2, s53, v21
	v_lshrrev_b32_e32 v1, s45, v22
	v_and_b32_e32 v2, s54, v2
	v_and_b32_e32 v1, s52, v1
	v_lshlrev_b32_e32 v2, s48, v2
	v_cndmask_b32_e64 v1, 0, v1, s[38:39]
	v_cndmask_b32_e32 v2, 0, v2, vcc
	v_or_b32_e32 v1, v1, v2
	v_mov_b32_e32 v20, v4
	v_and_b32_e32 v2, 1, v1
	v_mov_b32_e32 v19, v3
	v_mov_b32_e32 v18, v6
	v_add_co_u32_e64 v4, s[40:41], -1, v2
	v_mov_b32_e32 v17, v5
	v_addc_co_u32_e64 v5, s[40:41], 0, -1, s[40:41]
	v_cmp_ne_u32_e64 s[40:41], 0, v2
	v_lshlrev_b32_e32 v16, 30, v1
	v_xor_b32_e32 v2, s41, v5
	v_xor_b32_e32 v4, s40, v4
	v_cmp_gt_i64_e64 s[40:41], 0, v[15:16]
	v_not_b32_e32 v5, v16
	v_ashrrev_i32_e32 v5, 31, v5
	v_and_b32_e32 v4, exec_lo, v4
	v_xor_b32_e32 v6, s41, v5
	v_xor_b32_e32 v5, s40, v5
	v_lshlrev_b32_e32 v16, 29, v1
	v_and_b32_e32 v4, v4, v5
	v_cmp_gt_i64_e64 s[40:41], 0, v[15:16]
	v_not_b32_e32 v5, v16
	v_and_b32_e32 v2, exec_hi, v2
	v_ashrrev_i32_e32 v5, 31, v5
	v_and_b32_e32 v2, v2, v6
	v_xor_b32_e32 v6, s41, v5
	v_xor_b32_e32 v5, s40, v5
	v_lshlrev_b32_e32 v16, 28, v1
	v_and_b32_e32 v4, v4, v5
	v_cmp_gt_i64_e64 s[40:41], 0, v[15:16]
	v_not_b32_e32 v5, v16
	v_ashrrev_i32_e32 v5, 31, v5
	v_and_b32_e32 v2, v2, v6
	v_xor_b32_e32 v6, s41, v5
	v_xor_b32_e32 v5, s40, v5
	v_lshlrev_b32_e32 v16, 27, v1
	v_and_b32_e32 v4, v4, v5
	v_cmp_gt_i64_e64 s[40:41], 0, v[15:16]
	v_not_b32_e32 v5, v16
	;; [unrolled: 8-line block ×4, first 2 shown]
	v_ashrrev_i32_e32 v5, 31, v5
	v_lshlrev_b32_e32 v16, 24, v1
	v_lshlrev_b32_e32 v3, 5, v1
	v_and_b32_e32 v2, v2, v6
	v_xor_b32_e32 v6, s41, v5
	v_xor_b32_e32 v5, s40, v5
	v_cmp_gt_i64_e64 s[40:41], 0, v[15:16]
	v_not_b32_e32 v1, v16
	v_ashrrev_i32_e32 v1, 31, v1
	v_and_b32_e32 v4, v4, v5
	v_xor_b32_e32 v5, s41, v1
	v_xor_b32_e32 v1, s40, v1
	v_and_b32_e32 v2, v2, v6
	v_and_b32_e32 v1, v4, v1
	;; [unrolled: 1-line block ×3, first 2 shown]
	v_mbcnt_lo_u32_b32 v4, v1, 0
	v_mbcnt_hi_u32_b32 v5, v2, v4
	v_cmp_ne_u64_e64 s[40:41], 0, v[1:2]
	v_mov_b32_e32 v10, v8
	v_cmp_eq_u32_e64 s[42:43], 0, v5
	v_mov_b32_e32 v9, v7
	s_and_b64 s[42:43], s[42:43], s[40:41]
	v_add_u32_e32 v6, v33, v3
	ds_write2_b64 v27, v[11:12], v[13:14] offset0:4 offset1:5
	s_waitcnt lgkmcnt(0)
	s_barrier
	; wave barrier
	s_and_saveexec_b64 s[40:41], s[42:43]
; %bb.5:                                ;   in Loop: Header=BB380_4 Depth=2
	v_bcnt_u32_b32 v1, v1, 0
	v_bcnt_u32_b32 v1, v2, v1
	ds_write_b32 v6, v1 offset:32
; %bb.6:                                ;   in Loop: Header=BB380_4 Depth=2
	s_or_b64 exec, exec, s[40:41]
	v_lshrrev_b32_e32 v2, s53, v19
	v_lshrrev_b32_e32 v1, s45, v20
	v_and_b32_e32 v2, s54, v2
	v_and_b32_e32 v1, s52, v1
	v_lshlrev_b32_e32 v2, s48, v2
	v_cndmask_b32_e64 v1, 0, v1, s[38:39]
	v_cndmask_b32_e32 v2, 0, v2, vcc
	v_or_b32_e32 v1, v1, v2
	v_lshlrev_b32_e32 v2, 5, v1
	v_add_u32_e32 v8, v33, v2
	v_and_b32_e32 v2, 1, v1
	v_add_co_u32_e64 v3, s[40:41], -1, v2
	v_addc_co_u32_e64 v4, s[40:41], 0, -1, s[40:41]
	v_cmp_ne_u32_e64 s[40:41], 0, v2
	v_lshlrev_b32_e32 v16, 30, v1
	v_xor_b32_e32 v2, s41, v4
	v_xor_b32_e32 v3, s40, v3
	v_cmp_gt_i64_e64 s[40:41], 0, v[15:16]
	v_not_b32_e32 v4, v16
	v_ashrrev_i32_e32 v4, 31, v4
	v_and_b32_e32 v2, exec_hi, v2
	v_xor_b32_e32 v16, s41, v4
	v_and_b32_e32 v3, exec_lo, v3
	v_xor_b32_e32 v4, s40, v4
	v_and_b32_e32 v2, v2, v16
	v_lshlrev_b32_e32 v16, 29, v1
	v_and_b32_e32 v3, v3, v4
	v_cmp_gt_i64_e64 s[40:41], 0, v[15:16]
	v_not_b32_e32 v4, v16
	v_ashrrev_i32_e32 v4, 31, v4
	v_xor_b32_e32 v16, s41, v4
	v_xor_b32_e32 v4, s40, v4
	v_and_b32_e32 v2, v2, v16
	v_lshlrev_b32_e32 v16, 28, v1
	v_and_b32_e32 v3, v3, v4
	v_cmp_gt_i64_e64 s[40:41], 0, v[15:16]
	v_not_b32_e32 v4, v16
	v_ashrrev_i32_e32 v4, 31, v4
	v_xor_b32_e32 v16, s41, v4
	;; [unrolled: 8-line block ×5, first 2 shown]
	v_and_b32_e32 v2, v2, v16
	v_lshlrev_b32_e32 v16, 24, v1
	v_xor_b32_e32 v4, s40, v4
	v_cmp_gt_i64_e64 s[40:41], 0, v[15:16]
	v_not_b32_e32 v1, v16
	v_ashrrev_i32_e32 v1, 31, v1
	v_and_b32_e32 v3, v3, v4
	v_xor_b32_e32 v4, s41, v1
	v_xor_b32_e32 v1, s40, v1
	; wave barrier
	ds_read_b32 v7, v8 offset:32
	v_and_b32_e32 v1, v3, v1
	v_and_b32_e32 v2, v2, v4
	v_mbcnt_lo_u32_b32 v3, v1, 0
	v_mbcnt_hi_u32_b32 v35, v2, v3
	v_cmp_ne_u64_e64 s[40:41], 0, v[1:2]
	v_cmp_eq_u32_e64 s[42:43], 0, v35
	s_and_b64 s[42:43], s[42:43], s[40:41]
	; wave barrier
	s_and_saveexec_b64 s[40:41], s[42:43]
	s_cbranch_execz .LBB380_8
; %bb.7:                                ;   in Loop: Header=BB380_4 Depth=2
	v_bcnt_u32_b32 v1, v1, 0
	v_bcnt_u32_b32 v1, v2, v1
	s_waitcnt lgkmcnt(0)
	v_add_u32_e32 v1, v7, v1
	ds_write_b32 v8, v1 offset:32
.LBB380_8:                              ;   in Loop: Header=BB380_4 Depth=2
	s_or_b64 exec, exec, s[40:41]
	v_lshrrev_b32_e32 v2, s53, v17
	v_lshrrev_b32_e32 v1, s45, v18
	v_and_b32_e32 v2, s54, v2
	v_and_b32_e32 v1, s52, v1
	v_lshlrev_b32_e32 v2, s48, v2
	v_cndmask_b32_e64 v1, 0, v1, s[38:39]
	v_cndmask_b32_e32 v2, 0, v2, vcc
	v_or_b32_e32 v1, v1, v2
	v_lshlrev_b32_e32 v2, 5, v1
	v_add_u32_e32 v37, v33, v2
	v_and_b32_e32 v2, 1, v1
	v_add_co_u32_e64 v3, s[40:41], -1, v2
	v_addc_co_u32_e64 v4, s[40:41], 0, -1, s[40:41]
	v_cmp_ne_u32_e64 s[40:41], 0, v2
	v_lshlrev_b32_e32 v16, 30, v1
	v_xor_b32_e32 v2, s41, v4
	v_xor_b32_e32 v3, s40, v3
	v_cmp_gt_i64_e64 s[40:41], 0, v[15:16]
	v_not_b32_e32 v4, v16
	v_ashrrev_i32_e32 v4, 31, v4
	v_and_b32_e32 v2, exec_hi, v2
	v_xor_b32_e32 v16, s41, v4
	v_and_b32_e32 v3, exec_lo, v3
	v_xor_b32_e32 v4, s40, v4
	v_and_b32_e32 v2, v2, v16
	v_lshlrev_b32_e32 v16, 29, v1
	v_and_b32_e32 v3, v3, v4
	v_cmp_gt_i64_e64 s[40:41], 0, v[15:16]
	v_not_b32_e32 v4, v16
	v_ashrrev_i32_e32 v4, 31, v4
	v_xor_b32_e32 v16, s41, v4
	v_xor_b32_e32 v4, s40, v4
	v_and_b32_e32 v2, v2, v16
	v_lshlrev_b32_e32 v16, 28, v1
	v_and_b32_e32 v3, v3, v4
	v_cmp_gt_i64_e64 s[40:41], 0, v[15:16]
	v_not_b32_e32 v4, v16
	v_ashrrev_i32_e32 v4, 31, v4
	v_xor_b32_e32 v16, s41, v4
	;; [unrolled: 8-line block ×5, first 2 shown]
	v_and_b32_e32 v2, v2, v16
	v_lshlrev_b32_e32 v16, 24, v1
	v_xor_b32_e32 v4, s40, v4
	v_cmp_gt_i64_e64 s[40:41], 0, v[15:16]
	v_not_b32_e32 v1, v16
	v_ashrrev_i32_e32 v1, 31, v1
	v_and_b32_e32 v3, v3, v4
	v_xor_b32_e32 v4, s41, v1
	v_xor_b32_e32 v1, s40, v1
	; wave barrier
	ds_read_b32 v36, v37 offset:32
	v_and_b32_e32 v1, v3, v1
	v_and_b32_e32 v2, v2, v4
	v_mbcnt_lo_u32_b32 v3, v1, 0
	v_mbcnt_hi_u32_b32 v38, v2, v3
	v_cmp_ne_u64_e64 s[40:41], 0, v[1:2]
	v_cmp_eq_u32_e64 s[42:43], 0, v38
	s_and_b64 s[42:43], s[42:43], s[40:41]
	; wave barrier
	s_and_saveexec_b64 s[40:41], s[42:43]
	s_cbranch_execz .LBB380_10
; %bb.9:                                ;   in Loop: Header=BB380_4 Depth=2
	v_bcnt_u32_b32 v1, v1, 0
	v_bcnt_u32_b32 v1, v2, v1
	s_waitcnt lgkmcnt(0)
	v_add_u32_e32 v1, v36, v1
	ds_write_b32 v37, v1 offset:32
.LBB380_10:                             ;   in Loop: Header=BB380_4 Depth=2
	s_or_b64 exec, exec, s[40:41]
	v_lshrrev_b32_e32 v2, s53, v9
	v_lshrrev_b32_e32 v1, s45, v10
	v_and_b32_e32 v2, s54, v2
	v_and_b32_e32 v1, s52, v1
	v_lshlrev_b32_e32 v2, s48, v2
	v_cndmask_b32_e64 v1, 0, v1, s[38:39]
	v_cndmask_b32_e32 v2, 0, v2, vcc
	v_or_b32_e32 v1, v1, v2
	v_lshlrev_b32_e32 v2, 5, v1
	v_add_u32_e32 v40, v33, v2
	v_and_b32_e32 v2, 1, v1
	v_add_co_u32_e32 v3, vcc, -1, v2
	v_addc_co_u32_e64 v4, s[38:39], 0, -1, vcc
	v_cmp_ne_u32_e32 vcc, 0, v2
	v_lshlrev_b32_e32 v16, 30, v1
	v_xor_b32_e32 v2, vcc_hi, v4
	v_xor_b32_e32 v3, vcc_lo, v3
	v_cmp_gt_i64_e32 vcc, 0, v[15:16]
	v_not_b32_e32 v4, v16
	v_ashrrev_i32_e32 v4, 31, v4
	v_and_b32_e32 v2, exec_hi, v2
	v_xor_b32_e32 v16, vcc_hi, v4
	v_and_b32_e32 v3, exec_lo, v3
	v_xor_b32_e32 v4, vcc_lo, v4
	v_and_b32_e32 v2, v2, v16
	v_lshlrev_b32_e32 v16, 29, v1
	v_and_b32_e32 v3, v3, v4
	v_cmp_gt_i64_e32 vcc, 0, v[15:16]
	v_not_b32_e32 v4, v16
	v_ashrrev_i32_e32 v4, 31, v4
	v_xor_b32_e32 v16, vcc_hi, v4
	v_xor_b32_e32 v4, vcc_lo, v4
	v_and_b32_e32 v2, v2, v16
	v_lshlrev_b32_e32 v16, 28, v1
	v_and_b32_e32 v3, v3, v4
	v_cmp_gt_i64_e32 vcc, 0, v[15:16]
	v_not_b32_e32 v4, v16
	v_ashrrev_i32_e32 v4, 31, v4
	v_xor_b32_e32 v16, vcc_hi, v4
	v_xor_b32_e32 v4, vcc_lo, v4
	v_and_b32_e32 v2, v2, v16
	v_lshlrev_b32_e32 v16, 27, v1
	v_and_b32_e32 v3, v3, v4
	v_cmp_gt_i64_e32 vcc, 0, v[15:16]
	v_not_b32_e32 v4, v16
	v_ashrrev_i32_e32 v4, 31, v4
	v_xor_b32_e32 v16, vcc_hi, v4
	v_xor_b32_e32 v4, vcc_lo, v4
	v_and_b32_e32 v2, v2, v16
	v_lshlrev_b32_e32 v16, 26, v1
	v_and_b32_e32 v3, v3, v4
	v_cmp_gt_i64_e32 vcc, 0, v[15:16]
	v_not_b32_e32 v4, v16
	v_ashrrev_i32_e32 v4, 31, v4
	v_xor_b32_e32 v16, vcc_hi, v4
	v_xor_b32_e32 v4, vcc_lo, v4
	v_and_b32_e32 v2, v2, v16
	v_lshlrev_b32_e32 v16, 25, v1
	v_and_b32_e32 v3, v3, v4
	v_cmp_gt_i64_e32 vcc, 0, v[15:16]
	v_not_b32_e32 v4, v16
	v_ashrrev_i32_e32 v4, 31, v4
	v_xor_b32_e32 v16, vcc_hi, v4
	v_and_b32_e32 v2, v2, v16
	v_lshlrev_b32_e32 v16, 24, v1
	v_xor_b32_e32 v4, vcc_lo, v4
	v_cmp_gt_i64_e32 vcc, 0, v[15:16]
	v_not_b32_e32 v1, v16
	v_ashrrev_i32_e32 v1, 31, v1
	v_and_b32_e32 v3, v3, v4
	v_xor_b32_e32 v4, vcc_hi, v1
	v_xor_b32_e32 v1, vcc_lo, v1
	; wave barrier
	ds_read_b32 v39, v40 offset:32
	v_and_b32_e32 v1, v3, v1
	v_and_b32_e32 v2, v2, v4
	v_mbcnt_lo_u32_b32 v3, v1, 0
	v_mbcnt_hi_u32_b32 v16, v2, v3
	v_cmp_ne_u64_e32 vcc, 0, v[1:2]
	v_cmp_eq_u32_e64 s[38:39], 0, v16
	s_and_b64 s[40:41], s[38:39], vcc
	; wave barrier
	s_and_saveexec_b64 s[38:39], s[40:41]
	s_cbranch_execz .LBB380_12
; %bb.11:                               ;   in Loop: Header=BB380_4 Depth=2
	v_bcnt_u32_b32 v1, v1, 0
	v_bcnt_u32_b32 v1, v2, v1
	s_waitcnt lgkmcnt(0)
	v_add_u32_e32 v1, v39, v1
	ds_write_b32 v40, v1 offset:32
.LBB380_12:                             ;   in Loop: Header=BB380_4 Depth=2
	s_or_b64 exec, exec, s[38:39]
	; wave barrier
	s_waitcnt lgkmcnt(0)
	s_barrier
	ds_read2_b64 v[1:4], v27 offset0:4 offset1:5
	s_waitcnt lgkmcnt(0)
	v_add_u32_e32 v41, v2, v1
	v_add3_u32 v4, v41, v3, v4
	s_nop 1
	v_mov_b32_dpp v41, v4 row_shr:1 row_mask:0xf bank_mask:0xf
	v_cndmask_b32_e64 v41, v41, 0, s[8:9]
	v_add_u32_e32 v4, v41, v4
	s_nop 1
	v_mov_b32_dpp v41, v4 row_shr:2 row_mask:0xf bank_mask:0xf
	v_cndmask_b32_e64 v41, 0, v41, s[10:11]
	v_add_u32_e32 v4, v4, v41
	;; [unrolled: 4-line block ×4, first 2 shown]
	s_nop 1
	v_mov_b32_dpp v41, v4 row_bcast:15 row_mask:0xf bank_mask:0xf
	v_cndmask_b32_e64 v41, v41, 0, s[16:17]
	v_add_u32_e32 v4, v4, v41
	s_nop 1
	v_mov_b32_dpp v41, v4 row_bcast:31 row_mask:0xf bank_mask:0xf
	v_cndmask_b32_e64 v41, 0, v41, s[18:19]
	v_add_u32_e32 v4, v4, v41
	s_and_saveexec_b64 s[38:39], s[20:21]
; %bb.13:                               ;   in Loop: Header=BB380_4 Depth=2
	ds_write_b32 v29, v4
; %bb.14:                               ;   in Loop: Header=BB380_4 Depth=2
	s_or_b64 exec, exec, s[38:39]
	s_waitcnt lgkmcnt(0)
	s_barrier
	s_and_saveexec_b64 s[38:39], s[22:23]
	s_cbranch_execz .LBB380_16
; %bb.15:                               ;   in Loop: Header=BB380_4 Depth=2
	ds_read_b32 v41, v30
	s_waitcnt lgkmcnt(0)
	s_nop 0
	v_mov_b32_dpp v42, v41 row_shr:1 row_mask:0xf bank_mask:0xf
	v_cndmask_b32_e64 v42, v42, 0, s[30:31]
	v_add_u32_e32 v41, v42, v41
	s_nop 1
	v_mov_b32_dpp v42, v41 row_shr:2 row_mask:0xf bank_mask:0xf
	v_cndmask_b32_e64 v42, 0, v42, s[34:35]
	v_add_u32_e32 v41, v41, v42
	;; [unrolled: 4-line block ×3, first 2 shown]
	ds_write_b32 v30, v41
.LBB380_16:                             ;   in Loop: Header=BB380_4 Depth=2
	s_or_b64 exec, exec, s[38:39]
	v_mov_b32_e32 v41, 0
	s_waitcnt lgkmcnt(0)
	s_barrier
	s_and_saveexec_b64 s[38:39], s[24:25]
; %bb.17:                               ;   in Loop: Header=BB380_4 Depth=2
	ds_read_b32 v41, v31
; %bb.18:                               ;   in Loop: Header=BB380_4 Depth=2
	s_or_b64 exec, exec, s[38:39]
	s_waitcnt lgkmcnt(0)
	v_add_u32_e32 v4, v41, v4
	ds_bpermute_b32 v4, v28, v4
	v_lshlrev_b32_e32 v5, 3, v5
	s_cmp_gt_u32 s45, 55
	s_mov_b64 s[38:39], -1
	s_waitcnt lgkmcnt(0)
	v_cndmask_b32_e64 v4, v4, v41, s[26:27]
	v_cndmask_b32_e64 v41, v4, 0, s[28:29]
	v_add_u32_e32 v42, v41, v1
	v_add_u32_e32 v1, v42, v2
	v_add_u32_e32 v2, v1, v3
	ds_write2_b64 v27, v[41:42], v[1:2] offset0:4 offset1:5
	s_waitcnt lgkmcnt(0)
	s_barrier
	ds_read_b32 v1, v6 offset:32
	ds_read_b32 v2, v8 offset:32
	;; [unrolled: 1-line block ×4, first 2 shown]
	s_waitcnt lgkmcnt(0)
	v_lshl_add_u32 v37, v1, 3, v5
	v_lshlrev_b32_e32 v1, 3, v35
	v_lshlrev_b32_e32 v5, 3, v7
	v_lshlrev_b32_e32 v2, 3, v2
	v_add3_u32 v35, v1, v5, v2
	v_lshlrev_b32_e32 v1, 3, v38
	v_lshlrev_b32_e32 v2, 3, v36
	v_lshlrev_b32_e32 v3, 3, v3
	v_add3_u32 v36, v1, v2, v3
	;; [unrolled: 4-line block ×3, first 2 shown]
                                        ; implicit-def: $vgpr1_vgpr2
                                        ; implicit-def: $vgpr5_vgpr6
	s_cbranch_scc1 .LBB380_3
; %bb.19:                               ;   in Loop: Header=BB380_4 Depth=2
	s_barrier
	ds_write_b64 v37, v[21:22]
	ds_write_b64 v35, v[19:20]
	;; [unrolled: 1-line block ×4, first 2 shown]
	s_waitcnt lgkmcnt(0)
	s_barrier
	ds_read2st64_b64 v[1:4], v32 offset1:1
	ds_read2st64_b64 v[5:8], v32 offset0:2 offset1:3
	s_add_i32 s44, s44, -8
	s_add_i32 s33, s33, 8
	s_add_i32 s45, s45, 8
	s_mov_b64 s[38:39], 0
	s_waitcnt lgkmcnt(0)
	s_barrier
	s_branch .LBB380_3
.LBB380_20:
	s_add_u32 s0, s46, s50
	s_addc_u32 s1, s47, s51
	v_lshlrev_b32_e32 v0, 3, v0
	v_mov_b32_e32 v1, s1
	v_add_co_u32_e32 v2, vcc, s0, v0
	v_addc_co_u32_e32 v11, vcc, 0, v1, vcc
	global_store_dwordx2 v0, v[7:8], s[0:1]
	v_add_co_u32_e32 v0, vcc, 0x1000, v2
	v_addc_co_u32_e32 v1, vcc, 0, v11, vcc
	global_store_dwordx2 v[0:1], v[9:10], off
	v_add_co_u32_e32 v0, vcc, 0x2000, v2
	v_addc_co_u32_e32 v1, vcc, 0, v11, vcc
	global_store_dwordx2 v[0:1], v[3:4], off
	;; [unrolled: 3-line block ×3, first 2 shown]
	s_endpgm
	.section	.rodata,"a",@progbits
	.p2align	6, 0x0
	.amdhsa_kernel _Z16sort_keys_kernelI22helper_blocked_stripedN15benchmark_utils11custom_typeIiiEELj512ELj4ELj10EEvPKT0_PS4_
		.amdhsa_group_segment_fixed_size 16384
		.amdhsa_private_segment_fixed_size 0
		.amdhsa_kernarg_size 272
		.amdhsa_user_sgpr_count 6
		.amdhsa_user_sgpr_private_segment_buffer 1
		.amdhsa_user_sgpr_dispatch_ptr 0
		.amdhsa_user_sgpr_queue_ptr 0
		.amdhsa_user_sgpr_kernarg_segment_ptr 1
		.amdhsa_user_sgpr_dispatch_id 0
		.amdhsa_user_sgpr_flat_scratch_init 0
		.amdhsa_user_sgpr_private_segment_size 0
		.amdhsa_uses_dynamic_stack 0
		.amdhsa_system_sgpr_private_segment_wavefront_offset 0
		.amdhsa_system_sgpr_workgroup_id_x 1
		.amdhsa_system_sgpr_workgroup_id_y 0
		.amdhsa_system_sgpr_workgroup_id_z 0
		.amdhsa_system_sgpr_workgroup_info 0
		.amdhsa_system_vgpr_workitem_id 2
		.amdhsa_next_free_vgpr 43
		.amdhsa_next_free_sgpr 61
		.amdhsa_reserve_vcc 1
		.amdhsa_reserve_flat_scratch 0
		.amdhsa_float_round_mode_32 0
		.amdhsa_float_round_mode_16_64 0
		.amdhsa_float_denorm_mode_32 3
		.amdhsa_float_denorm_mode_16_64 3
		.amdhsa_dx10_clamp 1
		.amdhsa_ieee_mode 1
		.amdhsa_fp16_overflow 0
		.amdhsa_exception_fp_ieee_invalid_op 0
		.amdhsa_exception_fp_denorm_src 0
		.amdhsa_exception_fp_ieee_div_zero 0
		.amdhsa_exception_fp_ieee_overflow 0
		.amdhsa_exception_fp_ieee_underflow 0
		.amdhsa_exception_fp_ieee_inexact 0
		.amdhsa_exception_int_div_zero 0
	.end_amdhsa_kernel
	.section	.text._Z16sort_keys_kernelI22helper_blocked_stripedN15benchmark_utils11custom_typeIiiEELj512ELj4ELj10EEvPKT0_PS4_,"axG",@progbits,_Z16sort_keys_kernelI22helper_blocked_stripedN15benchmark_utils11custom_typeIiiEELj512ELj4ELj10EEvPKT0_PS4_,comdat
.Lfunc_end380:
	.size	_Z16sort_keys_kernelI22helper_blocked_stripedN15benchmark_utils11custom_typeIiiEELj512ELj4ELj10EEvPKT0_PS4_, .Lfunc_end380-_Z16sort_keys_kernelI22helper_blocked_stripedN15benchmark_utils11custom_typeIiiEELj512ELj4ELj10EEvPKT0_PS4_
                                        ; -- End function
	.set _Z16sort_keys_kernelI22helper_blocked_stripedN15benchmark_utils11custom_typeIiiEELj512ELj4ELj10EEvPKT0_PS4_.num_vgpr, 43
	.set _Z16sort_keys_kernelI22helper_blocked_stripedN15benchmark_utils11custom_typeIiiEELj512ELj4ELj10EEvPKT0_PS4_.num_agpr, 0
	.set _Z16sort_keys_kernelI22helper_blocked_stripedN15benchmark_utils11custom_typeIiiEELj512ELj4ELj10EEvPKT0_PS4_.numbered_sgpr, 55
	.set _Z16sort_keys_kernelI22helper_blocked_stripedN15benchmark_utils11custom_typeIiiEELj512ELj4ELj10EEvPKT0_PS4_.num_named_barrier, 0
	.set _Z16sort_keys_kernelI22helper_blocked_stripedN15benchmark_utils11custom_typeIiiEELj512ELj4ELj10EEvPKT0_PS4_.private_seg_size, 0
	.set _Z16sort_keys_kernelI22helper_blocked_stripedN15benchmark_utils11custom_typeIiiEELj512ELj4ELj10EEvPKT0_PS4_.uses_vcc, 1
	.set _Z16sort_keys_kernelI22helper_blocked_stripedN15benchmark_utils11custom_typeIiiEELj512ELj4ELj10EEvPKT0_PS4_.uses_flat_scratch, 0
	.set _Z16sort_keys_kernelI22helper_blocked_stripedN15benchmark_utils11custom_typeIiiEELj512ELj4ELj10EEvPKT0_PS4_.has_dyn_sized_stack, 0
	.set _Z16sort_keys_kernelI22helper_blocked_stripedN15benchmark_utils11custom_typeIiiEELj512ELj4ELj10EEvPKT0_PS4_.has_recursion, 0
	.set _Z16sort_keys_kernelI22helper_blocked_stripedN15benchmark_utils11custom_typeIiiEELj512ELj4ELj10EEvPKT0_PS4_.has_indirect_call, 0
	.section	.AMDGPU.csdata,"",@progbits
; Kernel info:
; codeLenInByte = 3788
; TotalNumSgprs: 59
; NumVgprs: 43
; ScratchSize: 0
; MemoryBound: 0
; FloatMode: 240
; IeeeMode: 1
; LDSByteSize: 16384 bytes/workgroup (compile time only)
; SGPRBlocks: 8
; VGPRBlocks: 10
; NumSGPRsForWavesPerEU: 65
; NumVGPRsForWavesPerEU: 43
; Occupancy: 5
; WaveLimiterHint : 1
; COMPUTE_PGM_RSRC2:SCRATCH_EN: 0
; COMPUTE_PGM_RSRC2:USER_SGPR: 6
; COMPUTE_PGM_RSRC2:TRAP_HANDLER: 0
; COMPUTE_PGM_RSRC2:TGID_X_EN: 1
; COMPUTE_PGM_RSRC2:TGID_Y_EN: 0
; COMPUTE_PGM_RSRC2:TGID_Z_EN: 0
; COMPUTE_PGM_RSRC2:TIDIG_COMP_CNT: 2
	.section	.text._Z17sort_pairs_kernelI22helper_blocked_stripedN15benchmark_utils11custom_typeIiiEELj512ELj4ELj10EEvPKT0_PS4_,"axG",@progbits,_Z17sort_pairs_kernelI22helper_blocked_stripedN15benchmark_utils11custom_typeIiiEELj512ELj4ELj10EEvPKT0_PS4_,comdat
	.protected	_Z17sort_pairs_kernelI22helper_blocked_stripedN15benchmark_utils11custom_typeIiiEELj512ELj4ELj10EEvPKT0_PS4_ ; -- Begin function _Z17sort_pairs_kernelI22helper_blocked_stripedN15benchmark_utils11custom_typeIiiEELj512ELj4ELj10EEvPKT0_PS4_
	.globl	_Z17sort_pairs_kernelI22helper_blocked_stripedN15benchmark_utils11custom_typeIiiEELj512ELj4ELj10EEvPKT0_PS4_
	.p2align	8
	.type	_Z17sort_pairs_kernelI22helper_blocked_stripedN15benchmark_utils11custom_typeIiiEELj512ELj4ELj10EEvPKT0_PS4_,@function
_Z17sort_pairs_kernelI22helper_blocked_stripedN15benchmark_utils11custom_typeIiiEELj512ELj4ELj10EEvPKT0_PS4_: ; @_Z17sort_pairs_kernelI22helper_blocked_stripedN15benchmark_utils11custom_typeIiiEELj512ELj4ELj10EEvPKT0_PS4_
; %bb.0:
	s_load_dwordx4 s[44:47], s[4:5], 0x0
	s_load_dword s33, s[4:5], 0x1c
	s_lshl_b32 s50, s6, 11
	s_mov_b32 s51, 0
	s_lshl_b64 s[48:49], s[50:51], 3
	s_waitcnt lgkmcnt(0)
	s_add_u32 s0, s44, s48
	s_addc_u32 s1, s45, s49
	v_lshlrev_b32_e32 v3, 5, v0
	global_load_dwordx4 v[17:20], v3, s[0:1]
	global_load_dwordx4 v[13:16], v3, s[0:1] offset:16
	s_lshr_b32 s38, s33, 16
	s_and_b32 s33, s33, 0xffff
	v_mad_u32_u24 v1, v2, s38, v1
	v_mbcnt_lo_u32_b32 v4, -1, 0
	v_mad_u64_u32 v[1:2], s[38:39], v1, s33, v[0:1]
	v_mbcnt_hi_u32_b32 v4, -1, v4
	v_or_b32_e32 v6, 63, v0
	v_lshrrev_b32_e32 v8, 2, v4
	v_and_b32_e32 v10, 64, v4
	v_cmp_eq_u32_e64 s[8:9], v0, v6
	v_subrev_co_u32_e64 v6, s[10:11], 1, v4
	v_lshlrev_b32_e32 v39, 4, v0
	v_lshrrev_b32_e32 v7, 4, v0
	s_mov_b32 s13, s51
	v_and_b32_e32 v3, 0x3800, v3
	s_mov_b32 s50, s51
	v_or_b32_e32 v25, v8, v10
	v_add_u32_e32 v8, 48, v8
	v_cmp_lt_i32_e32 vcc, v6, v10
	v_lshlrev_b32_e32 v5, 2, v0
	s_mov_b32 s12, s51
	v_and_b32_e32 v9, 3, v4
	v_and_b32_e32 v11, 15, v4
	;; [unrolled: 1-line block ×4, first 2 shown]
	v_mad_i32_i24 v41, v0, -12, v39
	v_and_b32_e32 v7, 7, v4
	v_mov_b32_e32 v22, s13
	v_cndmask_b32_e32 v6, v6, v4, vcc
	v_lshl_or_b32 v43, v4, 3, v3
	v_mov_b32_e32 v23, s50
	v_lshlrev_b32_e32 v45, 2, v25
	v_and_or_b32 v3, v8, 63, v10
	v_lshrrev_b32_e32 v1, 4, v1
	v_cmp_gt_u32_e64 s[0:1], 8, v0
	v_cmp_lt_u32_e64 s[2:3], 63, v0
	v_cmp_eq_u32_e64 s[4:5], 0, v0
	v_cmp_lt_u32_e64 s[6:7], 31, v4
	v_mov_b32_e32 v21, s12
	v_cmp_eq_u32_e64 s[12:13], 0, v9
	v_cmp_eq_u32_e64 s[14:15], 1, v9
	;; [unrolled: 1-line block ×5, first 2 shown]
	v_cmp_lt_u32_e64 s[22:23], 1, v11
	v_cmp_lt_u32_e64 s[24:25], 3, v11
	;; [unrolled: 1-line block ×3, first 2 shown]
	v_cmp_eq_u32_e64 s[28:29], 0, v12
	v_cmp_eq_u32_e64 s[30:31], 0, v7
	v_cmp_lt_u32_e64 s[34:35], 1, v7
	v_cmp_lt_u32_e64 s[36:37], 3, v7
	v_add_u32_e32 v42, -4, v40
	v_add_u32_e32 v44, v41, v5
	v_mov_b32_e32 v24, s51
	v_lshlrev_b32_e32 v46, 2, v6
	v_lshlrev_b32_e32 v47, 2, v3
	v_add_u32_e32 v48, 64, v45
	v_or_b32_e32 v49, 0x80, v45
	v_and_b32_e32 v50, 0xffffffc, v1
	v_mov_b32_e32 v25, 0
	s_waitcnt vmcnt(1)
	v_add_u32_e32 v10, 1, v18
	v_add_u32_e32 v9, 1, v17
	;; [unrolled: 1-line block ×4, first 2 shown]
	s_waitcnt vmcnt(0)
	v_add_u32_e32 v6, 1, v14
	v_add_u32_e32 v5, 1, v13
	;; [unrolled: 1-line block ×4, first 2 shown]
	s_branch .LBB381_2
.LBB381_1:                              ;   in Loop: Header=BB381_2 Depth=1
	s_barrier
	ds_write_b64 v26, v[37:38]
	ds_write_b64 v51, v[35:36]
	;; [unrolled: 1-line block ×4, first 2 shown]
	s_waitcnt lgkmcnt(0)
	s_barrier
	ds_read2st64_b64 v[1:4], v44 offset1:8
	ds_read2st64_b64 v[13:16], v44 offset0:16 offset1:24
	s_waitcnt lgkmcnt(0)
	s_barrier
	ds_write_b64 v26, v[29:30]
	ds_write_b64 v51, v[27:28]
	;; [unrolled: 1-line block ×4, first 2 shown]
	s_waitcnt lgkmcnt(0)
	s_barrier
	ds_read2st64_b64 v[9:12], v44 offset1:8
	ds_read2st64_b64 v[5:8], v44 offset0:16 offset1:24
	s_add_i32 s51, s51, 1
	v_xor_b32_e32 v17, 0x80000000, v1
	v_xor_b32_e32 v18, 0x80000000, v2
	;; [unrolled: 1-line block ×7, first 2 shown]
	s_cmp_lg_u32 s51, 10
	v_xor_b32_e32 v16, 0x80000000, v16
	s_cbranch_scc0 .LBB381_20
.LBB381_2:                              ; =>This Loop Header: Depth=1
                                        ;     Child Loop BB381_4 Depth 2
	v_xor_b32_e32 v18, 0x80000000, v18
	v_xor_b32_e32 v17, 0x80000000, v17
	;; [unrolled: 1-line block ×3, first 2 shown]
	ds_bpermute_b32 v1, v45, v18
	v_xor_b32_e32 v19, 0x80000000, v19
	v_xor_b32_e32 v27, 0x80000000, v14
	ds_bpermute_b32 v2, v45, v17
	ds_bpermute_b32 v3, v45, v20
	v_xor_b32_e32 v26, 0x80000000, v13
	ds_bpermute_b32 v4, v45, v19
	ds_bpermute_b32 v13, v45, v27
	s_waitcnt lgkmcnt(4)
	v_cndmask_b32_e64 v1, 0, v1, s[12:13]
	v_xor_b32_e32 v15, 0x80000000, v15
	v_xor_b32_e32 v16, 0x80000000, v16
	s_waitcnt lgkmcnt(3)
	v_cndmask_b32_e64 v2, 0, v2, s[12:13]
	s_waitcnt lgkmcnt(2)
	v_cndmask_b32_e64 v1, v1, v3, s[14:15]
	ds_bpermute_b32 v3, v45, v26
	s_waitcnt lgkmcnt(2)
	v_cndmask_b32_e64 v2, v2, v4, s[14:15]
	s_waitcnt lgkmcnt(1)
	v_cndmask_b32_e64 v1, v1, v13, s[16:17]
	ds_bpermute_b32 v4, v45, v16
	ds_bpermute_b32 v13, v45, v15
	;; [unrolled: 1-line block ×3, first 2 shown]
	s_waitcnt lgkmcnt(3)
	v_cndmask_b32_e64 v3, v2, v3, s[16:17]
	ds_bpermute_b32 v28, v48, v17
	s_waitcnt lgkmcnt(3)
	v_cndmask_b32_e64 v2, v1, v4, s[18:19]
	s_waitcnt lgkmcnt(2)
	v_cndmask_b32_e64 v1, v3, v13, s[18:19]
	ds_bpermute_b32 v3, v48, v20
	s_waitcnt lgkmcnt(2)
	v_cndmask_b32_e64 v4, 0, v14, s[12:13]
	ds_bpermute_b32 v14, v48, v19
	;; [unrolled: 3-line block ×4, first 2 shown]
	ds_bpermute_b32 v29, v48, v16
	s_waitcnt lgkmcnt(3)
	v_cndmask_b32_e64 v13, v13, v14, s[14:15]
	ds_bpermute_b32 v14, v48, v15
	s_waitcnt lgkmcnt(3)
	v_cndmask_b32_e64 v3, v3, v28, s[16:17]
	s_waitcnt lgkmcnt(2)
	v_cndmask_b32_e64 v13, v13, v4, s[16:17]
	;; [unrolled: 2-line block ×3, first 2 shown]
	ds_bpermute_b32 v28, v49, v18
	ds_bpermute_b32 v29, v49, v17
	s_waitcnt lgkmcnt(2)
	v_cndmask_b32_e64 v3, v13, v14, s[18:19]
	ds_bpermute_b32 v13, v49, v20
	ds_bpermute_b32 v14, v49, v19
	ds_bpermute_b32 v17, v47, v17
	ds_bpermute_b32 v30, v49, v27
	ds_bpermute_b32 v19, v47, v19
	ds_bpermute_b32 v18, v47, v18
	ds_bpermute_b32 v20, v47, v20
	s_waitcnt lgkmcnt(8)
	v_cndmask_b32_e64 v28, 0, v28, s[12:13]
	s_waitcnt lgkmcnt(7)
	v_cndmask_b32_e64 v29, 0, v29, s[12:13]
	ds_bpermute_b32 v27, v47, v27
	s_waitcnt lgkmcnt(7)
	v_cndmask_b32_e64 v13, v28, v13, s[14:15]
	s_waitcnt lgkmcnt(6)
	v_cndmask_b32_e64 v14, v29, v14, s[14:15]
	ds_bpermute_b32 v28, v49, v26
	ds_bpermute_b32 v29, v49, v16
	s_waitcnt lgkmcnt(7)
	v_cndmask_b32_e64 v17, 0, v17, s[12:13]
	ds_bpermute_b32 v26, v47, v26
	ds_bpermute_b32 v16, v47, v16
	s_waitcnt lgkmcnt(8)
	v_cndmask_b32_e64 v13, v13, v30, s[16:17]
	ds_bpermute_b32 v30, v49, v15
	s_waitcnt lgkmcnt(8)
	v_cndmask_b32_e64 v17, v17, v19, s[14:15]
	ds_bpermute_b32 v15, v47, v15
	ds_bpermute_b32 v19, v45, v10
	s_waitcnt lgkmcnt(9)
	v_cndmask_b32_e64 v18, 0, v18, s[12:13]
	s_waitcnt lgkmcnt(8)
	v_cndmask_b32_e64 v18, v18, v20, s[14:15]
	;; [unrolled: 2-line block ×5, first 2 shown]
	ds_bpermute_b32 v18, v45, v9
	ds_bpermute_b32 v20, v45, v12
	s_waitcnt lgkmcnt(3)
	v_cndmask_b32_e64 v15, v17, v15, s[18:19]
	s_waitcnt lgkmcnt(2)
	v_cndmask_b32_e64 v17, 0, v19, s[12:13]
	ds_bpermute_b32 v19, v45, v11
	s_waitcnt lgkmcnt(2)
	v_cndmask_b32_e64 v18, 0, v18, s[12:13]
	s_waitcnt lgkmcnt(1)
	v_cndmask_b32_e64 v17, v17, v20, s[14:15]
	ds_bpermute_b32 v20, v45, v6
	ds_bpermute_b32 v26, v45, v5
	s_waitcnt lgkmcnt(2)
	v_cndmask_b32_e64 v18, v18, v19, s[14:15]
	ds_bpermute_b32 v19, v45, v8
	ds_bpermute_b32 v27, v45, v7
	s_waitcnt lgkmcnt(3)
	v_cndmask_b32_e64 v17, v17, v20, s[16:17]
	s_waitcnt lgkmcnt(2)
	v_cndmask_b32_e64 v20, v18, v26, s[16:17]
	ds_bpermute_b32 v26, v48, v10
	s_waitcnt lgkmcnt(2)
	v_cndmask_b32_e64 v18, v17, v19, s[18:19]
	s_waitcnt lgkmcnt(1)
	v_cndmask_b32_e64 v17, v20, v27, s[18:19]
	ds_bpermute_b32 v19, v48, v9
	ds_bpermute_b32 v20, v48, v12
	;; [unrolled: 1-line block ×3, first 2 shown]
	v_cndmask_b32_e64 v28, v14, v28, s[16:17]
	s_waitcnt lgkmcnt(3)
	v_cndmask_b32_e64 v26, 0, v26, s[12:13]
	v_cndmask_b32_e64 v14, v13, v29, s[18:19]
	v_cndmask_b32_e64 v13, v28, v30, s[18:19]
	ds_bpermute_b32 v28, v48, v6
	s_waitcnt lgkmcnt(3)
	v_cndmask_b32_e64 v19, 0, v19, s[12:13]
	s_waitcnt lgkmcnt(2)
	v_cndmask_b32_e64 v20, v26, v20, s[14:15]
	ds_bpermute_b32 v26, v48, v5
	s_waitcnt lgkmcnt(2)
	v_cndmask_b32_e64 v19, v19, v27, s[14:15]
	ds_bpermute_b32 v27, v48, v8
	s_waitcnt lgkmcnt(2)
	v_cndmask_b32_e64 v20, v20, v28, s[16:17]
	ds_bpermute_b32 v28, v48, v7
	s_waitcnt lgkmcnt(2)
	v_cndmask_b32_e64 v19, v19, v26, s[16:17]
	ds_bpermute_b32 v26, v49, v10
	ds_bpermute_b32 v29, v49, v9
	s_waitcnt lgkmcnt(3)
	v_cndmask_b32_e64 v20, v20, v27, s[18:19]
	ds_bpermute_b32 v27, v49, v12
	s_waitcnt lgkmcnt(3)
	v_cndmask_b32_e64 v19, v19, v28, s[18:19]
	s_waitcnt lgkmcnt(2)
	v_cndmask_b32_e64 v26, 0, v26, s[12:13]
	;; [unrolled: 2-line block ×3, first 2 shown]
	ds_bpermute_b32 v29, v49, v11
	ds_bpermute_b32 v30, v49, v6
	s_waitcnt lgkmcnt(2)
	v_cndmask_b32_e64 v26, v26, v27, s[14:15]
	ds_bpermute_b32 v27, v49, v5
	ds_bpermute_b32 v31, v49, v8
	s_waitcnt lgkmcnt(3)
	v_cndmask_b32_e64 v28, v28, v29, s[14:15]
	s_waitcnt lgkmcnt(2)
	v_cndmask_b32_e64 v26, v26, v30, s[16:17]
	ds_bpermute_b32 v29, v49, v7
	s_waitcnt lgkmcnt(2)
	v_cndmask_b32_e64 v27, v28, v27, s[16:17]
	ds_bpermute_b32 v28, v47, v10
	ds_bpermute_b32 v30, v47, v9
	ds_bpermute_b32 v12, v47, v12
	ds_bpermute_b32 v11, v47, v11
	ds_bpermute_b32 v6, v47, v6
	ds_bpermute_b32 v5, v47, v5
	ds_bpermute_b32 v8, v47, v8
	ds_bpermute_b32 v7, v47, v7
	s_waitcnt lgkmcnt(9)
	v_cndmask_b32_e64 v10, v26, v31, s[18:19]
	s_waitcnt lgkmcnt(8)
	v_cndmask_b32_e64 v9, v27, v29, s[18:19]
	;; [unrolled: 2-line block ×10, first 2 shown]
	s_mov_b32 s33, 8
	s_mov_b32 s44, 32
	;; [unrolled: 1-line block ×3, first 2 shown]
	s_barrier
	s_branch .LBB381_4
.LBB381_3:                              ;   in Loop: Header=BB381_4 Depth=2
	s_andn2_b64 vcc, exec, s[38:39]
	s_cbranch_vccz .LBB381_1
.LBB381_4:                              ;   Parent Loop BB381_2 Depth=1
                                        ; =>  This Inner Loop Header: Depth=2
	s_min_i32 s40, s33, 32
	s_cmp_lt_u32 s45, 32
	s_cselect_b64 s[38:39], -1, 0
	s_cmp_gt_u32 s45, 31
	s_cselect_b64 vcc, -1, 0
	s_sub_i32 s40, s40, 32
	s_add_i32 s41, s40, s44
	s_lshl_b32 s41, -1, s41
	s_not_b32 s41, s41
	s_cmp_lg_u32 s40, s45
	s_cselect_b32 s52, s41, -1
	s_max_i32 s50, s44, 0
	s_max_i32 s40, s45, 32
	s_sub_i32 s53, s40, 32
	s_sub_i32 s40, s40, s50
	s_sub_i32 s40, s40, 24
	s_min_i32 s40, s40, 32
	s_sub_i32 s40, s40, s53
	s_lshl_b32 s41, -1, s40
	v_mov_b32_e32 v38, v2
	s_not_b32 s41, s41
	v_mov_b32_e32 v37, v1
	s_cmp_lg_u32 s40, 32
	s_cselect_b32 s54, s41, -1
	v_lshrrev_b32_e32 v2, s53, v37
	v_lshrrev_b32_e32 v1, s45, v38
	v_and_b32_e32 v2, s54, v2
	v_and_b32_e32 v1, s52, v1
	v_lshlrev_b32_e32 v2, s50, v2
	v_cndmask_b32_e64 v1, 0, v1, s[38:39]
	v_cndmask_b32_e32 v2, 0, v2, vcc
	v_or_b32_e32 v1, v1, v2
	v_mov_b32_e32 v36, v4
	v_and_b32_e32 v2, 1, v1
	v_mov_b32_e32 v7, v9
	v_mov_b32_e32 v35, v3
	v_add_co_u32_e64 v4, s[40:41], -1, v2
	v_mov_b32_e32 v8, v10
	v_addc_co_u32_e64 v9, s[40:41], 0, -1, s[40:41]
	v_cmp_ne_u32_e64 s[40:41], 0, v2
	v_lshlrev_b32_e32 v26, 30, v1
	v_xor_b32_e32 v2, s41, v9
	v_xor_b32_e32 v4, s40, v4
	v_cmp_gt_i64_e64 s[40:41], 0, v[25:26]
	v_not_b32_e32 v9, v26
	v_ashrrev_i32_e32 v9, 31, v9
	v_and_b32_e32 v4, exec_lo, v4
	v_xor_b32_e32 v10, s41, v9
	v_xor_b32_e32 v9, s40, v9
	v_lshlrev_b32_e32 v26, 29, v1
	v_and_b32_e32 v4, v4, v9
	v_cmp_gt_i64_e64 s[40:41], 0, v[25:26]
	v_not_b32_e32 v9, v26
	v_and_b32_e32 v2, exec_hi, v2
	v_ashrrev_i32_e32 v9, 31, v9
	v_and_b32_e32 v2, v2, v10
	v_xor_b32_e32 v10, s41, v9
	v_xor_b32_e32 v9, s40, v9
	v_lshlrev_b32_e32 v26, 28, v1
	v_and_b32_e32 v4, v4, v9
	v_cmp_gt_i64_e64 s[40:41], 0, v[25:26]
	v_not_b32_e32 v9, v26
	v_ashrrev_i32_e32 v9, 31, v9
	v_and_b32_e32 v2, v2, v10
	v_xor_b32_e32 v10, s41, v9
	v_xor_b32_e32 v9, s40, v9
	v_lshlrev_b32_e32 v26, 27, v1
	v_and_b32_e32 v4, v4, v9
	v_cmp_gt_i64_e64 s[40:41], 0, v[25:26]
	v_not_b32_e32 v9, v26
	;; [unrolled: 8-line block ×4, first 2 shown]
	v_ashrrev_i32_e32 v9, 31, v9
	v_lshlrev_b32_e32 v26, 24, v1
	v_lshlrev_b32_e32 v3, 5, v1
	v_and_b32_e32 v2, v2, v10
	v_xor_b32_e32 v10, s41, v9
	v_xor_b32_e32 v9, s40, v9
	v_cmp_gt_i64_e64 s[40:41], 0, v[25:26]
	v_not_b32_e32 v1, v26
	v_ashrrev_i32_e32 v1, 31, v1
	v_and_b32_e32 v4, v4, v9
	v_xor_b32_e32 v9, s41, v1
	v_xor_b32_e32 v1, s40, v1
	v_and_b32_e32 v2, v2, v10
	v_and_b32_e32 v1, v4, v1
	;; [unrolled: 1-line block ×3, first 2 shown]
	v_mbcnt_lo_u32_b32 v4, v1, 0
	v_mbcnt_hi_u32_b32 v9, v2, v4
	v_cmp_ne_u64_e64 s[40:41], 0, v[1:2]
	v_mov_b32_e32 v30, v18
	v_mov_b32_e32 v28, v20
	;; [unrolled: 1-line block ×5, first 2 shown]
	v_cmp_eq_u32_e64 s[42:43], 0, v9
	v_mov_b32_e32 v29, v17
	v_mov_b32_e32 v27, v19
	;; [unrolled: 1-line block ×5, first 2 shown]
	s_and_b64 s[42:43], s[42:43], s[40:41]
	v_add_u32_e32 v10, v50, v3
	ds_write2_b64 v39, v[23:24], v[21:22] offset0:4 offset1:5
	s_waitcnt lgkmcnt(0)
	s_barrier
	; wave barrier
	s_and_saveexec_b64 s[40:41], s[42:43]
; %bb.5:                                ;   in Loop: Header=BB381_4 Depth=2
	v_bcnt_u32_b32 v1, v1, 0
	v_bcnt_u32_b32 v1, v2, v1
	ds_write_b32 v10, v1 offset:32
; %bb.6:                                ;   in Loop: Header=BB381_4 Depth=2
	s_or_b64 exec, exec, s[40:41]
	v_lshrrev_b32_e32 v2, s53, v35
	v_lshrrev_b32_e32 v1, s45, v36
	v_and_b32_e32 v2, s54, v2
	v_and_b32_e32 v1, s52, v1
	v_lshlrev_b32_e32 v2, s50, v2
	v_cndmask_b32_e64 v1, 0, v1, s[38:39]
	v_cndmask_b32_e32 v2, 0, v2, vcc
	v_or_b32_e32 v1, v1, v2
	v_lshlrev_b32_e32 v2, 5, v1
	v_add_u32_e32 v12, v50, v2
	v_and_b32_e32 v2, 1, v1
	v_add_co_u32_e64 v3, s[40:41], -1, v2
	v_addc_co_u32_e64 v4, s[40:41], 0, -1, s[40:41]
	v_cmp_ne_u32_e64 s[40:41], 0, v2
	v_lshlrev_b32_e32 v26, 30, v1
	v_xor_b32_e32 v2, s41, v4
	v_xor_b32_e32 v3, s40, v3
	v_cmp_gt_i64_e64 s[40:41], 0, v[25:26]
	v_not_b32_e32 v4, v26
	v_ashrrev_i32_e32 v4, 31, v4
	v_and_b32_e32 v3, exec_lo, v3
	v_xor_b32_e32 v13, s41, v4
	v_xor_b32_e32 v4, s40, v4
	v_lshlrev_b32_e32 v26, 29, v1
	v_and_b32_e32 v3, v3, v4
	v_cmp_gt_i64_e64 s[40:41], 0, v[25:26]
	v_not_b32_e32 v4, v26
	v_and_b32_e32 v2, exec_hi, v2
	v_ashrrev_i32_e32 v4, 31, v4
	v_and_b32_e32 v2, v2, v13
	v_xor_b32_e32 v13, s41, v4
	v_xor_b32_e32 v4, s40, v4
	v_lshlrev_b32_e32 v26, 28, v1
	v_and_b32_e32 v3, v3, v4
	v_cmp_gt_i64_e64 s[40:41], 0, v[25:26]
	v_not_b32_e32 v4, v26
	v_ashrrev_i32_e32 v4, 31, v4
	v_and_b32_e32 v2, v2, v13
	v_xor_b32_e32 v13, s41, v4
	v_xor_b32_e32 v4, s40, v4
	v_lshlrev_b32_e32 v26, 27, v1
	v_and_b32_e32 v3, v3, v4
	v_cmp_gt_i64_e64 s[40:41], 0, v[25:26]
	v_not_b32_e32 v4, v26
	;; [unrolled: 8-line block ×4, first 2 shown]
	v_ashrrev_i32_e32 v4, 31, v4
	v_lshlrev_b32_e32 v26, 24, v1
	v_and_b32_e32 v2, v2, v13
	v_xor_b32_e32 v13, s41, v4
	v_xor_b32_e32 v4, s40, v4
	v_cmp_gt_i64_e64 s[40:41], 0, v[25:26]
	v_not_b32_e32 v1, v26
	v_ashrrev_i32_e32 v1, 31, v1
	v_and_b32_e32 v3, v3, v4
	v_xor_b32_e32 v4, s41, v1
	v_xor_b32_e32 v1, s40, v1
	; wave barrier
	ds_read_b32 v11, v12 offset:32
	v_and_b32_e32 v2, v2, v13
	v_and_b32_e32 v1, v3, v1
	v_and_b32_e32 v2, v2, v4
	v_mbcnt_lo_u32_b32 v3, v1, 0
	v_mbcnt_hi_u32_b32 v13, v2, v3
	v_cmp_ne_u64_e64 s[40:41], 0, v[1:2]
	v_cmp_eq_u32_e64 s[42:43], 0, v13
	s_and_b64 s[42:43], s[42:43], s[40:41]
	; wave barrier
	s_and_saveexec_b64 s[40:41], s[42:43]
	s_cbranch_execz .LBB381_8
; %bb.7:                                ;   in Loop: Header=BB381_4 Depth=2
	v_bcnt_u32_b32 v1, v1, 0
	v_bcnt_u32_b32 v1, v2, v1
	s_waitcnt lgkmcnt(0)
	v_add_u32_e32 v1, v11, v1
	ds_write_b32 v12, v1 offset:32
.LBB381_8:                              ;   in Loop: Header=BB381_4 Depth=2
	s_or_b64 exec, exec, s[40:41]
	v_lshrrev_b32_e32 v2, s53, v33
	v_lshrrev_b32_e32 v1, s45, v34
	v_and_b32_e32 v2, s54, v2
	v_and_b32_e32 v1, s52, v1
	v_lshlrev_b32_e32 v2, s50, v2
	v_cndmask_b32_e64 v1, 0, v1, s[38:39]
	v_cndmask_b32_e32 v2, 0, v2, vcc
	v_or_b32_e32 v1, v1, v2
	v_lshlrev_b32_e32 v2, 5, v1
	v_add_u32_e32 v15, v50, v2
	v_and_b32_e32 v2, 1, v1
	v_add_co_u32_e64 v3, s[40:41], -1, v2
	v_addc_co_u32_e64 v4, s[40:41], 0, -1, s[40:41]
	v_cmp_ne_u32_e64 s[40:41], 0, v2
	v_lshlrev_b32_e32 v26, 30, v1
	v_xor_b32_e32 v2, s41, v4
	v_xor_b32_e32 v3, s40, v3
	v_cmp_gt_i64_e64 s[40:41], 0, v[25:26]
	v_not_b32_e32 v4, v26
	v_ashrrev_i32_e32 v4, 31, v4
	v_and_b32_e32 v3, exec_lo, v3
	v_xor_b32_e32 v16, s41, v4
	v_xor_b32_e32 v4, s40, v4
	v_lshlrev_b32_e32 v26, 29, v1
	v_and_b32_e32 v3, v3, v4
	v_cmp_gt_i64_e64 s[40:41], 0, v[25:26]
	v_not_b32_e32 v4, v26
	v_and_b32_e32 v2, exec_hi, v2
	v_ashrrev_i32_e32 v4, 31, v4
	v_and_b32_e32 v2, v2, v16
	v_xor_b32_e32 v16, s41, v4
	v_xor_b32_e32 v4, s40, v4
	v_lshlrev_b32_e32 v26, 28, v1
	v_and_b32_e32 v3, v3, v4
	v_cmp_gt_i64_e64 s[40:41], 0, v[25:26]
	v_not_b32_e32 v4, v26
	v_ashrrev_i32_e32 v4, 31, v4
	v_and_b32_e32 v2, v2, v16
	v_xor_b32_e32 v16, s41, v4
	v_xor_b32_e32 v4, s40, v4
	v_lshlrev_b32_e32 v26, 27, v1
	v_and_b32_e32 v3, v3, v4
	v_cmp_gt_i64_e64 s[40:41], 0, v[25:26]
	v_not_b32_e32 v4, v26
	;; [unrolled: 8-line block ×4, first 2 shown]
	v_ashrrev_i32_e32 v4, 31, v4
	v_lshlrev_b32_e32 v26, 24, v1
	v_and_b32_e32 v2, v2, v16
	v_xor_b32_e32 v16, s41, v4
	v_xor_b32_e32 v4, s40, v4
	v_cmp_gt_i64_e64 s[40:41], 0, v[25:26]
	v_not_b32_e32 v1, v26
	v_ashrrev_i32_e32 v1, 31, v1
	v_and_b32_e32 v3, v3, v4
	v_xor_b32_e32 v4, s41, v1
	v_xor_b32_e32 v1, s40, v1
	; wave barrier
	ds_read_b32 v14, v15 offset:32
	v_and_b32_e32 v2, v2, v16
	v_and_b32_e32 v1, v3, v1
	;; [unrolled: 1-line block ×3, first 2 shown]
	v_mbcnt_lo_u32_b32 v3, v1, 0
	v_mbcnt_hi_u32_b32 v16, v2, v3
	v_cmp_ne_u64_e64 s[40:41], 0, v[1:2]
	v_cmp_eq_u32_e64 s[42:43], 0, v16
	s_and_b64 s[42:43], s[42:43], s[40:41]
	; wave barrier
	s_and_saveexec_b64 s[40:41], s[42:43]
	s_cbranch_execz .LBB381_10
; %bb.9:                                ;   in Loop: Header=BB381_4 Depth=2
	v_bcnt_u32_b32 v1, v1, 0
	v_bcnt_u32_b32 v1, v2, v1
	s_waitcnt lgkmcnt(0)
	v_add_u32_e32 v1, v14, v1
	ds_write_b32 v15, v1 offset:32
.LBB381_10:                             ;   in Loop: Header=BB381_4 Depth=2
	s_or_b64 exec, exec, s[40:41]
	v_lshrrev_b32_e32 v2, s53, v31
	v_lshrrev_b32_e32 v1, s45, v32
	v_and_b32_e32 v2, s54, v2
	v_and_b32_e32 v1, s52, v1
	v_lshlrev_b32_e32 v2, s50, v2
	v_cndmask_b32_e64 v1, 0, v1, s[38:39]
	v_cndmask_b32_e32 v2, 0, v2, vcc
	v_or_b32_e32 v1, v1, v2
	v_lshlrev_b32_e32 v2, 5, v1
	v_add_u32_e32 v18, v50, v2
	v_and_b32_e32 v2, 1, v1
	v_add_co_u32_e32 v3, vcc, -1, v2
	v_addc_co_u32_e64 v4, s[38:39], 0, -1, vcc
	v_cmp_ne_u32_e32 vcc, 0, v2
	v_lshlrev_b32_e32 v26, 30, v1
	v_xor_b32_e32 v2, vcc_hi, v4
	v_xor_b32_e32 v3, vcc_lo, v3
	v_cmp_gt_i64_e32 vcc, 0, v[25:26]
	v_not_b32_e32 v4, v26
	v_ashrrev_i32_e32 v4, 31, v4
	v_and_b32_e32 v3, exec_lo, v3
	v_xor_b32_e32 v19, vcc_hi, v4
	v_xor_b32_e32 v4, vcc_lo, v4
	v_lshlrev_b32_e32 v26, 29, v1
	v_and_b32_e32 v3, v3, v4
	v_cmp_gt_i64_e32 vcc, 0, v[25:26]
	v_not_b32_e32 v4, v26
	v_and_b32_e32 v2, exec_hi, v2
	v_ashrrev_i32_e32 v4, 31, v4
	v_and_b32_e32 v2, v2, v19
	v_xor_b32_e32 v19, vcc_hi, v4
	v_xor_b32_e32 v4, vcc_lo, v4
	v_lshlrev_b32_e32 v26, 28, v1
	v_and_b32_e32 v3, v3, v4
	v_cmp_gt_i64_e32 vcc, 0, v[25:26]
	v_not_b32_e32 v4, v26
	v_ashrrev_i32_e32 v4, 31, v4
	v_and_b32_e32 v2, v2, v19
	v_xor_b32_e32 v19, vcc_hi, v4
	v_xor_b32_e32 v4, vcc_lo, v4
	v_lshlrev_b32_e32 v26, 27, v1
	v_and_b32_e32 v3, v3, v4
	v_cmp_gt_i64_e32 vcc, 0, v[25:26]
	v_not_b32_e32 v4, v26
	;; [unrolled: 8-line block ×4, first 2 shown]
	v_ashrrev_i32_e32 v4, 31, v4
	v_lshlrev_b32_e32 v26, 24, v1
	v_and_b32_e32 v2, v2, v19
	v_xor_b32_e32 v19, vcc_hi, v4
	v_xor_b32_e32 v4, vcc_lo, v4
	v_cmp_gt_i64_e32 vcc, 0, v[25:26]
	v_not_b32_e32 v1, v26
	v_ashrrev_i32_e32 v1, 31, v1
	v_and_b32_e32 v3, v3, v4
	v_xor_b32_e32 v4, vcc_hi, v1
	v_xor_b32_e32 v1, vcc_lo, v1
	; wave barrier
	ds_read_b32 v17, v18 offset:32
	v_and_b32_e32 v2, v2, v19
	v_and_b32_e32 v1, v3, v1
	;; [unrolled: 1-line block ×3, first 2 shown]
	v_mbcnt_lo_u32_b32 v3, v1, 0
	v_mbcnt_hi_u32_b32 v19, v2, v3
	v_cmp_ne_u64_e32 vcc, 0, v[1:2]
	v_cmp_eq_u32_e64 s[38:39], 0, v19
	s_and_b64 s[40:41], s[38:39], vcc
	; wave barrier
	s_and_saveexec_b64 s[38:39], s[40:41]
	s_cbranch_execz .LBB381_12
; %bb.11:                               ;   in Loop: Header=BB381_4 Depth=2
	v_bcnt_u32_b32 v1, v1, 0
	v_bcnt_u32_b32 v1, v2, v1
	s_waitcnt lgkmcnt(0)
	v_add_u32_e32 v1, v17, v1
	ds_write_b32 v18, v1 offset:32
.LBB381_12:                             ;   in Loop: Header=BB381_4 Depth=2
	s_or_b64 exec, exec, s[38:39]
	; wave barrier
	s_waitcnt lgkmcnt(0)
	s_barrier
	ds_read2_b64 v[1:4], v39 offset0:4 offset1:5
	s_waitcnt lgkmcnt(0)
	v_add_u32_e32 v20, v2, v1
	v_add3_u32 v4, v20, v3, v4
	s_nop 1
	v_mov_b32_dpp v20, v4 row_shr:1 row_mask:0xf bank_mask:0xf
	v_cndmask_b32_e64 v20, v20, 0, s[20:21]
	v_add_u32_e32 v4, v20, v4
	s_nop 1
	v_mov_b32_dpp v20, v4 row_shr:2 row_mask:0xf bank_mask:0xf
	v_cndmask_b32_e64 v20, 0, v20, s[22:23]
	v_add_u32_e32 v4, v4, v20
	;; [unrolled: 4-line block ×4, first 2 shown]
	s_nop 1
	v_mov_b32_dpp v20, v4 row_bcast:15 row_mask:0xf bank_mask:0xf
	v_cndmask_b32_e64 v20, v20, 0, s[28:29]
	v_add_u32_e32 v4, v4, v20
	s_nop 1
	v_mov_b32_dpp v20, v4 row_bcast:31 row_mask:0xf bank_mask:0xf
	v_cndmask_b32_e64 v20, 0, v20, s[6:7]
	v_add_u32_e32 v4, v4, v20
	s_and_saveexec_b64 s[38:39], s[8:9]
; %bb.13:                               ;   in Loop: Header=BB381_4 Depth=2
	ds_write_b32 v40, v4
; %bb.14:                               ;   in Loop: Header=BB381_4 Depth=2
	s_or_b64 exec, exec, s[38:39]
	s_waitcnt lgkmcnt(0)
	s_barrier
	s_and_saveexec_b64 s[38:39], s[0:1]
	s_cbranch_execz .LBB381_16
; %bb.15:                               ;   in Loop: Header=BB381_4 Depth=2
	ds_read_b32 v20, v41
	s_waitcnt lgkmcnt(0)
	s_nop 0
	v_mov_b32_dpp v26, v20 row_shr:1 row_mask:0xf bank_mask:0xf
	v_cndmask_b32_e64 v26, v26, 0, s[30:31]
	v_add_u32_e32 v20, v26, v20
	s_nop 1
	v_mov_b32_dpp v26, v20 row_shr:2 row_mask:0xf bank_mask:0xf
	v_cndmask_b32_e64 v26, 0, v26, s[34:35]
	v_add_u32_e32 v20, v20, v26
	;; [unrolled: 4-line block ×3, first 2 shown]
	ds_write_b32 v41, v20
.LBB381_16:                             ;   in Loop: Header=BB381_4 Depth=2
	s_or_b64 exec, exec, s[38:39]
	v_mov_b32_e32 v20, 0
	s_waitcnt lgkmcnt(0)
	s_barrier
	s_and_saveexec_b64 s[38:39], s[2:3]
; %bb.17:                               ;   in Loop: Header=BB381_4 Depth=2
	ds_read_b32 v20, v42
; %bb.18:                               ;   in Loop: Header=BB381_4 Depth=2
	s_or_b64 exec, exec, s[38:39]
	s_waitcnt lgkmcnt(0)
	v_add_u32_e32 v4, v20, v4
	ds_bpermute_b32 v4, v46, v4
	v_lshlrev_b32_e32 v9, 3, v9
	s_cmp_gt_u32 s45, 55
	s_mov_b64 s[38:39], -1
	s_waitcnt lgkmcnt(0)
	v_cndmask_b32_e64 v4, v4, v20, s[10:11]
	v_cndmask_b32_e64 v51, v4, 0, s[4:5]
	v_add_u32_e32 v52, v51, v1
	v_add_u32_e32 v1, v52, v2
	;; [unrolled: 1-line block ×3, first 2 shown]
	ds_write2_b64 v39, v[51:52], v[1:2] offset0:4 offset1:5
	s_waitcnt lgkmcnt(0)
	s_barrier
	ds_read_b32 v1, v10 offset:32
	ds_read_b32 v2, v12 offset:32
	;; [unrolled: 1-line block ×4, first 2 shown]
	s_waitcnt lgkmcnt(0)
	v_lshl_add_u32 v26, v1, 3, v9
	v_lshlrev_b32_e32 v1, 3, v13
	v_lshlrev_b32_e32 v9, 3, v11
	v_lshlrev_b32_e32 v2, 3, v2
	v_add3_u32 v51, v1, v9, v2
	v_lshlrev_b32_e32 v1, 3, v16
	v_lshlrev_b32_e32 v2, 3, v14
	v_lshlrev_b32_e32 v3, 3, v3
	v_add3_u32 v52, v1, v2, v3
	;; [unrolled: 4-line block ×3, first 2 shown]
                                        ; implicit-def: $vgpr17_vgpr18
                                        ; implicit-def: $vgpr9_vgpr10
                                        ; implicit-def: $vgpr1_vgpr2
                                        ; implicit-def: $vgpr13_vgpr14
	s_cbranch_scc1 .LBB381_3
; %bb.19:                               ;   in Loop: Header=BB381_4 Depth=2
	s_barrier
	ds_write_b64 v26, v[37:38]
	ds_write_b64 v51, v[35:36]
	;; [unrolled: 1-line block ×4, first 2 shown]
	s_waitcnt lgkmcnt(0)
	s_barrier
	ds_read2st64_b64 v[1:4], v43 offset1:1
	ds_read2st64_b64 v[13:16], v43 offset0:2 offset1:3
	s_waitcnt lgkmcnt(0)
	s_barrier
	ds_write_b64 v26, v[29:30]
	ds_write_b64 v51, v[27:28]
	;; [unrolled: 1-line block ×4, first 2 shown]
	s_waitcnt lgkmcnt(0)
	s_barrier
	ds_read2st64_b64 v[17:20], v43 offset1:1
	ds_read2st64_b64 v[9:12], v43 offset0:2 offset1:3
	s_add_i32 s44, s44, -8
	s_add_i32 s33, s33, 8
	s_add_i32 s45, s45, 8
	s_mov_b64 s[38:39], 0
	s_waitcnt lgkmcnt(0)
	s_barrier
	s_branch .LBB381_3
.LBB381_20:
	s_add_u32 s0, s46, s48
	s_addc_u32 s1, s47, s49
	v_lshlrev_b32_e32 v0, 3, v0
	s_waitcnt lgkmcnt(1)
	v_add_u32_e32 v1, v17, v9
	v_add_u32_e32 v2, v18, v10
	v_mov_b32_e32 v9, s1
	v_add_co_u32_e32 v10, vcc, s0, v0
	v_addc_co_u32_e32 v9, vcc, 0, v9, vcc
	global_store_dwordx2 v0, v[1:2], s[0:1]
	s_movk_i32 s0, 0x1000
	v_add_co_u32_e32 v0, vcc, s0, v10
	v_add_u32_e32 v3, v19, v11
	v_add_u32_e32 v4, v20, v12
	v_addc_co_u32_e32 v1, vcc, 0, v9, vcc
	global_store_dwordx2 v[0:1], v[3:4], off
	v_add_co_u32_e32 v0, vcc, 0x2000, v10
	s_waitcnt lgkmcnt(0)
	v_add_u32_e32 v5, v13, v5
	v_add_u32_e32 v6, v14, v6
	v_addc_co_u32_e32 v1, vcc, 0, v9, vcc
	global_store_dwordx2 v[0:1], v[5:6], off
	v_add_co_u32_e32 v0, vcc, 0x3000, v10
	v_add_u32_e32 v7, v15, v7
	v_add_u32_e32 v8, v16, v8
	v_addc_co_u32_e32 v1, vcc, 0, v9, vcc
	global_store_dwordx2 v[0:1], v[7:8], off
	s_endpgm
	.section	.rodata,"a",@progbits
	.p2align	6, 0x0
	.amdhsa_kernel _Z17sort_pairs_kernelI22helper_blocked_stripedN15benchmark_utils11custom_typeIiiEELj512ELj4ELj10EEvPKT0_PS4_
		.amdhsa_group_segment_fixed_size 16384
		.amdhsa_private_segment_fixed_size 0
		.amdhsa_kernarg_size 272
		.amdhsa_user_sgpr_count 6
		.amdhsa_user_sgpr_private_segment_buffer 1
		.amdhsa_user_sgpr_dispatch_ptr 0
		.amdhsa_user_sgpr_queue_ptr 0
		.amdhsa_user_sgpr_kernarg_segment_ptr 1
		.amdhsa_user_sgpr_dispatch_id 0
		.amdhsa_user_sgpr_flat_scratch_init 0
		.amdhsa_user_sgpr_private_segment_size 0
		.amdhsa_uses_dynamic_stack 0
		.amdhsa_system_sgpr_private_segment_wavefront_offset 0
		.amdhsa_system_sgpr_workgroup_id_x 1
		.amdhsa_system_sgpr_workgroup_id_y 0
		.amdhsa_system_sgpr_workgroup_id_z 0
		.amdhsa_system_sgpr_workgroup_info 0
		.amdhsa_system_vgpr_workitem_id 2
		.amdhsa_next_free_vgpr 54
		.amdhsa_next_free_sgpr 61
		.amdhsa_reserve_vcc 1
		.amdhsa_reserve_flat_scratch 0
		.amdhsa_float_round_mode_32 0
		.amdhsa_float_round_mode_16_64 0
		.amdhsa_float_denorm_mode_32 3
		.amdhsa_float_denorm_mode_16_64 3
		.amdhsa_dx10_clamp 1
		.amdhsa_ieee_mode 1
		.amdhsa_fp16_overflow 0
		.amdhsa_exception_fp_ieee_invalid_op 0
		.amdhsa_exception_fp_denorm_src 0
		.amdhsa_exception_fp_ieee_div_zero 0
		.amdhsa_exception_fp_ieee_overflow 0
		.amdhsa_exception_fp_ieee_underflow 0
		.amdhsa_exception_fp_ieee_inexact 0
		.amdhsa_exception_int_div_zero 0
	.end_amdhsa_kernel
	.section	.text._Z17sort_pairs_kernelI22helper_blocked_stripedN15benchmark_utils11custom_typeIiiEELj512ELj4ELj10EEvPKT0_PS4_,"axG",@progbits,_Z17sort_pairs_kernelI22helper_blocked_stripedN15benchmark_utils11custom_typeIiiEELj512ELj4ELj10EEvPKT0_PS4_,comdat
.Lfunc_end381:
	.size	_Z17sort_pairs_kernelI22helper_blocked_stripedN15benchmark_utils11custom_typeIiiEELj512ELj4ELj10EEvPKT0_PS4_, .Lfunc_end381-_Z17sort_pairs_kernelI22helper_blocked_stripedN15benchmark_utils11custom_typeIiiEELj512ELj4ELj10EEvPKT0_PS4_
                                        ; -- End function
	.set _Z17sort_pairs_kernelI22helper_blocked_stripedN15benchmark_utils11custom_typeIiiEELj512ELj4ELj10EEvPKT0_PS4_.num_vgpr, 54
	.set _Z17sort_pairs_kernelI22helper_blocked_stripedN15benchmark_utils11custom_typeIiiEELj512ELj4ELj10EEvPKT0_PS4_.num_agpr, 0
	.set _Z17sort_pairs_kernelI22helper_blocked_stripedN15benchmark_utils11custom_typeIiiEELj512ELj4ELj10EEvPKT0_PS4_.numbered_sgpr, 55
	.set _Z17sort_pairs_kernelI22helper_blocked_stripedN15benchmark_utils11custom_typeIiiEELj512ELj4ELj10EEvPKT0_PS4_.num_named_barrier, 0
	.set _Z17sort_pairs_kernelI22helper_blocked_stripedN15benchmark_utils11custom_typeIiiEELj512ELj4ELj10EEvPKT0_PS4_.private_seg_size, 0
	.set _Z17sort_pairs_kernelI22helper_blocked_stripedN15benchmark_utils11custom_typeIiiEELj512ELj4ELj10EEvPKT0_PS4_.uses_vcc, 1
	.set _Z17sort_pairs_kernelI22helper_blocked_stripedN15benchmark_utils11custom_typeIiiEELj512ELj4ELj10EEvPKT0_PS4_.uses_flat_scratch, 0
	.set _Z17sort_pairs_kernelI22helper_blocked_stripedN15benchmark_utils11custom_typeIiiEELj512ELj4ELj10EEvPKT0_PS4_.has_dyn_sized_stack, 0
	.set _Z17sort_pairs_kernelI22helper_blocked_stripedN15benchmark_utils11custom_typeIiiEELj512ELj4ELj10EEvPKT0_PS4_.has_recursion, 0
	.set _Z17sort_pairs_kernelI22helper_blocked_stripedN15benchmark_utils11custom_typeIiiEELj512ELj4ELj10EEvPKT0_PS4_.has_indirect_call, 0
	.section	.AMDGPU.csdata,"",@progbits
; Kernel info:
; codeLenInByte = 4644
; TotalNumSgprs: 59
; NumVgprs: 54
; ScratchSize: 0
; MemoryBound: 0
; FloatMode: 240
; IeeeMode: 1
; LDSByteSize: 16384 bytes/workgroup (compile time only)
; SGPRBlocks: 8
; VGPRBlocks: 13
; NumSGPRsForWavesPerEU: 65
; NumVGPRsForWavesPerEU: 54
; Occupancy: 4
; WaveLimiterHint : 1
; COMPUTE_PGM_RSRC2:SCRATCH_EN: 0
; COMPUTE_PGM_RSRC2:USER_SGPR: 6
; COMPUTE_PGM_RSRC2:TRAP_HANDLER: 0
; COMPUTE_PGM_RSRC2:TGID_X_EN: 1
; COMPUTE_PGM_RSRC2:TGID_Y_EN: 0
; COMPUTE_PGM_RSRC2:TGID_Z_EN: 0
; COMPUTE_PGM_RSRC2:TIDIG_COMP_CNT: 2
	.section	.text._Z16sort_keys_kernelI22helper_blocked_stripedN15benchmark_utils11custom_typeIiiEELj512ELj8ELj10EEvPKT0_PS4_,"axG",@progbits,_Z16sort_keys_kernelI22helper_blocked_stripedN15benchmark_utils11custom_typeIiiEELj512ELj8ELj10EEvPKT0_PS4_,comdat
	.protected	_Z16sort_keys_kernelI22helper_blocked_stripedN15benchmark_utils11custom_typeIiiEELj512ELj8ELj10EEvPKT0_PS4_ ; -- Begin function _Z16sort_keys_kernelI22helper_blocked_stripedN15benchmark_utils11custom_typeIiiEELj512ELj8ELj10EEvPKT0_PS4_
	.globl	_Z16sort_keys_kernelI22helper_blocked_stripedN15benchmark_utils11custom_typeIiiEELj512ELj8ELj10EEvPKT0_PS4_
	.p2align	8
	.type	_Z16sort_keys_kernelI22helper_blocked_stripedN15benchmark_utils11custom_typeIiiEELj512ELj8ELj10EEvPKT0_PS4_,@function
_Z16sort_keys_kernelI22helper_blocked_stripedN15benchmark_utils11custom_typeIiiEELj512ELj8ELj10EEvPKT0_PS4_: ; @_Z16sort_keys_kernelI22helper_blocked_stripedN15benchmark_utils11custom_typeIiiEELj512ELj8ELj10EEvPKT0_PS4_
; %bb.0:
	s_load_dwordx4 s[36:39], s[4:5], 0x0
	s_load_dword s2, s[4:5], 0x1c
	s_lshl_b32 s40, s6, 12
	s_mov_b32 s41, 0
	s_lshl_b64 s[42:43], s[40:41], 3
	s_waitcnt lgkmcnt(0)
	s_add_u32 s0, s36, s42
	s_addc_u32 s1, s37, s43
	v_lshlrev_b32_e32 v19, 6, v0
	global_load_dwordx4 v[3:6], v19, s[0:1] offset:48
	global_load_dwordx4 v[7:10], v19, s[0:1] offset:32
	;; [unrolled: 1-line block ×3, first 2 shown]
	global_load_dwordx4 v[15:18], v19, s[0:1]
	global_load_dwordx2 v[15:16], v19, s[0:1]
                                        ; kill: killed $sgpr0 killed $sgpr1
	s_lshr_b32 s0, s2, 16
	v_mbcnt_lo_u32_b32 v20, -1, 0
	s_and_b32 s1, s2, 0xffff
	v_mad_u32_u24 v1, v2, s0, v1
	v_mbcnt_hi_u32_b32 v20, -1, v20
	v_mad_u64_u32 v[1:2], s[0:1], v1, s1, v[0:1]
	v_and_b32_e32 v2, 15, v20
	v_and_b32_e32 v21, 0x1c0, v0
	v_cmp_eq_u32_e64 s[0:1], 0, v2
	v_cmp_lt_u32_e64 s[2:3], 1, v2
	v_cmp_lt_u32_e64 s[4:5], 3, v2
	;; [unrolled: 1-line block ×3, first 2 shown]
	v_and_b32_e32 v2, 16, v20
	v_and_b32_e32 v19, 0x7000, v19
	v_cmp_eq_u32_e64 s[8:9], 0, v2
	v_or_b32_e32 v2, 63, v21
	v_lshl_or_b32 v40, v20, 3, v19
	v_cmp_eq_u32_e64 s[12:13], v0, v2
	v_subrev_co_u32_e64 v2, s[18:19], 1, v20
	v_and_b32_e32 v19, 64, v20
	v_cmp_lt_i32_e32 vcc, v2, v19
	v_cndmask_b32_e32 v2, v2, v20, vcc
	v_lshlrev_b32_e32 v41, 4, v0
	v_lshlrev_b32_e32 v42, 2, v2
	v_lshrrev_b32_e32 v2, 4, v0
	v_lshrrev_b32_e32 v1, 4, v1
	s_mov_b32 s40, s41
	s_mov_b32 s28, s41
	v_add_lshl_u32 v39, v20, v21, 6
	v_and_b32_e32 v43, 28, v2
	v_mad_i32_i24 v44, v0, -12, v41
	v_and_b32_e32 v2, 7, v20
	v_and_b32_e32 v46, 0xffffffc, v1
	v_lshlrev_b32_e32 v1, 2, v0
	s_mov_b32 s29, s41
	v_mov_b32_e32 v21, s40
	v_mov_b32_e32 v23, s28
	v_cmp_lt_u32_e64 s[10:11], 31, v20
	v_cmp_gt_u32_e64 s[14:15], 8, v0
	v_cmp_lt_u32_e64 s[16:17], 63, v0
	v_cmp_eq_u32_e64 s[20:21], 0, v0
	v_cmp_eq_u32_e64 s[22:23], 0, v2
	v_cmp_lt_u32_e64 s[24:25], 1, v2
	v_cmp_lt_u32_e64 s[26:27], 3, v2
	v_add_u32_e32 v45, -4, v43
	v_mov_b32_e32 v19, 0
	v_add_u32_e32 v47, v44, v1
	v_mov_b32_e32 v22, s41
	v_mov_b32_e32 v24, s29
	s_branch .LBB382_2
.LBB382_1:                              ;   in Loop: Header=BB382_2 Depth=1
	s_barrier
	ds_write_b64 v48, v[37:38]
	ds_write_b64 v51, v[35:36]
	ds_write_b64 v54, v[33:34]
	ds_write_b64 v57, v[31:32]
	ds_write_b64 v49, v[29:30]
	ds_write_b64 v50, v[27:28]
	ds_write_b64 v52, v[25:26]
	ds_write_b64 v20, v[17:18]
	s_waitcnt lgkmcnt(0)
	s_barrier
	ds_read2st64_b64 v[1:4], v47 offset1:8
	ds_read2st64_b64 v[5:8], v47 offset0:16 offset1:24
	ds_read2st64_b64 v[25:28], v47 offset0:32 offset1:40
	;; [unrolled: 1-line block ×3, first 2 shown]
	s_add_i32 s41, s41, 1
	s_waitcnt lgkmcnt(3)
	v_xor_b32_e32 v15, 0x80000000, v1
	v_xor_b32_e32 v16, 0x80000000, v2
	v_xor_b32_e32 v17, 0x80000000, v3
	v_xor_b32_e32 v18, 0x80000000, v4
	s_waitcnt lgkmcnt(2)
	v_xor_b32_e32 v11, 0x80000000, v5
	v_xor_b32_e32 v12, 0x80000000, v6
	v_xor_b32_e32 v13, 0x80000000, v7
	v_xor_b32_e32 v14, 0x80000000, v8
	s_waitcnt lgkmcnt(1)
	v_xor_b32_e32 v7, 0x80000000, v25
	v_xor_b32_e32 v8, 0x80000000, v26
	v_xor_b32_e32 v9, 0x80000000, v27
	v_xor_b32_e32 v10, 0x80000000, v28
	s_waitcnt lgkmcnt(0)
	v_xor_b32_e32 v3, 0x80000000, v29
	v_xor_b32_e32 v4, 0x80000000, v30
	;; [unrolled: 1-line block ×3, first 2 shown]
	s_cmp_eq_u32 s41, 10
	v_xor_b32_e32 v6, 0x80000000, v32
	s_cbranch_scc1 .LBB382_28
.LBB382_2:                              ; =>This Loop Header: Depth=1
                                        ;     Child Loop BB382_4 Depth 2
	s_waitcnt vmcnt(0)
	v_xor_b32_e32 v2, 0x80000000, v16
	v_xor_b32_e32 v1, 0x80000000, v15
	v_xor_b32_e32 v16, 0x80000000, v18
	v_xor_b32_e32 v15, 0x80000000, v17
	v_xor_b32_e32 v12, 0x80000000, v12
	v_xor_b32_e32 v11, 0x80000000, v11
	v_xor_b32_e32 v14, 0x80000000, v14
	v_xor_b32_e32 v13, 0x80000000, v13
	v_xor_b32_e32 v8, 0x80000000, v8
	v_xor_b32_e32 v7, 0x80000000, v7
	v_xor_b32_e32 v10, 0x80000000, v10
	v_xor_b32_e32 v9, 0x80000000, v9
	v_xor_b32_e32 v4, 0x80000000, v4
	v_xor_b32_e32 v3, 0x80000000, v3
	v_xor_b32_e32 v6, 0x80000000, v6
	v_xor_b32_e32 v5, 0x80000000, v5
	ds_write2_b64 v39, v[1:2], v[15:16] offset1:1
	ds_write2_b64 v39, v[11:12], v[13:14] offset0:2 offset1:3
	ds_write2_b64 v39, v[7:8], v[9:10] offset0:4 offset1:5
	;; [unrolled: 1-line block ×3, first 2 shown]
	; wave barrier
	ds_read2st64_b64 v[1:4], v40 offset1:1
	ds_read2st64_b64 v[5:8], v40 offset0:2 offset1:3
	ds_read2st64_b64 v[9:12], v40 offset0:4 offset1:5
	;; [unrolled: 1-line block ×3, first 2 shown]
	s_mov_b32 s33, 8
	s_mov_b32 s36, 32
	;; [unrolled: 1-line block ×3, first 2 shown]
	s_waitcnt lgkmcnt(0)
	s_barrier
	; wave barrier
	s_barrier
	s_branch .LBB382_4
.LBB382_3:                              ;   in Loop: Header=BB382_4 Depth=2
	s_andn2_b64 vcc, exec, s[28:29]
	s_cbranch_vccz .LBB382_1
.LBB382_4:                              ;   Parent Loop BB382_2 Depth=1
                                        ; =>  This Inner Loop Header: Depth=2
	s_min_i32 s30, s33, 32
	s_cmp_lt_u32 s37, 32
	s_cselect_b64 s[28:29], -1, 0
	s_cmp_gt_u32 s37, 31
	s_cselect_b64 vcc, -1, 0
	s_sub_i32 s30, s30, 32
	s_add_i32 s31, s30, s36
	s_lshl_b32 s31, -1, s31
	s_not_b32 s31, s31
	s_cmp_lg_u32 s30, s37
	s_cselect_b32 s44, s31, -1
	s_max_i32 s40, s36, 0
	s_max_i32 s30, s37, 32
	s_sub_i32 s45, s30, 32
	s_sub_i32 s30, s30, s40
	;; [unrolled: 1-line block ×3, first 2 shown]
	s_min_i32 s30, s30, 32
	s_sub_i32 s30, s30, s45
	s_lshl_b32 s31, -1, s30
	v_mov_b32_e32 v38, v2
	s_not_b32 s31, s31
	v_mov_b32_e32 v37, v1
	s_cmp_lg_u32 s30, 32
	s_cselect_b32 s46, s31, -1
	v_lshrrev_b32_e32 v2, s45, v37
	v_lshrrev_b32_e32 v1, s37, v38
	v_and_b32_e32 v2, s46, v2
	v_and_b32_e32 v1, s44, v1
	v_lshlrev_b32_e32 v2, s40, v2
	v_cndmask_b32_e64 v1, 0, v1, s[28:29]
	v_cndmask_b32_e32 v2, 0, v2, vcc
	v_or_b32_e32 v1, v1, v2
	v_mov_b32_e32 v36, v4
	v_and_b32_e32 v2, 1, v1
	v_mov_b32_e32 v35, v3
	v_mov_b32_e32 v34, v6
	v_add_co_u32_e64 v4, s[30:31], -1, v2
	v_mov_b32_e32 v33, v5
	v_addc_co_u32_e64 v5, s[30:31], 0, -1, s[30:31]
	v_cmp_ne_u32_e64 s[30:31], 0, v2
	v_lshlrev_b32_e32 v20, 30, v1
	v_xor_b32_e32 v2, s31, v5
	v_xor_b32_e32 v4, s30, v4
	v_cmp_gt_i64_e64 s[30:31], 0, v[19:20]
	v_not_b32_e32 v5, v20
	v_ashrrev_i32_e32 v5, 31, v5
	v_and_b32_e32 v4, exec_lo, v4
	v_xor_b32_e32 v6, s31, v5
	v_xor_b32_e32 v5, s30, v5
	v_lshlrev_b32_e32 v20, 29, v1
	v_and_b32_e32 v4, v4, v5
	v_cmp_gt_i64_e64 s[30:31], 0, v[19:20]
	v_not_b32_e32 v5, v20
	v_and_b32_e32 v2, exec_hi, v2
	v_ashrrev_i32_e32 v5, 31, v5
	v_and_b32_e32 v2, v2, v6
	v_xor_b32_e32 v6, s31, v5
	v_xor_b32_e32 v5, s30, v5
	v_lshlrev_b32_e32 v20, 28, v1
	v_and_b32_e32 v4, v4, v5
	v_cmp_gt_i64_e64 s[30:31], 0, v[19:20]
	v_not_b32_e32 v5, v20
	v_ashrrev_i32_e32 v5, 31, v5
	v_and_b32_e32 v2, v2, v6
	v_xor_b32_e32 v6, s31, v5
	v_xor_b32_e32 v5, s30, v5
	v_lshlrev_b32_e32 v20, 27, v1
	v_and_b32_e32 v4, v4, v5
	v_cmp_gt_i64_e64 s[30:31], 0, v[19:20]
	v_not_b32_e32 v5, v20
	;; [unrolled: 8-line block ×4, first 2 shown]
	v_ashrrev_i32_e32 v5, 31, v5
	v_lshlrev_b32_e32 v20, 24, v1
	v_lshlrev_b32_e32 v3, 5, v1
	v_and_b32_e32 v2, v2, v6
	v_xor_b32_e32 v6, s31, v5
	v_xor_b32_e32 v5, s30, v5
	v_cmp_gt_i64_e64 s[30:31], 0, v[19:20]
	v_not_b32_e32 v1, v20
	v_ashrrev_i32_e32 v1, 31, v1
	v_and_b32_e32 v4, v4, v5
	v_xor_b32_e32 v5, s31, v1
	v_xor_b32_e32 v1, s30, v1
	v_and_b32_e32 v2, v2, v6
	v_and_b32_e32 v1, v4, v1
	;; [unrolled: 1-line block ×3, first 2 shown]
	v_mbcnt_lo_u32_b32 v4, v1, 0
	v_mbcnt_hi_u32_b32 v5, v2, v4
	v_cmp_ne_u64_e64 s[30:31], 0, v[1:2]
	v_mov_b32_e32 v32, v8
	v_mov_b32_e32 v30, v10
	;; [unrolled: 1-line block ×5, first 2 shown]
	v_cmp_eq_u32_e64 s[34:35], 0, v5
	v_mov_b32_e32 v31, v7
	v_mov_b32_e32 v29, v9
	;; [unrolled: 1-line block ×5, first 2 shown]
	s_and_b64 s[34:35], s[34:35], s[30:31]
	v_add_u32_e32 v6, v46, v3
	ds_write2_b64 v41, v[21:22], v[23:24] offset0:4 offset1:5
	s_waitcnt lgkmcnt(0)
	s_barrier
	; wave barrier
	s_and_saveexec_b64 s[30:31], s[34:35]
; %bb.5:                                ;   in Loop: Header=BB382_4 Depth=2
	v_bcnt_u32_b32 v1, v1, 0
	v_bcnt_u32_b32 v1, v2, v1
	ds_write_b32 v6, v1 offset:32
; %bb.6:                                ;   in Loop: Header=BB382_4 Depth=2
	s_or_b64 exec, exec, s[30:31]
	v_lshrrev_b32_e32 v2, s45, v35
	v_lshrrev_b32_e32 v1, s37, v36
	v_and_b32_e32 v2, s46, v2
	v_and_b32_e32 v1, s44, v1
	v_lshlrev_b32_e32 v2, s40, v2
	v_cndmask_b32_e64 v1, 0, v1, s[28:29]
	v_cndmask_b32_e32 v2, 0, v2, vcc
	v_or_b32_e32 v1, v1, v2
	v_lshlrev_b32_e32 v2, 5, v1
	v_add_u32_e32 v8, v46, v2
	v_and_b32_e32 v2, 1, v1
	v_add_co_u32_e64 v3, s[30:31], -1, v2
	v_addc_co_u32_e64 v4, s[30:31], 0, -1, s[30:31]
	v_cmp_ne_u32_e64 s[30:31], 0, v2
	v_lshlrev_b32_e32 v20, 30, v1
	v_xor_b32_e32 v2, s31, v4
	v_xor_b32_e32 v3, s30, v3
	v_cmp_gt_i64_e64 s[30:31], 0, v[19:20]
	v_not_b32_e32 v4, v20
	v_ashrrev_i32_e32 v4, 31, v4
	v_and_b32_e32 v3, exec_lo, v3
	v_xor_b32_e32 v9, s31, v4
	v_xor_b32_e32 v4, s30, v4
	v_lshlrev_b32_e32 v20, 29, v1
	v_and_b32_e32 v3, v3, v4
	v_cmp_gt_i64_e64 s[30:31], 0, v[19:20]
	v_not_b32_e32 v4, v20
	v_and_b32_e32 v2, exec_hi, v2
	v_ashrrev_i32_e32 v4, 31, v4
	v_and_b32_e32 v2, v2, v9
	v_xor_b32_e32 v9, s31, v4
	v_xor_b32_e32 v4, s30, v4
	v_lshlrev_b32_e32 v20, 28, v1
	v_and_b32_e32 v3, v3, v4
	v_cmp_gt_i64_e64 s[30:31], 0, v[19:20]
	v_not_b32_e32 v4, v20
	v_ashrrev_i32_e32 v4, 31, v4
	v_and_b32_e32 v2, v2, v9
	v_xor_b32_e32 v9, s31, v4
	v_xor_b32_e32 v4, s30, v4
	v_lshlrev_b32_e32 v20, 27, v1
	v_and_b32_e32 v3, v3, v4
	v_cmp_gt_i64_e64 s[30:31], 0, v[19:20]
	v_not_b32_e32 v4, v20
	;; [unrolled: 8-line block ×4, first 2 shown]
	v_ashrrev_i32_e32 v4, 31, v4
	v_lshlrev_b32_e32 v20, 24, v1
	v_and_b32_e32 v2, v2, v9
	v_xor_b32_e32 v9, s31, v4
	v_xor_b32_e32 v4, s30, v4
	v_cmp_gt_i64_e64 s[30:31], 0, v[19:20]
	v_not_b32_e32 v1, v20
	v_ashrrev_i32_e32 v1, 31, v1
	v_and_b32_e32 v3, v3, v4
	v_xor_b32_e32 v4, s31, v1
	v_xor_b32_e32 v1, s30, v1
	; wave barrier
	ds_read_b32 v7, v8 offset:32
	v_and_b32_e32 v2, v2, v9
	v_and_b32_e32 v1, v3, v1
	;; [unrolled: 1-line block ×3, first 2 shown]
	v_mbcnt_lo_u32_b32 v3, v1, 0
	v_mbcnt_hi_u32_b32 v9, v2, v3
	v_cmp_ne_u64_e64 s[30:31], 0, v[1:2]
	v_cmp_eq_u32_e64 s[34:35], 0, v9
	s_and_b64 s[34:35], s[34:35], s[30:31]
	; wave barrier
	s_and_saveexec_b64 s[30:31], s[34:35]
	s_cbranch_execz .LBB382_8
; %bb.7:                                ;   in Loop: Header=BB382_4 Depth=2
	v_bcnt_u32_b32 v1, v1, 0
	v_bcnt_u32_b32 v1, v2, v1
	s_waitcnt lgkmcnt(0)
	v_add_u32_e32 v1, v7, v1
	ds_write_b32 v8, v1 offset:32
.LBB382_8:                              ;   in Loop: Header=BB382_4 Depth=2
	s_or_b64 exec, exec, s[30:31]
	v_lshrrev_b32_e32 v2, s45, v33
	v_lshrrev_b32_e32 v1, s37, v34
	v_and_b32_e32 v2, s46, v2
	v_and_b32_e32 v1, s44, v1
	v_lshlrev_b32_e32 v2, s40, v2
	v_cndmask_b32_e64 v1, 0, v1, s[28:29]
	v_cndmask_b32_e32 v2, 0, v2, vcc
	v_or_b32_e32 v1, v1, v2
	v_lshlrev_b32_e32 v2, 5, v1
	v_add_u32_e32 v11, v46, v2
	v_and_b32_e32 v2, 1, v1
	v_add_co_u32_e64 v3, s[30:31], -1, v2
	v_addc_co_u32_e64 v4, s[30:31], 0, -1, s[30:31]
	v_cmp_ne_u32_e64 s[30:31], 0, v2
	v_lshlrev_b32_e32 v20, 30, v1
	v_xor_b32_e32 v2, s31, v4
	v_xor_b32_e32 v3, s30, v3
	v_cmp_gt_i64_e64 s[30:31], 0, v[19:20]
	v_not_b32_e32 v4, v20
	v_ashrrev_i32_e32 v4, 31, v4
	v_and_b32_e32 v3, exec_lo, v3
	v_xor_b32_e32 v12, s31, v4
	v_xor_b32_e32 v4, s30, v4
	v_lshlrev_b32_e32 v20, 29, v1
	v_and_b32_e32 v3, v3, v4
	v_cmp_gt_i64_e64 s[30:31], 0, v[19:20]
	v_not_b32_e32 v4, v20
	v_and_b32_e32 v2, exec_hi, v2
	v_ashrrev_i32_e32 v4, 31, v4
	v_and_b32_e32 v2, v2, v12
	v_xor_b32_e32 v12, s31, v4
	v_xor_b32_e32 v4, s30, v4
	v_lshlrev_b32_e32 v20, 28, v1
	v_and_b32_e32 v3, v3, v4
	v_cmp_gt_i64_e64 s[30:31], 0, v[19:20]
	v_not_b32_e32 v4, v20
	v_ashrrev_i32_e32 v4, 31, v4
	v_and_b32_e32 v2, v2, v12
	v_xor_b32_e32 v12, s31, v4
	v_xor_b32_e32 v4, s30, v4
	v_lshlrev_b32_e32 v20, 27, v1
	v_and_b32_e32 v3, v3, v4
	v_cmp_gt_i64_e64 s[30:31], 0, v[19:20]
	v_not_b32_e32 v4, v20
	;; [unrolled: 8-line block ×4, first 2 shown]
	v_ashrrev_i32_e32 v4, 31, v4
	v_lshlrev_b32_e32 v20, 24, v1
	v_and_b32_e32 v2, v2, v12
	v_xor_b32_e32 v12, s31, v4
	v_xor_b32_e32 v4, s30, v4
	v_cmp_gt_i64_e64 s[30:31], 0, v[19:20]
	v_not_b32_e32 v1, v20
	v_ashrrev_i32_e32 v1, 31, v1
	v_and_b32_e32 v3, v3, v4
	v_xor_b32_e32 v4, s31, v1
	v_xor_b32_e32 v1, s30, v1
	; wave barrier
	ds_read_b32 v10, v11 offset:32
	v_and_b32_e32 v2, v2, v12
	v_and_b32_e32 v1, v3, v1
	;; [unrolled: 1-line block ×3, first 2 shown]
	v_mbcnt_lo_u32_b32 v3, v1, 0
	v_mbcnt_hi_u32_b32 v12, v2, v3
	v_cmp_ne_u64_e64 s[30:31], 0, v[1:2]
	v_cmp_eq_u32_e64 s[34:35], 0, v12
	s_and_b64 s[34:35], s[34:35], s[30:31]
	; wave barrier
	s_and_saveexec_b64 s[30:31], s[34:35]
	s_cbranch_execz .LBB382_10
; %bb.9:                                ;   in Loop: Header=BB382_4 Depth=2
	v_bcnt_u32_b32 v1, v1, 0
	v_bcnt_u32_b32 v1, v2, v1
	s_waitcnt lgkmcnt(0)
	v_add_u32_e32 v1, v10, v1
	ds_write_b32 v11, v1 offset:32
.LBB382_10:                             ;   in Loop: Header=BB382_4 Depth=2
	s_or_b64 exec, exec, s[30:31]
	v_lshrrev_b32_e32 v2, s45, v31
	v_lshrrev_b32_e32 v1, s37, v32
	v_and_b32_e32 v2, s46, v2
	v_and_b32_e32 v1, s44, v1
	v_lshlrev_b32_e32 v2, s40, v2
	v_cndmask_b32_e64 v1, 0, v1, s[28:29]
	v_cndmask_b32_e32 v2, 0, v2, vcc
	v_or_b32_e32 v1, v1, v2
	v_lshlrev_b32_e32 v2, 5, v1
	v_add_u32_e32 v14, v46, v2
	v_and_b32_e32 v2, 1, v1
	v_add_co_u32_e64 v3, s[30:31], -1, v2
	v_addc_co_u32_e64 v4, s[30:31], 0, -1, s[30:31]
	v_cmp_ne_u32_e64 s[30:31], 0, v2
	v_lshlrev_b32_e32 v20, 30, v1
	v_xor_b32_e32 v2, s31, v4
	v_xor_b32_e32 v3, s30, v3
	v_cmp_gt_i64_e64 s[30:31], 0, v[19:20]
	v_not_b32_e32 v4, v20
	v_ashrrev_i32_e32 v4, 31, v4
	v_and_b32_e32 v3, exec_lo, v3
	v_xor_b32_e32 v15, s31, v4
	v_xor_b32_e32 v4, s30, v4
	v_lshlrev_b32_e32 v20, 29, v1
	v_and_b32_e32 v3, v3, v4
	v_cmp_gt_i64_e64 s[30:31], 0, v[19:20]
	v_not_b32_e32 v4, v20
	v_and_b32_e32 v2, exec_hi, v2
	v_ashrrev_i32_e32 v4, 31, v4
	v_and_b32_e32 v2, v2, v15
	v_xor_b32_e32 v15, s31, v4
	v_xor_b32_e32 v4, s30, v4
	v_lshlrev_b32_e32 v20, 28, v1
	v_and_b32_e32 v3, v3, v4
	v_cmp_gt_i64_e64 s[30:31], 0, v[19:20]
	v_not_b32_e32 v4, v20
	v_ashrrev_i32_e32 v4, 31, v4
	v_and_b32_e32 v2, v2, v15
	v_xor_b32_e32 v15, s31, v4
	v_xor_b32_e32 v4, s30, v4
	v_lshlrev_b32_e32 v20, 27, v1
	v_and_b32_e32 v3, v3, v4
	v_cmp_gt_i64_e64 s[30:31], 0, v[19:20]
	v_not_b32_e32 v4, v20
	;; [unrolled: 8-line block ×4, first 2 shown]
	v_ashrrev_i32_e32 v4, 31, v4
	v_lshlrev_b32_e32 v20, 24, v1
	v_and_b32_e32 v2, v2, v15
	v_xor_b32_e32 v15, s31, v4
	v_xor_b32_e32 v4, s30, v4
	v_cmp_gt_i64_e64 s[30:31], 0, v[19:20]
	v_not_b32_e32 v1, v20
	v_ashrrev_i32_e32 v1, 31, v1
	v_and_b32_e32 v3, v3, v4
	v_xor_b32_e32 v4, s31, v1
	v_xor_b32_e32 v1, s30, v1
	; wave barrier
	ds_read_b32 v13, v14 offset:32
	v_and_b32_e32 v2, v2, v15
	v_and_b32_e32 v1, v3, v1
	;; [unrolled: 1-line block ×3, first 2 shown]
	v_mbcnt_lo_u32_b32 v3, v1, 0
	v_mbcnt_hi_u32_b32 v15, v2, v3
	v_cmp_ne_u64_e64 s[30:31], 0, v[1:2]
	v_cmp_eq_u32_e64 s[34:35], 0, v15
	s_and_b64 s[34:35], s[34:35], s[30:31]
	; wave barrier
	s_and_saveexec_b64 s[30:31], s[34:35]
	s_cbranch_execz .LBB382_12
; %bb.11:                               ;   in Loop: Header=BB382_4 Depth=2
	v_bcnt_u32_b32 v1, v1, 0
	v_bcnt_u32_b32 v1, v2, v1
	s_waitcnt lgkmcnt(0)
	v_add_u32_e32 v1, v13, v1
	ds_write_b32 v14, v1 offset:32
.LBB382_12:                             ;   in Loop: Header=BB382_4 Depth=2
	s_or_b64 exec, exec, s[30:31]
	v_lshrrev_b32_e32 v2, s45, v29
	v_lshrrev_b32_e32 v1, s37, v30
	v_and_b32_e32 v2, s46, v2
	v_and_b32_e32 v1, s44, v1
	v_lshlrev_b32_e32 v2, s40, v2
	v_cndmask_b32_e64 v1, 0, v1, s[28:29]
	v_cndmask_b32_e32 v2, 0, v2, vcc
	v_or_b32_e32 v1, v1, v2
	v_lshlrev_b32_e32 v2, 5, v1
	v_add_u32_e32 v48, v46, v2
	v_and_b32_e32 v2, 1, v1
	v_add_co_u32_e64 v3, s[30:31], -1, v2
	v_addc_co_u32_e64 v4, s[30:31], 0, -1, s[30:31]
	v_cmp_ne_u32_e64 s[30:31], 0, v2
	v_lshlrev_b32_e32 v20, 30, v1
	v_xor_b32_e32 v2, s31, v4
	v_xor_b32_e32 v3, s30, v3
	v_cmp_gt_i64_e64 s[30:31], 0, v[19:20]
	v_not_b32_e32 v4, v20
	v_ashrrev_i32_e32 v4, 31, v4
	v_and_b32_e32 v2, exec_hi, v2
	v_xor_b32_e32 v20, s31, v4
	v_and_b32_e32 v3, exec_lo, v3
	v_xor_b32_e32 v4, s30, v4
	v_and_b32_e32 v2, v2, v20
	v_lshlrev_b32_e32 v20, 29, v1
	v_and_b32_e32 v3, v3, v4
	v_cmp_gt_i64_e64 s[30:31], 0, v[19:20]
	v_not_b32_e32 v4, v20
	v_ashrrev_i32_e32 v4, 31, v4
	v_xor_b32_e32 v20, s31, v4
	v_xor_b32_e32 v4, s30, v4
	v_and_b32_e32 v2, v2, v20
	v_lshlrev_b32_e32 v20, 28, v1
	v_and_b32_e32 v3, v3, v4
	v_cmp_gt_i64_e64 s[30:31], 0, v[19:20]
	v_not_b32_e32 v4, v20
	v_ashrrev_i32_e32 v4, 31, v4
	v_xor_b32_e32 v20, s31, v4
	v_xor_b32_e32 v4, s30, v4
	v_and_b32_e32 v2, v2, v20
	v_lshlrev_b32_e32 v20, 27, v1
	v_and_b32_e32 v3, v3, v4
	v_cmp_gt_i64_e64 s[30:31], 0, v[19:20]
	v_not_b32_e32 v4, v20
	v_ashrrev_i32_e32 v4, 31, v4
	v_xor_b32_e32 v20, s31, v4
	v_xor_b32_e32 v4, s30, v4
	v_and_b32_e32 v2, v2, v20
	v_lshlrev_b32_e32 v20, 26, v1
	v_and_b32_e32 v3, v3, v4
	v_cmp_gt_i64_e64 s[30:31], 0, v[19:20]
	v_not_b32_e32 v4, v20
	v_ashrrev_i32_e32 v4, 31, v4
	v_xor_b32_e32 v20, s31, v4
	v_xor_b32_e32 v4, s30, v4
	v_and_b32_e32 v2, v2, v20
	v_lshlrev_b32_e32 v20, 25, v1
	v_and_b32_e32 v3, v3, v4
	v_cmp_gt_i64_e64 s[30:31], 0, v[19:20]
	v_not_b32_e32 v4, v20
	v_ashrrev_i32_e32 v4, 31, v4
	v_xor_b32_e32 v20, s31, v4
	v_and_b32_e32 v2, v2, v20
	v_lshlrev_b32_e32 v20, 24, v1
	v_xor_b32_e32 v4, s30, v4
	v_cmp_gt_i64_e64 s[30:31], 0, v[19:20]
	v_not_b32_e32 v1, v20
	v_ashrrev_i32_e32 v1, 31, v1
	v_and_b32_e32 v3, v3, v4
	v_xor_b32_e32 v4, s31, v1
	v_xor_b32_e32 v1, s30, v1
	; wave barrier
	ds_read_b32 v16, v48 offset:32
	v_and_b32_e32 v1, v3, v1
	v_and_b32_e32 v2, v2, v4
	v_mbcnt_lo_u32_b32 v3, v1, 0
	v_mbcnt_hi_u32_b32 v49, v2, v3
	v_cmp_ne_u64_e64 s[30:31], 0, v[1:2]
	v_cmp_eq_u32_e64 s[34:35], 0, v49
	s_and_b64 s[34:35], s[34:35], s[30:31]
	; wave barrier
	s_and_saveexec_b64 s[30:31], s[34:35]
	s_cbranch_execz .LBB382_14
; %bb.13:                               ;   in Loop: Header=BB382_4 Depth=2
	v_bcnt_u32_b32 v1, v1, 0
	v_bcnt_u32_b32 v1, v2, v1
	s_waitcnt lgkmcnt(0)
	v_add_u32_e32 v1, v16, v1
	ds_write_b32 v48, v1 offset:32
.LBB382_14:                             ;   in Loop: Header=BB382_4 Depth=2
	s_or_b64 exec, exec, s[30:31]
	v_lshrrev_b32_e32 v2, s45, v27
	v_lshrrev_b32_e32 v1, s37, v28
	v_and_b32_e32 v2, s46, v2
	v_and_b32_e32 v1, s44, v1
	v_lshlrev_b32_e32 v2, s40, v2
	v_cndmask_b32_e64 v1, 0, v1, s[28:29]
	v_cndmask_b32_e32 v2, 0, v2, vcc
	v_or_b32_e32 v1, v1, v2
	v_lshlrev_b32_e32 v2, 5, v1
	v_add_u32_e32 v51, v46, v2
	v_and_b32_e32 v2, 1, v1
	v_add_co_u32_e64 v3, s[30:31], -1, v2
	v_addc_co_u32_e64 v4, s[30:31], 0, -1, s[30:31]
	v_cmp_ne_u32_e64 s[30:31], 0, v2
	v_lshlrev_b32_e32 v20, 30, v1
	v_xor_b32_e32 v2, s31, v4
	v_xor_b32_e32 v3, s30, v3
	v_cmp_gt_i64_e64 s[30:31], 0, v[19:20]
	v_not_b32_e32 v4, v20
	v_ashrrev_i32_e32 v4, 31, v4
	v_and_b32_e32 v2, exec_hi, v2
	v_xor_b32_e32 v20, s31, v4
	v_and_b32_e32 v3, exec_lo, v3
	v_xor_b32_e32 v4, s30, v4
	v_and_b32_e32 v2, v2, v20
	v_lshlrev_b32_e32 v20, 29, v1
	v_and_b32_e32 v3, v3, v4
	v_cmp_gt_i64_e64 s[30:31], 0, v[19:20]
	v_not_b32_e32 v4, v20
	v_ashrrev_i32_e32 v4, 31, v4
	v_xor_b32_e32 v20, s31, v4
	v_xor_b32_e32 v4, s30, v4
	v_and_b32_e32 v2, v2, v20
	v_lshlrev_b32_e32 v20, 28, v1
	v_and_b32_e32 v3, v3, v4
	v_cmp_gt_i64_e64 s[30:31], 0, v[19:20]
	v_not_b32_e32 v4, v20
	v_ashrrev_i32_e32 v4, 31, v4
	v_xor_b32_e32 v20, s31, v4
	v_xor_b32_e32 v4, s30, v4
	v_and_b32_e32 v2, v2, v20
	v_lshlrev_b32_e32 v20, 27, v1
	v_and_b32_e32 v3, v3, v4
	v_cmp_gt_i64_e64 s[30:31], 0, v[19:20]
	v_not_b32_e32 v4, v20
	v_ashrrev_i32_e32 v4, 31, v4
	v_xor_b32_e32 v20, s31, v4
	v_xor_b32_e32 v4, s30, v4
	v_and_b32_e32 v2, v2, v20
	v_lshlrev_b32_e32 v20, 26, v1
	v_and_b32_e32 v3, v3, v4
	v_cmp_gt_i64_e64 s[30:31], 0, v[19:20]
	v_not_b32_e32 v4, v20
	v_ashrrev_i32_e32 v4, 31, v4
	v_xor_b32_e32 v20, s31, v4
	v_xor_b32_e32 v4, s30, v4
	v_and_b32_e32 v2, v2, v20
	v_lshlrev_b32_e32 v20, 25, v1
	v_and_b32_e32 v3, v3, v4
	v_cmp_gt_i64_e64 s[30:31], 0, v[19:20]
	v_not_b32_e32 v4, v20
	v_ashrrev_i32_e32 v4, 31, v4
	v_xor_b32_e32 v20, s31, v4
	v_and_b32_e32 v2, v2, v20
	v_lshlrev_b32_e32 v20, 24, v1
	v_xor_b32_e32 v4, s30, v4
	v_cmp_gt_i64_e64 s[30:31], 0, v[19:20]
	v_not_b32_e32 v1, v20
	v_ashrrev_i32_e32 v1, 31, v1
	v_and_b32_e32 v3, v3, v4
	v_xor_b32_e32 v4, s31, v1
	v_xor_b32_e32 v1, s30, v1
	; wave barrier
	ds_read_b32 v50, v51 offset:32
	v_and_b32_e32 v1, v3, v1
	v_and_b32_e32 v2, v2, v4
	v_mbcnt_lo_u32_b32 v3, v1, 0
	v_mbcnt_hi_u32_b32 v52, v2, v3
	v_cmp_ne_u64_e64 s[30:31], 0, v[1:2]
	v_cmp_eq_u32_e64 s[34:35], 0, v52
	s_and_b64 s[34:35], s[34:35], s[30:31]
	; wave barrier
	s_and_saveexec_b64 s[30:31], s[34:35]
	s_cbranch_execz .LBB382_16
; %bb.15:                               ;   in Loop: Header=BB382_4 Depth=2
	v_bcnt_u32_b32 v1, v1, 0
	v_bcnt_u32_b32 v1, v2, v1
	s_waitcnt lgkmcnt(0)
	v_add_u32_e32 v1, v50, v1
	ds_write_b32 v51, v1 offset:32
.LBB382_16:                             ;   in Loop: Header=BB382_4 Depth=2
	s_or_b64 exec, exec, s[30:31]
	v_lshrrev_b32_e32 v2, s45, v25
	v_lshrrev_b32_e32 v1, s37, v26
	v_and_b32_e32 v2, s46, v2
	v_and_b32_e32 v1, s44, v1
	v_lshlrev_b32_e32 v2, s40, v2
	v_cndmask_b32_e64 v1, 0, v1, s[28:29]
	v_cndmask_b32_e32 v2, 0, v2, vcc
	v_or_b32_e32 v1, v1, v2
	v_lshlrev_b32_e32 v2, 5, v1
	v_add_u32_e32 v54, v46, v2
	v_and_b32_e32 v2, 1, v1
	v_add_co_u32_e64 v3, s[30:31], -1, v2
	v_addc_co_u32_e64 v4, s[30:31], 0, -1, s[30:31]
	v_cmp_ne_u32_e64 s[30:31], 0, v2
	v_lshlrev_b32_e32 v20, 30, v1
	v_xor_b32_e32 v2, s31, v4
	v_xor_b32_e32 v3, s30, v3
	v_cmp_gt_i64_e64 s[30:31], 0, v[19:20]
	v_not_b32_e32 v4, v20
	v_ashrrev_i32_e32 v4, 31, v4
	v_and_b32_e32 v2, exec_hi, v2
	v_xor_b32_e32 v20, s31, v4
	v_and_b32_e32 v3, exec_lo, v3
	v_xor_b32_e32 v4, s30, v4
	v_and_b32_e32 v2, v2, v20
	v_lshlrev_b32_e32 v20, 29, v1
	v_and_b32_e32 v3, v3, v4
	v_cmp_gt_i64_e64 s[30:31], 0, v[19:20]
	v_not_b32_e32 v4, v20
	v_ashrrev_i32_e32 v4, 31, v4
	v_xor_b32_e32 v20, s31, v4
	v_xor_b32_e32 v4, s30, v4
	v_and_b32_e32 v2, v2, v20
	v_lshlrev_b32_e32 v20, 28, v1
	v_and_b32_e32 v3, v3, v4
	v_cmp_gt_i64_e64 s[30:31], 0, v[19:20]
	v_not_b32_e32 v4, v20
	v_ashrrev_i32_e32 v4, 31, v4
	v_xor_b32_e32 v20, s31, v4
	;; [unrolled: 8-line block ×5, first 2 shown]
	v_and_b32_e32 v2, v2, v20
	v_lshlrev_b32_e32 v20, 24, v1
	v_xor_b32_e32 v4, s30, v4
	v_cmp_gt_i64_e64 s[30:31], 0, v[19:20]
	v_not_b32_e32 v1, v20
	v_ashrrev_i32_e32 v1, 31, v1
	v_and_b32_e32 v3, v3, v4
	v_xor_b32_e32 v4, s31, v1
	v_xor_b32_e32 v1, s30, v1
	; wave barrier
	ds_read_b32 v53, v54 offset:32
	v_and_b32_e32 v1, v3, v1
	v_and_b32_e32 v2, v2, v4
	v_mbcnt_lo_u32_b32 v3, v1, 0
	v_mbcnt_hi_u32_b32 v55, v2, v3
	v_cmp_ne_u64_e64 s[30:31], 0, v[1:2]
	v_cmp_eq_u32_e64 s[34:35], 0, v55
	s_and_b64 s[34:35], s[34:35], s[30:31]
	; wave barrier
	s_and_saveexec_b64 s[30:31], s[34:35]
	s_cbranch_execz .LBB382_18
; %bb.17:                               ;   in Loop: Header=BB382_4 Depth=2
	v_bcnt_u32_b32 v1, v1, 0
	v_bcnt_u32_b32 v1, v2, v1
	s_waitcnt lgkmcnt(0)
	v_add_u32_e32 v1, v53, v1
	ds_write_b32 v54, v1 offset:32
.LBB382_18:                             ;   in Loop: Header=BB382_4 Depth=2
	s_or_b64 exec, exec, s[30:31]
	v_lshrrev_b32_e32 v2, s45, v17
	v_lshrrev_b32_e32 v1, s37, v18
	v_and_b32_e32 v2, s46, v2
	v_and_b32_e32 v1, s44, v1
	v_lshlrev_b32_e32 v2, s40, v2
	v_cndmask_b32_e64 v1, 0, v1, s[28:29]
	v_cndmask_b32_e32 v2, 0, v2, vcc
	v_or_b32_e32 v1, v1, v2
	v_lshlrev_b32_e32 v2, 5, v1
	v_add_u32_e32 v57, v46, v2
	v_and_b32_e32 v2, 1, v1
	v_add_co_u32_e32 v3, vcc, -1, v2
	v_addc_co_u32_e64 v4, s[28:29], 0, -1, vcc
	v_cmp_ne_u32_e32 vcc, 0, v2
	v_lshlrev_b32_e32 v20, 30, v1
	v_xor_b32_e32 v2, vcc_hi, v4
	v_xor_b32_e32 v3, vcc_lo, v3
	v_cmp_gt_i64_e32 vcc, 0, v[19:20]
	v_not_b32_e32 v4, v20
	v_ashrrev_i32_e32 v4, 31, v4
	v_and_b32_e32 v2, exec_hi, v2
	v_xor_b32_e32 v20, vcc_hi, v4
	v_and_b32_e32 v3, exec_lo, v3
	v_xor_b32_e32 v4, vcc_lo, v4
	v_and_b32_e32 v2, v2, v20
	v_lshlrev_b32_e32 v20, 29, v1
	v_and_b32_e32 v3, v3, v4
	v_cmp_gt_i64_e32 vcc, 0, v[19:20]
	v_not_b32_e32 v4, v20
	v_ashrrev_i32_e32 v4, 31, v4
	v_xor_b32_e32 v20, vcc_hi, v4
	v_xor_b32_e32 v4, vcc_lo, v4
	v_and_b32_e32 v2, v2, v20
	v_lshlrev_b32_e32 v20, 28, v1
	v_and_b32_e32 v3, v3, v4
	v_cmp_gt_i64_e32 vcc, 0, v[19:20]
	v_not_b32_e32 v4, v20
	v_ashrrev_i32_e32 v4, 31, v4
	v_xor_b32_e32 v20, vcc_hi, v4
	;; [unrolled: 8-line block ×5, first 2 shown]
	v_and_b32_e32 v2, v2, v20
	v_lshlrev_b32_e32 v20, 24, v1
	v_xor_b32_e32 v4, vcc_lo, v4
	v_cmp_gt_i64_e32 vcc, 0, v[19:20]
	v_not_b32_e32 v1, v20
	v_ashrrev_i32_e32 v1, 31, v1
	v_and_b32_e32 v3, v3, v4
	v_xor_b32_e32 v4, vcc_hi, v1
	v_xor_b32_e32 v1, vcc_lo, v1
	; wave barrier
	ds_read_b32 v56, v57 offset:32
	v_and_b32_e32 v1, v3, v1
	v_and_b32_e32 v2, v2, v4
	v_mbcnt_lo_u32_b32 v3, v1, 0
	v_mbcnt_hi_u32_b32 v20, v2, v3
	v_cmp_ne_u64_e32 vcc, 0, v[1:2]
	v_cmp_eq_u32_e64 s[28:29], 0, v20
	s_and_b64 s[30:31], s[28:29], vcc
	; wave barrier
	s_and_saveexec_b64 s[28:29], s[30:31]
	s_cbranch_execz .LBB382_20
; %bb.19:                               ;   in Loop: Header=BB382_4 Depth=2
	v_bcnt_u32_b32 v1, v1, 0
	v_bcnt_u32_b32 v1, v2, v1
	s_waitcnt lgkmcnt(0)
	v_add_u32_e32 v1, v56, v1
	ds_write_b32 v57, v1 offset:32
.LBB382_20:                             ;   in Loop: Header=BB382_4 Depth=2
	s_or_b64 exec, exec, s[28:29]
	; wave barrier
	s_waitcnt lgkmcnt(0)
	s_barrier
	ds_read2_b64 v[1:4], v41 offset0:4 offset1:5
	s_waitcnt lgkmcnt(0)
	v_add_u32_e32 v58, v2, v1
	v_add3_u32 v4, v58, v3, v4
	s_nop 1
	v_mov_b32_dpp v58, v4 row_shr:1 row_mask:0xf bank_mask:0xf
	v_cndmask_b32_e64 v58, v58, 0, s[0:1]
	v_add_u32_e32 v4, v58, v4
	s_nop 1
	v_mov_b32_dpp v58, v4 row_shr:2 row_mask:0xf bank_mask:0xf
	v_cndmask_b32_e64 v58, 0, v58, s[2:3]
	v_add_u32_e32 v4, v4, v58
	;; [unrolled: 4-line block ×4, first 2 shown]
	s_nop 1
	v_mov_b32_dpp v58, v4 row_bcast:15 row_mask:0xf bank_mask:0xf
	v_cndmask_b32_e64 v58, v58, 0, s[8:9]
	v_add_u32_e32 v4, v4, v58
	s_nop 1
	v_mov_b32_dpp v58, v4 row_bcast:31 row_mask:0xf bank_mask:0xf
	v_cndmask_b32_e64 v58, 0, v58, s[10:11]
	v_add_u32_e32 v4, v4, v58
	s_and_saveexec_b64 s[28:29], s[12:13]
; %bb.21:                               ;   in Loop: Header=BB382_4 Depth=2
	ds_write_b32 v43, v4
; %bb.22:                               ;   in Loop: Header=BB382_4 Depth=2
	s_or_b64 exec, exec, s[28:29]
	s_waitcnt lgkmcnt(0)
	s_barrier
	s_and_saveexec_b64 s[28:29], s[14:15]
	s_cbranch_execz .LBB382_24
; %bb.23:                               ;   in Loop: Header=BB382_4 Depth=2
	ds_read_b32 v58, v44
	s_waitcnt lgkmcnt(0)
	s_nop 0
	v_mov_b32_dpp v59, v58 row_shr:1 row_mask:0xf bank_mask:0xf
	v_cndmask_b32_e64 v59, v59, 0, s[22:23]
	v_add_u32_e32 v58, v59, v58
	s_nop 1
	v_mov_b32_dpp v59, v58 row_shr:2 row_mask:0xf bank_mask:0xf
	v_cndmask_b32_e64 v59, 0, v59, s[24:25]
	v_add_u32_e32 v58, v58, v59
	;; [unrolled: 4-line block ×3, first 2 shown]
	ds_write_b32 v44, v58
.LBB382_24:                             ;   in Loop: Header=BB382_4 Depth=2
	s_or_b64 exec, exec, s[28:29]
	v_mov_b32_e32 v58, 0
	s_waitcnt lgkmcnt(0)
	s_barrier
	s_and_saveexec_b64 s[28:29], s[16:17]
; %bb.25:                               ;   in Loop: Header=BB382_4 Depth=2
	ds_read_b32 v58, v45
; %bb.26:                               ;   in Loop: Header=BB382_4 Depth=2
	s_or_b64 exec, exec, s[28:29]
	s_waitcnt lgkmcnt(0)
	v_add_u32_e32 v4, v58, v4
	ds_bpermute_b32 v4, v42, v4
	v_lshlrev_b32_e32 v5, 3, v5
	s_cmp_gt_u32 s37, 55
	s_mov_b64 s[28:29], -1
	s_waitcnt lgkmcnt(0)
	v_cndmask_b32_e64 v4, v4, v58, s[18:19]
	v_cndmask_b32_e64 v58, v4, 0, s[20:21]
	v_add_u32_e32 v59, v58, v1
	v_add_u32_e32 v1, v59, v2
	;; [unrolled: 1-line block ×3, first 2 shown]
	ds_write2_b64 v41, v[58:59], v[1:2] offset0:4 offset1:5
	s_waitcnt lgkmcnt(0)
	s_barrier
	ds_read_b32 v1, v6 offset:32
	ds_read_b32 v2, v8 offset:32
	;; [unrolled: 1-line block ×8, first 2 shown]
	s_waitcnt lgkmcnt(7)
	v_lshl_add_u32 v48, v1, 3, v5
	v_lshlrev_b32_e32 v1, 3, v9
	v_lshlrev_b32_e32 v5, 3, v7
	s_waitcnt lgkmcnt(6)
	v_lshlrev_b32_e32 v2, 3, v2
	v_add3_u32 v51, v1, v5, v2
	v_lshlrev_b32_e32 v1, 3, v12
	v_lshlrev_b32_e32 v2, 3, v10
	s_waitcnt lgkmcnt(5)
	v_lshlrev_b32_e32 v3, 3, v3
	v_add3_u32 v54, v1, v2, v3
	;; [unrolled: 5-line block ×7, first 2 shown]
                                        ; implicit-def: $vgpr1_vgpr2
                                        ; implicit-def: $vgpr5_vgpr6
                                        ; implicit-def: $vgpr9_vgpr10
                                        ; implicit-def: $vgpr13_vgpr14
	s_cbranch_scc1 .LBB382_3
; %bb.27:                               ;   in Loop: Header=BB382_4 Depth=2
	s_barrier
	ds_write_b64 v48, v[37:38]
	ds_write_b64 v51, v[35:36]
	ds_write_b64 v54, v[33:34]
	ds_write_b64 v57, v[31:32]
	ds_write_b64 v49, v[29:30]
	ds_write_b64 v50, v[27:28]
	ds_write_b64 v52, v[25:26]
	ds_write_b64 v20, v[17:18]
	s_waitcnt lgkmcnt(0)
	s_barrier
	ds_read2st64_b64 v[1:4], v40 offset1:1
	ds_read2st64_b64 v[5:8], v40 offset0:2 offset1:3
	ds_read2st64_b64 v[9:12], v40 offset0:4 offset1:5
	;; [unrolled: 1-line block ×3, first 2 shown]
	s_add_i32 s36, s36, -8
	s_add_i32 s33, s33, 8
	s_add_i32 s37, s37, 8
	s_mov_b64 s[28:29], 0
	s_waitcnt lgkmcnt(0)
	s_barrier
	s_branch .LBB382_3
.LBB382_28:
	s_add_u32 s0, s38, s42
	s_addc_u32 s1, s39, s43
	v_lshlrev_b32_e32 v0, 3, v0
	v_mov_b32_e32 v1, s1
	v_add_co_u32_e32 v2, vcc, s0, v0
	v_addc_co_u32_e32 v19, vcc, 0, v1, vcc
	global_store_dwordx2 v0, v[15:16], s[0:1]
	v_add_co_u32_e32 v0, vcc, 0x1000, v2
	v_addc_co_u32_e32 v1, vcc, 0, v19, vcc
	global_store_dwordx2 v[0:1], v[17:18], off
	v_add_co_u32_e32 v0, vcc, 0x2000, v2
	v_addc_co_u32_e32 v1, vcc, 0, v19, vcc
	global_store_dwordx2 v[0:1], v[11:12], off
	;; [unrolled: 3-line block ×7, first 2 shown]
	s_endpgm
	.section	.rodata,"a",@progbits
	.p2align	6, 0x0
	.amdhsa_kernel _Z16sort_keys_kernelI22helper_blocked_stripedN15benchmark_utils11custom_typeIiiEELj512ELj8ELj10EEvPKT0_PS4_
		.amdhsa_group_segment_fixed_size 32768
		.amdhsa_private_segment_fixed_size 0
		.amdhsa_kernarg_size 272
		.amdhsa_user_sgpr_count 6
		.amdhsa_user_sgpr_private_segment_buffer 1
		.amdhsa_user_sgpr_dispatch_ptr 0
		.amdhsa_user_sgpr_queue_ptr 0
		.amdhsa_user_sgpr_kernarg_segment_ptr 1
		.amdhsa_user_sgpr_dispatch_id 0
		.amdhsa_user_sgpr_flat_scratch_init 0
		.amdhsa_user_sgpr_private_segment_size 0
		.amdhsa_uses_dynamic_stack 0
		.amdhsa_system_sgpr_private_segment_wavefront_offset 0
		.amdhsa_system_sgpr_workgroup_id_x 1
		.amdhsa_system_sgpr_workgroup_id_y 0
		.amdhsa_system_sgpr_workgroup_id_z 0
		.amdhsa_system_sgpr_workgroup_info 0
		.amdhsa_system_vgpr_workitem_id 2
		.amdhsa_next_free_vgpr 60
		.amdhsa_next_free_sgpr 98
		.amdhsa_reserve_vcc 1
		.amdhsa_reserve_flat_scratch 0
		.amdhsa_float_round_mode_32 0
		.amdhsa_float_round_mode_16_64 0
		.amdhsa_float_denorm_mode_32 3
		.amdhsa_float_denorm_mode_16_64 3
		.amdhsa_dx10_clamp 1
		.amdhsa_ieee_mode 1
		.amdhsa_fp16_overflow 0
		.amdhsa_exception_fp_ieee_invalid_op 0
		.amdhsa_exception_fp_denorm_src 0
		.amdhsa_exception_fp_ieee_div_zero 0
		.amdhsa_exception_fp_ieee_overflow 0
		.amdhsa_exception_fp_ieee_underflow 0
		.amdhsa_exception_fp_ieee_inexact 0
		.amdhsa_exception_int_div_zero 0
	.end_amdhsa_kernel
	.section	.text._Z16sort_keys_kernelI22helper_blocked_stripedN15benchmark_utils11custom_typeIiiEELj512ELj8ELj10EEvPKT0_PS4_,"axG",@progbits,_Z16sort_keys_kernelI22helper_blocked_stripedN15benchmark_utils11custom_typeIiiEELj512ELj8ELj10EEvPKT0_PS4_,comdat
.Lfunc_end382:
	.size	_Z16sort_keys_kernelI22helper_blocked_stripedN15benchmark_utils11custom_typeIiiEELj512ELj8ELj10EEvPKT0_PS4_, .Lfunc_end382-_Z16sort_keys_kernelI22helper_blocked_stripedN15benchmark_utils11custom_typeIiiEELj512ELj8ELj10EEvPKT0_PS4_
                                        ; -- End function
	.set _Z16sort_keys_kernelI22helper_blocked_stripedN15benchmark_utils11custom_typeIiiEELj512ELj8ELj10EEvPKT0_PS4_.num_vgpr, 60
	.set _Z16sort_keys_kernelI22helper_blocked_stripedN15benchmark_utils11custom_typeIiiEELj512ELj8ELj10EEvPKT0_PS4_.num_agpr, 0
	.set _Z16sort_keys_kernelI22helper_blocked_stripedN15benchmark_utils11custom_typeIiiEELj512ELj8ELj10EEvPKT0_PS4_.numbered_sgpr, 47
	.set _Z16sort_keys_kernelI22helper_blocked_stripedN15benchmark_utils11custom_typeIiiEELj512ELj8ELj10EEvPKT0_PS4_.num_named_barrier, 0
	.set _Z16sort_keys_kernelI22helper_blocked_stripedN15benchmark_utils11custom_typeIiiEELj512ELj8ELj10EEvPKT0_PS4_.private_seg_size, 0
	.set _Z16sort_keys_kernelI22helper_blocked_stripedN15benchmark_utils11custom_typeIiiEELj512ELj8ELj10EEvPKT0_PS4_.uses_vcc, 1
	.set _Z16sort_keys_kernelI22helper_blocked_stripedN15benchmark_utils11custom_typeIiiEELj512ELj8ELj10EEvPKT0_PS4_.uses_flat_scratch, 0
	.set _Z16sort_keys_kernelI22helper_blocked_stripedN15benchmark_utils11custom_typeIiiEELj512ELj8ELj10EEvPKT0_PS4_.has_dyn_sized_stack, 0
	.set _Z16sort_keys_kernelI22helper_blocked_stripedN15benchmark_utils11custom_typeIiiEELj512ELj8ELj10EEvPKT0_PS4_.has_recursion, 0
	.set _Z16sort_keys_kernelI22helper_blocked_stripedN15benchmark_utils11custom_typeIiiEELj512ELj8ELj10EEvPKT0_PS4_.has_indirect_call, 0
	.section	.AMDGPU.csdata,"",@progbits
; Kernel info:
; codeLenInByte = 5380
; TotalNumSgprs: 51
; NumVgprs: 60
; ScratchSize: 0
; MemoryBound: 0
; FloatMode: 240
; IeeeMode: 1
; LDSByteSize: 32768 bytes/workgroup (compile time only)
; SGPRBlocks: 12
; VGPRBlocks: 14
; NumSGPRsForWavesPerEU: 102
; NumVGPRsForWavesPerEU: 60
; Occupancy: 4
; WaveLimiterHint : 1
; COMPUTE_PGM_RSRC2:SCRATCH_EN: 0
; COMPUTE_PGM_RSRC2:USER_SGPR: 6
; COMPUTE_PGM_RSRC2:TRAP_HANDLER: 0
; COMPUTE_PGM_RSRC2:TGID_X_EN: 1
; COMPUTE_PGM_RSRC2:TGID_Y_EN: 0
; COMPUTE_PGM_RSRC2:TGID_Z_EN: 0
; COMPUTE_PGM_RSRC2:TIDIG_COMP_CNT: 2
	.section	.text._Z17sort_pairs_kernelI22helper_blocked_stripedN15benchmark_utils11custom_typeIiiEELj512ELj8ELj10EEvPKT0_PS4_,"axG",@progbits,_Z17sort_pairs_kernelI22helper_blocked_stripedN15benchmark_utils11custom_typeIiiEELj512ELj8ELj10EEvPKT0_PS4_,comdat
	.protected	_Z17sort_pairs_kernelI22helper_blocked_stripedN15benchmark_utils11custom_typeIiiEELj512ELj8ELj10EEvPKT0_PS4_ ; -- Begin function _Z17sort_pairs_kernelI22helper_blocked_stripedN15benchmark_utils11custom_typeIiiEELj512ELj8ELj10EEvPKT0_PS4_
	.globl	_Z17sort_pairs_kernelI22helper_blocked_stripedN15benchmark_utils11custom_typeIiiEELj512ELj8ELj10EEvPKT0_PS4_
	.p2align	8
	.type	_Z17sort_pairs_kernelI22helper_blocked_stripedN15benchmark_utils11custom_typeIiiEELj512ELj8ELj10EEvPKT0_PS4_,@function
_Z17sort_pairs_kernelI22helper_blocked_stripedN15benchmark_utils11custom_typeIiiEELj512ELj8ELj10EEvPKT0_PS4_: ; @_Z17sort_pairs_kernelI22helper_blocked_stripedN15benchmark_utils11custom_typeIiiEELj512ELj8ELj10EEvPKT0_PS4_
; %bb.0:
	s_load_dwordx4 s[36:39], s[4:5], 0x0
	s_load_dword s28, s[4:5], 0x1c
	s_lshl_b32 s42, s6, 12
	s_mov_b32 s43, 0
	s_lshl_b64 s[40:41], s[42:43], 3
	s_waitcnt lgkmcnt(0)
	s_add_u32 s0, s36, s40
	s_addc_u32 s1, s37, s41
	v_lshlrev_b32_e32 v19, 6, v0
	global_load_dwordx4 v[3:6], v19, s[0:1]
	global_load_dwordx4 v[7:10], v19, s[0:1] offset:16
	global_load_dwordx4 v[11:14], v19, s[0:1] offset:32
	;; [unrolled: 1-line block ×3, first 2 shown]
	s_lshr_b32 s29, s28, 16
	s_and_b32 s28, s28, 0xffff
	v_mad_u32_u24 v1, v2, s29, v1
	v_mbcnt_lo_u32_b32 v20, -1, 0
	v_mad_u64_u32 v[1:2], s[28:29], v1, s28, v[0:1]
	v_mbcnt_hi_u32_b32 v20, -1, v20
	v_subrev_co_u32_e64 v26, s[8:9], 1, v20
	v_and_b32_e32 v27, 64, v20
	v_and_b32_e32 v21, 0x1c0, v0
	v_lshlrev_b32_e32 v67, 4, v0
	v_lshrrev_b32_e32 v22, 4, v0
	v_and_b32_e32 v19, 0x7000, v19
	v_cmp_lt_i32_e32 vcc, v26, v27
	v_lshlrev_b32_e32 v23, 2, v0
	v_add_lshl_u32 v68, v20, v21, 6
	v_and_b32_e32 v24, 15, v20
	v_and_b32_e32 v25, 16, v20
	v_or_b32_e32 v21, 63, v21
	v_and_b32_e32 v69, 28, v22
	v_mad_i32_i24 v70, v0, -12, v67
	v_and_b32_e32 v22, 7, v20
	v_lshl_or_b32 v71, v20, 3, v19
	v_cndmask_b32_e32 v19, v26, v20, vcc
	v_lshrrev_b32_e32 v1, 4, v1
	v_mov_b32_e32 v35, 0
	v_cmp_gt_u32_e64 s[0:1], 8, v0
	v_cmp_lt_u32_e64 s[2:3], 63, v0
	v_cmp_eq_u32_e64 s[4:5], 0, v0
	s_mov_b32 s36, s43
	s_mov_b32 s37, s43
	v_cmp_lt_u32_e64 s[6:7], 31, v20
	s_mov_b32 s42, s43
	v_cmp_eq_u32_e64 s[10:11], 0, v24
	v_cmp_lt_u32_e64 s[12:13], 1, v24
	v_cmp_lt_u32_e64 s[14:15], 3, v24
	v_cmp_lt_u32_e64 s[16:17], 7, v24
	v_cmp_eq_u32_e64 s[18:19], 0, v25
	v_cmp_eq_u32_e64 s[20:21], v0, v21
	;; [unrolled: 1-line block ×3, first 2 shown]
	v_cmp_lt_u32_e64 s[24:25], 1, v22
	v_cmp_lt_u32_e64 s[26:27], 3, v22
	v_add_u32_e32 v72, -4, v69
	v_add_u32_e32 v73, v70, v23
	v_lshlrev_b32_e32 v74, 2, v19
	v_and_b32_e32 v75, 0xffffffc, v1
	s_mov_b32 s33, s43
	s_waitcnt vmcnt(3)
	v_add_u32_e32 v20, 1, v4
	v_add_u32_e32 v19, 1, v3
	v_add_u32_e32 v22, 1, v6
	v_add_u32_e32 v21, 1, v5
	s_waitcnt vmcnt(2)
	v_add_u32_e32 v24, 1, v8
	v_add_u32_e32 v23, 1, v7
	v_add_u32_e32 v26, 1, v10
	v_add_u32_e32 v25, 1, v9
	;; [unrolled: 5-line block ×4, first 2 shown]
	s_branch .LBB383_2
.LBB383_1:                              ;   in Loop: Header=BB383_2 Depth=1
	s_barrier
	ds_write_b64 v36, v[65:66]
	ds_write_b64 v76, v[63:64]
	;; [unrolled: 1-line block ×8, first 2 shown]
	s_waitcnt lgkmcnt(0)
	s_barrier
	ds_read2st64_b64 v[3:6], v73 offset1:8
	ds_read2st64_b64 v[7:10], v73 offset0:16 offset1:24
	ds_read2st64_b64 v[11:14], v73 offset0:32 offset1:40
	;; [unrolled: 1-line block ×3, first 2 shown]
	s_waitcnt lgkmcnt(0)
	s_barrier
	ds_write_b64 v36, v[49:50]
	ds_write_b64 v76, v[47:48]
	;; [unrolled: 1-line block ×8, first 2 shown]
	s_waitcnt lgkmcnt(0)
	s_barrier
	ds_read2st64_b64 v[19:22], v73 offset1:8
	ds_read2st64_b64 v[23:26], v73 offset0:16 offset1:24
	ds_read2st64_b64 v[27:30], v73 offset0:32 offset1:40
	;; [unrolled: 1-line block ×3, first 2 shown]
	s_add_i32 s33, s33, 1
	v_xor_b32_e32 v3, 0x80000000, v3
	v_xor_b32_e32 v4, 0x80000000, v4
	;; [unrolled: 1-line block ×15, first 2 shown]
	s_cmp_lg_u32 s33, 10
	v_xor_b32_e32 v18, 0x80000000, v18
	s_cbranch_scc0 .LBB383_28
.LBB383_2:                              ; =>This Loop Header: Depth=1
                                        ;     Child Loop BB383_4 Depth 2
	v_xor_b32_e32 v2, 0x80000000, v4
	v_xor_b32_e32 v1, 0x80000000, v3
	;; [unrolled: 1-line block ×16, first 2 shown]
	ds_write2_b64 v68, v[1:2], v[3:4] offset1:1
	ds_write2_b64 v68, v[5:6], v[7:8] offset0:2 offset1:3
	ds_write2_b64 v68, v[9:10], v[11:12] offset0:4 offset1:5
	;; [unrolled: 1-line block ×3, first 2 shown]
	; wave barrier
	ds_read2st64_b64 v[1:4], v71 offset1:1
	ds_read2st64_b64 v[5:8], v71 offset0:2 offset1:3
	ds_read2st64_b64 v[9:12], v71 offset0:4 offset1:5
	;; [unrolled: 1-line block ×3, first 2 shown]
	; wave barrier
	s_waitcnt lgkmcnt(11)
	ds_write2_b64 v68, v[19:20], v[21:22] offset1:1
	s_waitcnt lgkmcnt(11)
	ds_write2_b64 v68, v[23:24], v[25:26] offset0:2 offset1:3
	s_waitcnt lgkmcnt(11)
	ds_write2_b64 v68, v[27:28], v[29:30] offset0:4 offset1:5
	;; [unrolled: 2-line block ×3, first 2 shown]
	; wave barrier
	ds_read2st64_b64 v[17:20], v71 offset1:1
	ds_read2st64_b64 v[21:24], v71 offset0:2 offset1:3
	ds_read2st64_b64 v[25:28], v71 offset0:4 offset1:5
	;; [unrolled: 1-line block ×3, first 2 shown]
	s_mov_b32 s44, 8
	s_mov_b32 s45, 32
	;; [unrolled: 1-line block ×3, first 2 shown]
	s_waitcnt lgkmcnt(0)
	s_barrier
	s_branch .LBB383_4
.LBB383_3:                              ;   in Loop: Header=BB383_4 Depth=2
	s_andn2_b64 vcc, exec, s[28:29]
	s_cbranch_vccz .LBB383_1
.LBB383_4:                              ;   Parent Loop BB383_2 Depth=1
                                        ; =>  This Inner Loop Header: Depth=2
	s_min_i32 s30, s44, 32
	s_cmp_lt_u32 s46, 32
	s_cselect_b64 s[28:29], -1, 0
	s_cmp_gt_u32 s46, 31
	s_cselect_b64 vcc, -1, 0
	s_sub_i32 s30, s30, 32
	s_add_i32 s31, s30, s45
	s_lshl_b32 s31, -1, s31
	s_not_b32 s31, s31
	s_cmp_lg_u32 s30, s46
	s_cselect_b32 s48, s31, -1
	s_max_i32 s47, s45, 0
	s_max_i32 s30, s46, 32
	s_sub_i32 s49, s30, 32
	s_sub_i32 s30, s30, s47
	;; [unrolled: 1-line block ×3, first 2 shown]
	s_min_i32 s30, s30, 32
	s_sub_i32 s30, s30, s49
	v_mov_b32_e32 v66, v2
	v_mov_b32_e32 v64, v4
	s_lshl_b32 s31, -1, s30
	v_mov_b32_e32 v65, v1
	v_mov_b32_e32 v63, v3
	;; [unrolled: 1-line block ×4, first 2 shown]
	s_not_b32 s31, s31
	v_mov_b32_e32 v2, s43
	v_mov_b32_e32 v4, s37
	s_cmp_lg_u32 s30, 32
	ds_write2_b64 v67, v[1:2], v[3:4] offset0:4 offset1:5
	s_cselect_b32 s50, s31, -1
	v_lshrrev_b32_e32 v2, s49, v65
	v_lshrrev_b32_e32 v1, s46, v66
	v_and_b32_e32 v2, s50, v2
	v_and_b32_e32 v1, s48, v1
	v_lshlrev_b32_e32 v2, s47, v2
	v_cndmask_b32_e64 v1, 0, v1, s[28:29]
	v_cndmask_b32_e32 v2, 0, v2, vcc
	v_or_b32_e32 v1, v1, v2
	v_and_b32_e32 v2, 1, v1
	v_mov_b32_e32 v62, v6
	v_add_co_u32_e64 v4, s[30:31], -1, v2
	v_mov_b32_e32 v61, v5
	v_addc_co_u32_e64 v5, s[30:31], 0, -1, s[30:31]
	v_cmp_ne_u32_e64 s[30:31], 0, v2
	v_lshlrev_b32_e32 v36, 30, v1
	v_xor_b32_e32 v2, s31, v5
	v_xor_b32_e32 v4, s30, v4
	v_cmp_gt_i64_e64 s[30:31], 0, v[35:36]
	v_not_b32_e32 v5, v36
	v_ashrrev_i32_e32 v5, 31, v5
	v_and_b32_e32 v4, exec_lo, v4
	v_xor_b32_e32 v6, s31, v5
	v_xor_b32_e32 v5, s30, v5
	v_lshlrev_b32_e32 v36, 29, v1
	v_and_b32_e32 v4, v4, v5
	v_cmp_gt_i64_e64 s[30:31], 0, v[35:36]
	v_not_b32_e32 v5, v36
	v_and_b32_e32 v2, exec_hi, v2
	v_ashrrev_i32_e32 v5, 31, v5
	v_and_b32_e32 v2, v2, v6
	v_xor_b32_e32 v6, s31, v5
	v_xor_b32_e32 v5, s30, v5
	v_lshlrev_b32_e32 v36, 28, v1
	v_and_b32_e32 v4, v4, v5
	v_cmp_gt_i64_e64 s[30:31], 0, v[35:36]
	v_not_b32_e32 v5, v36
	v_ashrrev_i32_e32 v5, 31, v5
	v_and_b32_e32 v2, v2, v6
	v_xor_b32_e32 v6, s31, v5
	v_xor_b32_e32 v5, s30, v5
	v_lshlrev_b32_e32 v36, 27, v1
	v_and_b32_e32 v4, v4, v5
	v_cmp_gt_i64_e64 s[30:31], 0, v[35:36]
	v_not_b32_e32 v5, v36
	;; [unrolled: 8-line block ×4, first 2 shown]
	v_ashrrev_i32_e32 v5, 31, v5
	v_lshlrev_b32_e32 v36, 24, v1
	v_lshlrev_b32_e32 v3, 5, v1
	v_and_b32_e32 v2, v2, v6
	v_xor_b32_e32 v6, s31, v5
	v_xor_b32_e32 v5, s30, v5
	v_cmp_gt_i64_e64 s[30:31], 0, v[35:36]
	v_not_b32_e32 v1, v36
	v_ashrrev_i32_e32 v1, 31, v1
	v_and_b32_e32 v4, v4, v5
	v_xor_b32_e32 v5, s31, v1
	v_xor_b32_e32 v1, s30, v1
	v_and_b32_e32 v2, v2, v6
	v_and_b32_e32 v1, v4, v1
	;; [unrolled: 1-line block ×3, first 2 shown]
	v_mbcnt_lo_u32_b32 v4, v1, 0
	v_mbcnt_hi_u32_b32 v5, v2, v4
	v_cmp_ne_u64_e64 s[30:31], 0, v[1:2]
	v_mov_b32_e32 v50, v18
	v_mov_b32_e32 v48, v20
	;; [unrolled: 1-line block ×13, first 2 shown]
	v_cmp_eq_u32_e64 s[34:35], 0, v5
	v_mov_b32_e32 v49, v17
	v_mov_b32_e32 v47, v19
	;; [unrolled: 1-line block ×13, first 2 shown]
	s_and_b64 s[34:35], s[34:35], s[30:31]
	v_add_u32_e32 v6, v75, v3
	s_waitcnt lgkmcnt(0)
	s_barrier
	; wave barrier
	s_and_saveexec_b64 s[30:31], s[34:35]
; %bb.5:                                ;   in Loop: Header=BB383_4 Depth=2
	v_bcnt_u32_b32 v1, v1, 0
	v_bcnt_u32_b32 v1, v2, v1
	ds_write_b32 v6, v1 offset:32
; %bb.6:                                ;   in Loop: Header=BB383_4 Depth=2
	s_or_b64 exec, exec, s[30:31]
	v_lshrrev_b32_e32 v2, s49, v63
	v_lshrrev_b32_e32 v1, s46, v64
	v_and_b32_e32 v2, s50, v2
	v_and_b32_e32 v1, s48, v1
	v_lshlrev_b32_e32 v2, s47, v2
	v_cndmask_b32_e64 v1, 0, v1, s[28:29]
	v_cndmask_b32_e32 v2, 0, v2, vcc
	v_or_b32_e32 v1, v1, v2
	v_lshlrev_b32_e32 v2, 5, v1
	v_add_u32_e32 v8, v75, v2
	v_and_b32_e32 v2, 1, v1
	v_add_co_u32_e64 v3, s[30:31], -1, v2
	v_addc_co_u32_e64 v4, s[30:31], 0, -1, s[30:31]
	v_cmp_ne_u32_e64 s[30:31], 0, v2
	v_lshlrev_b32_e32 v36, 30, v1
	v_xor_b32_e32 v2, s31, v4
	v_xor_b32_e32 v3, s30, v3
	v_cmp_gt_i64_e64 s[30:31], 0, v[35:36]
	v_not_b32_e32 v4, v36
	v_ashrrev_i32_e32 v4, 31, v4
	v_and_b32_e32 v3, exec_lo, v3
	v_xor_b32_e32 v9, s31, v4
	v_xor_b32_e32 v4, s30, v4
	v_lshlrev_b32_e32 v36, 29, v1
	v_and_b32_e32 v3, v3, v4
	v_cmp_gt_i64_e64 s[30:31], 0, v[35:36]
	v_not_b32_e32 v4, v36
	v_and_b32_e32 v2, exec_hi, v2
	v_ashrrev_i32_e32 v4, 31, v4
	v_and_b32_e32 v2, v2, v9
	v_xor_b32_e32 v9, s31, v4
	v_xor_b32_e32 v4, s30, v4
	v_lshlrev_b32_e32 v36, 28, v1
	v_and_b32_e32 v3, v3, v4
	v_cmp_gt_i64_e64 s[30:31], 0, v[35:36]
	v_not_b32_e32 v4, v36
	v_ashrrev_i32_e32 v4, 31, v4
	v_and_b32_e32 v2, v2, v9
	v_xor_b32_e32 v9, s31, v4
	v_xor_b32_e32 v4, s30, v4
	v_lshlrev_b32_e32 v36, 27, v1
	v_and_b32_e32 v3, v3, v4
	v_cmp_gt_i64_e64 s[30:31], 0, v[35:36]
	v_not_b32_e32 v4, v36
	;; [unrolled: 8-line block ×4, first 2 shown]
	v_ashrrev_i32_e32 v4, 31, v4
	v_lshlrev_b32_e32 v36, 24, v1
	v_and_b32_e32 v2, v2, v9
	v_xor_b32_e32 v9, s31, v4
	v_xor_b32_e32 v4, s30, v4
	v_cmp_gt_i64_e64 s[30:31], 0, v[35:36]
	v_not_b32_e32 v1, v36
	v_ashrrev_i32_e32 v1, 31, v1
	v_and_b32_e32 v3, v3, v4
	v_xor_b32_e32 v4, s31, v1
	v_xor_b32_e32 v1, s30, v1
	; wave barrier
	ds_read_b32 v7, v8 offset:32
	v_and_b32_e32 v2, v2, v9
	v_and_b32_e32 v1, v3, v1
	;; [unrolled: 1-line block ×3, first 2 shown]
	v_mbcnt_lo_u32_b32 v3, v1, 0
	v_mbcnt_hi_u32_b32 v9, v2, v3
	v_cmp_ne_u64_e64 s[30:31], 0, v[1:2]
	v_cmp_eq_u32_e64 s[34:35], 0, v9
	s_and_b64 s[34:35], s[34:35], s[30:31]
	; wave barrier
	s_and_saveexec_b64 s[30:31], s[34:35]
	s_cbranch_execz .LBB383_8
; %bb.7:                                ;   in Loop: Header=BB383_4 Depth=2
	v_bcnt_u32_b32 v1, v1, 0
	v_bcnt_u32_b32 v1, v2, v1
	s_waitcnt lgkmcnt(0)
	v_add_u32_e32 v1, v7, v1
	ds_write_b32 v8, v1 offset:32
.LBB383_8:                              ;   in Loop: Header=BB383_4 Depth=2
	s_or_b64 exec, exec, s[30:31]
	v_lshrrev_b32_e32 v2, s49, v61
	v_lshrrev_b32_e32 v1, s46, v62
	v_and_b32_e32 v2, s50, v2
	v_and_b32_e32 v1, s48, v1
	v_lshlrev_b32_e32 v2, s47, v2
	v_cndmask_b32_e64 v1, 0, v1, s[28:29]
	v_cndmask_b32_e32 v2, 0, v2, vcc
	v_or_b32_e32 v1, v1, v2
	v_lshlrev_b32_e32 v2, 5, v1
	v_add_u32_e32 v11, v75, v2
	v_and_b32_e32 v2, 1, v1
	v_add_co_u32_e64 v3, s[30:31], -1, v2
	v_addc_co_u32_e64 v4, s[30:31], 0, -1, s[30:31]
	v_cmp_ne_u32_e64 s[30:31], 0, v2
	v_lshlrev_b32_e32 v36, 30, v1
	v_xor_b32_e32 v2, s31, v4
	v_xor_b32_e32 v3, s30, v3
	v_cmp_gt_i64_e64 s[30:31], 0, v[35:36]
	v_not_b32_e32 v4, v36
	v_ashrrev_i32_e32 v4, 31, v4
	v_and_b32_e32 v3, exec_lo, v3
	v_xor_b32_e32 v12, s31, v4
	v_xor_b32_e32 v4, s30, v4
	v_lshlrev_b32_e32 v36, 29, v1
	v_and_b32_e32 v3, v3, v4
	v_cmp_gt_i64_e64 s[30:31], 0, v[35:36]
	v_not_b32_e32 v4, v36
	v_and_b32_e32 v2, exec_hi, v2
	v_ashrrev_i32_e32 v4, 31, v4
	v_and_b32_e32 v2, v2, v12
	v_xor_b32_e32 v12, s31, v4
	v_xor_b32_e32 v4, s30, v4
	v_lshlrev_b32_e32 v36, 28, v1
	v_and_b32_e32 v3, v3, v4
	v_cmp_gt_i64_e64 s[30:31], 0, v[35:36]
	v_not_b32_e32 v4, v36
	v_ashrrev_i32_e32 v4, 31, v4
	v_and_b32_e32 v2, v2, v12
	v_xor_b32_e32 v12, s31, v4
	v_xor_b32_e32 v4, s30, v4
	v_lshlrev_b32_e32 v36, 27, v1
	v_and_b32_e32 v3, v3, v4
	v_cmp_gt_i64_e64 s[30:31], 0, v[35:36]
	v_not_b32_e32 v4, v36
	;; [unrolled: 8-line block ×4, first 2 shown]
	v_ashrrev_i32_e32 v4, 31, v4
	v_lshlrev_b32_e32 v36, 24, v1
	v_and_b32_e32 v2, v2, v12
	v_xor_b32_e32 v12, s31, v4
	v_xor_b32_e32 v4, s30, v4
	v_cmp_gt_i64_e64 s[30:31], 0, v[35:36]
	v_not_b32_e32 v1, v36
	v_ashrrev_i32_e32 v1, 31, v1
	v_and_b32_e32 v3, v3, v4
	v_xor_b32_e32 v4, s31, v1
	v_xor_b32_e32 v1, s30, v1
	; wave barrier
	ds_read_b32 v10, v11 offset:32
	v_and_b32_e32 v2, v2, v12
	v_and_b32_e32 v1, v3, v1
	;; [unrolled: 1-line block ×3, first 2 shown]
	v_mbcnt_lo_u32_b32 v3, v1, 0
	v_mbcnt_hi_u32_b32 v12, v2, v3
	v_cmp_ne_u64_e64 s[30:31], 0, v[1:2]
	v_cmp_eq_u32_e64 s[34:35], 0, v12
	s_and_b64 s[34:35], s[34:35], s[30:31]
	; wave barrier
	s_and_saveexec_b64 s[30:31], s[34:35]
	s_cbranch_execz .LBB383_10
; %bb.9:                                ;   in Loop: Header=BB383_4 Depth=2
	v_bcnt_u32_b32 v1, v1, 0
	v_bcnt_u32_b32 v1, v2, v1
	s_waitcnt lgkmcnt(0)
	v_add_u32_e32 v1, v10, v1
	ds_write_b32 v11, v1 offset:32
.LBB383_10:                             ;   in Loop: Header=BB383_4 Depth=2
	s_or_b64 exec, exec, s[30:31]
	v_lshrrev_b32_e32 v2, s49, v59
	v_lshrrev_b32_e32 v1, s46, v60
	v_and_b32_e32 v2, s50, v2
	v_and_b32_e32 v1, s48, v1
	v_lshlrev_b32_e32 v2, s47, v2
	v_cndmask_b32_e64 v1, 0, v1, s[28:29]
	v_cndmask_b32_e32 v2, 0, v2, vcc
	v_or_b32_e32 v1, v1, v2
	v_lshlrev_b32_e32 v2, 5, v1
	v_add_u32_e32 v14, v75, v2
	v_and_b32_e32 v2, 1, v1
	v_add_co_u32_e64 v3, s[30:31], -1, v2
	v_addc_co_u32_e64 v4, s[30:31], 0, -1, s[30:31]
	v_cmp_ne_u32_e64 s[30:31], 0, v2
	v_lshlrev_b32_e32 v36, 30, v1
	v_xor_b32_e32 v2, s31, v4
	v_xor_b32_e32 v3, s30, v3
	v_cmp_gt_i64_e64 s[30:31], 0, v[35:36]
	v_not_b32_e32 v4, v36
	v_ashrrev_i32_e32 v4, 31, v4
	v_and_b32_e32 v3, exec_lo, v3
	v_xor_b32_e32 v15, s31, v4
	v_xor_b32_e32 v4, s30, v4
	v_lshlrev_b32_e32 v36, 29, v1
	v_and_b32_e32 v3, v3, v4
	v_cmp_gt_i64_e64 s[30:31], 0, v[35:36]
	v_not_b32_e32 v4, v36
	v_and_b32_e32 v2, exec_hi, v2
	v_ashrrev_i32_e32 v4, 31, v4
	v_and_b32_e32 v2, v2, v15
	v_xor_b32_e32 v15, s31, v4
	v_xor_b32_e32 v4, s30, v4
	v_lshlrev_b32_e32 v36, 28, v1
	v_and_b32_e32 v3, v3, v4
	v_cmp_gt_i64_e64 s[30:31], 0, v[35:36]
	v_not_b32_e32 v4, v36
	v_ashrrev_i32_e32 v4, 31, v4
	v_and_b32_e32 v2, v2, v15
	v_xor_b32_e32 v15, s31, v4
	v_xor_b32_e32 v4, s30, v4
	v_lshlrev_b32_e32 v36, 27, v1
	v_and_b32_e32 v3, v3, v4
	v_cmp_gt_i64_e64 s[30:31], 0, v[35:36]
	v_not_b32_e32 v4, v36
	;; [unrolled: 8-line block ×4, first 2 shown]
	v_ashrrev_i32_e32 v4, 31, v4
	v_lshlrev_b32_e32 v36, 24, v1
	v_and_b32_e32 v2, v2, v15
	v_xor_b32_e32 v15, s31, v4
	v_xor_b32_e32 v4, s30, v4
	v_cmp_gt_i64_e64 s[30:31], 0, v[35:36]
	v_not_b32_e32 v1, v36
	v_ashrrev_i32_e32 v1, 31, v1
	v_and_b32_e32 v3, v3, v4
	v_xor_b32_e32 v4, s31, v1
	v_xor_b32_e32 v1, s30, v1
	; wave barrier
	ds_read_b32 v13, v14 offset:32
	v_and_b32_e32 v2, v2, v15
	v_and_b32_e32 v1, v3, v1
	;; [unrolled: 1-line block ×3, first 2 shown]
	v_mbcnt_lo_u32_b32 v3, v1, 0
	v_mbcnt_hi_u32_b32 v15, v2, v3
	v_cmp_ne_u64_e64 s[30:31], 0, v[1:2]
	v_cmp_eq_u32_e64 s[34:35], 0, v15
	s_and_b64 s[34:35], s[34:35], s[30:31]
	; wave barrier
	s_and_saveexec_b64 s[30:31], s[34:35]
	s_cbranch_execz .LBB383_12
; %bb.11:                               ;   in Loop: Header=BB383_4 Depth=2
	v_bcnt_u32_b32 v1, v1, 0
	v_bcnt_u32_b32 v1, v2, v1
	s_waitcnt lgkmcnt(0)
	v_add_u32_e32 v1, v13, v1
	ds_write_b32 v14, v1 offset:32
.LBB383_12:                             ;   in Loop: Header=BB383_4 Depth=2
	s_or_b64 exec, exec, s[30:31]
	v_lshrrev_b32_e32 v2, s49, v57
	v_lshrrev_b32_e32 v1, s46, v58
	v_and_b32_e32 v2, s50, v2
	v_and_b32_e32 v1, s48, v1
	v_lshlrev_b32_e32 v2, s47, v2
	v_cndmask_b32_e64 v1, 0, v1, s[28:29]
	v_cndmask_b32_e32 v2, 0, v2, vcc
	v_or_b32_e32 v1, v1, v2
	v_lshlrev_b32_e32 v2, 5, v1
	v_add_u32_e32 v17, v75, v2
	v_and_b32_e32 v2, 1, v1
	v_add_co_u32_e64 v3, s[30:31], -1, v2
	v_addc_co_u32_e64 v4, s[30:31], 0, -1, s[30:31]
	v_cmp_ne_u32_e64 s[30:31], 0, v2
	v_lshlrev_b32_e32 v36, 30, v1
	v_xor_b32_e32 v2, s31, v4
	v_xor_b32_e32 v3, s30, v3
	v_cmp_gt_i64_e64 s[30:31], 0, v[35:36]
	v_not_b32_e32 v4, v36
	v_ashrrev_i32_e32 v4, 31, v4
	v_and_b32_e32 v3, exec_lo, v3
	v_xor_b32_e32 v18, s31, v4
	v_xor_b32_e32 v4, s30, v4
	v_lshlrev_b32_e32 v36, 29, v1
	v_and_b32_e32 v3, v3, v4
	v_cmp_gt_i64_e64 s[30:31], 0, v[35:36]
	v_not_b32_e32 v4, v36
	v_and_b32_e32 v2, exec_hi, v2
	v_ashrrev_i32_e32 v4, 31, v4
	v_and_b32_e32 v2, v2, v18
	v_xor_b32_e32 v18, s31, v4
	v_xor_b32_e32 v4, s30, v4
	v_lshlrev_b32_e32 v36, 28, v1
	v_and_b32_e32 v3, v3, v4
	v_cmp_gt_i64_e64 s[30:31], 0, v[35:36]
	v_not_b32_e32 v4, v36
	v_ashrrev_i32_e32 v4, 31, v4
	v_and_b32_e32 v2, v2, v18
	v_xor_b32_e32 v18, s31, v4
	v_xor_b32_e32 v4, s30, v4
	v_lshlrev_b32_e32 v36, 27, v1
	v_and_b32_e32 v3, v3, v4
	v_cmp_gt_i64_e64 s[30:31], 0, v[35:36]
	v_not_b32_e32 v4, v36
	;; [unrolled: 8-line block ×4, first 2 shown]
	v_ashrrev_i32_e32 v4, 31, v4
	v_lshlrev_b32_e32 v36, 24, v1
	v_and_b32_e32 v2, v2, v18
	v_xor_b32_e32 v18, s31, v4
	v_xor_b32_e32 v4, s30, v4
	v_cmp_gt_i64_e64 s[30:31], 0, v[35:36]
	v_not_b32_e32 v1, v36
	v_ashrrev_i32_e32 v1, 31, v1
	v_and_b32_e32 v3, v3, v4
	v_xor_b32_e32 v4, s31, v1
	v_xor_b32_e32 v1, s30, v1
	; wave barrier
	ds_read_b32 v16, v17 offset:32
	v_and_b32_e32 v2, v2, v18
	v_and_b32_e32 v1, v3, v1
	;; [unrolled: 1-line block ×3, first 2 shown]
	v_mbcnt_lo_u32_b32 v3, v1, 0
	v_mbcnt_hi_u32_b32 v18, v2, v3
	v_cmp_ne_u64_e64 s[30:31], 0, v[1:2]
	v_cmp_eq_u32_e64 s[34:35], 0, v18
	s_and_b64 s[34:35], s[34:35], s[30:31]
	; wave barrier
	s_and_saveexec_b64 s[30:31], s[34:35]
	s_cbranch_execz .LBB383_14
; %bb.13:                               ;   in Loop: Header=BB383_4 Depth=2
	v_bcnt_u32_b32 v1, v1, 0
	v_bcnt_u32_b32 v1, v2, v1
	s_waitcnt lgkmcnt(0)
	v_add_u32_e32 v1, v16, v1
	ds_write_b32 v17, v1 offset:32
.LBB383_14:                             ;   in Loop: Header=BB383_4 Depth=2
	s_or_b64 exec, exec, s[30:31]
	v_lshrrev_b32_e32 v2, s49, v55
	v_lshrrev_b32_e32 v1, s46, v56
	v_and_b32_e32 v2, s50, v2
	v_and_b32_e32 v1, s48, v1
	v_lshlrev_b32_e32 v2, s47, v2
	v_cndmask_b32_e64 v1, 0, v1, s[28:29]
	v_cndmask_b32_e32 v2, 0, v2, vcc
	v_or_b32_e32 v1, v1, v2
	v_lshlrev_b32_e32 v2, 5, v1
	v_add_u32_e32 v20, v75, v2
	v_and_b32_e32 v2, 1, v1
	v_add_co_u32_e64 v3, s[30:31], -1, v2
	v_addc_co_u32_e64 v4, s[30:31], 0, -1, s[30:31]
	v_cmp_ne_u32_e64 s[30:31], 0, v2
	v_lshlrev_b32_e32 v36, 30, v1
	v_xor_b32_e32 v2, s31, v4
	v_xor_b32_e32 v3, s30, v3
	v_cmp_gt_i64_e64 s[30:31], 0, v[35:36]
	v_not_b32_e32 v4, v36
	v_ashrrev_i32_e32 v4, 31, v4
	v_and_b32_e32 v3, exec_lo, v3
	v_xor_b32_e32 v21, s31, v4
	v_xor_b32_e32 v4, s30, v4
	v_lshlrev_b32_e32 v36, 29, v1
	v_and_b32_e32 v3, v3, v4
	v_cmp_gt_i64_e64 s[30:31], 0, v[35:36]
	v_not_b32_e32 v4, v36
	v_and_b32_e32 v2, exec_hi, v2
	v_ashrrev_i32_e32 v4, 31, v4
	v_and_b32_e32 v2, v2, v21
	v_xor_b32_e32 v21, s31, v4
	v_xor_b32_e32 v4, s30, v4
	v_lshlrev_b32_e32 v36, 28, v1
	v_and_b32_e32 v3, v3, v4
	v_cmp_gt_i64_e64 s[30:31], 0, v[35:36]
	v_not_b32_e32 v4, v36
	v_ashrrev_i32_e32 v4, 31, v4
	v_and_b32_e32 v2, v2, v21
	v_xor_b32_e32 v21, s31, v4
	v_xor_b32_e32 v4, s30, v4
	v_lshlrev_b32_e32 v36, 27, v1
	v_and_b32_e32 v3, v3, v4
	v_cmp_gt_i64_e64 s[30:31], 0, v[35:36]
	v_not_b32_e32 v4, v36
	;; [unrolled: 8-line block ×4, first 2 shown]
	v_ashrrev_i32_e32 v4, 31, v4
	v_lshlrev_b32_e32 v36, 24, v1
	v_and_b32_e32 v2, v2, v21
	v_xor_b32_e32 v21, s31, v4
	v_xor_b32_e32 v4, s30, v4
	v_cmp_gt_i64_e64 s[30:31], 0, v[35:36]
	v_not_b32_e32 v1, v36
	v_ashrrev_i32_e32 v1, 31, v1
	v_and_b32_e32 v3, v3, v4
	v_xor_b32_e32 v4, s31, v1
	v_xor_b32_e32 v1, s30, v1
	; wave barrier
	ds_read_b32 v19, v20 offset:32
	v_and_b32_e32 v2, v2, v21
	v_and_b32_e32 v1, v3, v1
	;; [unrolled: 1-line block ×3, first 2 shown]
	v_mbcnt_lo_u32_b32 v3, v1, 0
	v_mbcnt_hi_u32_b32 v21, v2, v3
	v_cmp_ne_u64_e64 s[30:31], 0, v[1:2]
	v_cmp_eq_u32_e64 s[34:35], 0, v21
	s_and_b64 s[34:35], s[34:35], s[30:31]
	; wave barrier
	s_and_saveexec_b64 s[30:31], s[34:35]
	s_cbranch_execz .LBB383_16
; %bb.15:                               ;   in Loop: Header=BB383_4 Depth=2
	v_bcnt_u32_b32 v1, v1, 0
	v_bcnt_u32_b32 v1, v2, v1
	s_waitcnt lgkmcnt(0)
	v_add_u32_e32 v1, v19, v1
	ds_write_b32 v20, v1 offset:32
.LBB383_16:                             ;   in Loop: Header=BB383_4 Depth=2
	s_or_b64 exec, exec, s[30:31]
	v_lshrrev_b32_e32 v2, s49, v53
	v_lshrrev_b32_e32 v1, s46, v54
	v_and_b32_e32 v2, s50, v2
	v_and_b32_e32 v1, s48, v1
	v_lshlrev_b32_e32 v2, s47, v2
	v_cndmask_b32_e64 v1, 0, v1, s[28:29]
	v_cndmask_b32_e32 v2, 0, v2, vcc
	v_or_b32_e32 v1, v1, v2
	v_lshlrev_b32_e32 v2, 5, v1
	v_add_u32_e32 v23, v75, v2
	v_and_b32_e32 v2, 1, v1
	v_add_co_u32_e64 v3, s[30:31], -1, v2
	v_addc_co_u32_e64 v4, s[30:31], 0, -1, s[30:31]
	v_cmp_ne_u32_e64 s[30:31], 0, v2
	v_lshlrev_b32_e32 v36, 30, v1
	v_xor_b32_e32 v2, s31, v4
	v_xor_b32_e32 v3, s30, v3
	v_cmp_gt_i64_e64 s[30:31], 0, v[35:36]
	v_not_b32_e32 v4, v36
	v_ashrrev_i32_e32 v4, 31, v4
	v_and_b32_e32 v3, exec_lo, v3
	v_xor_b32_e32 v24, s31, v4
	v_xor_b32_e32 v4, s30, v4
	v_lshlrev_b32_e32 v36, 29, v1
	v_and_b32_e32 v3, v3, v4
	v_cmp_gt_i64_e64 s[30:31], 0, v[35:36]
	v_not_b32_e32 v4, v36
	v_and_b32_e32 v2, exec_hi, v2
	v_ashrrev_i32_e32 v4, 31, v4
	v_and_b32_e32 v2, v2, v24
	v_xor_b32_e32 v24, s31, v4
	v_xor_b32_e32 v4, s30, v4
	v_lshlrev_b32_e32 v36, 28, v1
	v_and_b32_e32 v3, v3, v4
	v_cmp_gt_i64_e64 s[30:31], 0, v[35:36]
	v_not_b32_e32 v4, v36
	v_ashrrev_i32_e32 v4, 31, v4
	v_and_b32_e32 v2, v2, v24
	v_xor_b32_e32 v24, s31, v4
	v_xor_b32_e32 v4, s30, v4
	v_lshlrev_b32_e32 v36, 27, v1
	v_and_b32_e32 v3, v3, v4
	v_cmp_gt_i64_e64 s[30:31], 0, v[35:36]
	v_not_b32_e32 v4, v36
	v_ashrrev_i32_e32 v4, 31, v4
	v_and_b32_e32 v2, v2, v24
	v_xor_b32_e32 v24, s31, v4
	v_xor_b32_e32 v4, s30, v4
	v_lshlrev_b32_e32 v36, 26, v1
	v_and_b32_e32 v3, v3, v4
	v_cmp_gt_i64_e64 s[30:31], 0, v[35:36]
	v_not_b32_e32 v4, v36
	v_ashrrev_i32_e32 v4, 31, v4
	v_and_b32_e32 v2, v2, v24
	v_xor_b32_e32 v24, s31, v4
	v_xor_b32_e32 v4, s30, v4
	v_lshlrev_b32_e32 v36, 25, v1
	v_and_b32_e32 v3, v3, v4
	v_cmp_gt_i64_e64 s[30:31], 0, v[35:36]
	v_not_b32_e32 v4, v36
	v_ashrrev_i32_e32 v4, 31, v4
	v_lshlrev_b32_e32 v36, 24, v1
	v_and_b32_e32 v2, v2, v24
	v_xor_b32_e32 v24, s31, v4
	v_xor_b32_e32 v4, s30, v4
	v_cmp_gt_i64_e64 s[30:31], 0, v[35:36]
	v_not_b32_e32 v1, v36
	v_ashrrev_i32_e32 v1, 31, v1
	v_and_b32_e32 v3, v3, v4
	v_xor_b32_e32 v4, s31, v1
	v_xor_b32_e32 v1, s30, v1
	; wave barrier
	ds_read_b32 v22, v23 offset:32
	v_and_b32_e32 v2, v2, v24
	v_and_b32_e32 v1, v3, v1
	v_and_b32_e32 v2, v2, v4
	v_mbcnt_lo_u32_b32 v3, v1, 0
	v_mbcnt_hi_u32_b32 v24, v2, v3
	v_cmp_ne_u64_e64 s[30:31], 0, v[1:2]
	v_cmp_eq_u32_e64 s[34:35], 0, v24
	s_and_b64 s[34:35], s[34:35], s[30:31]
	; wave barrier
	s_and_saveexec_b64 s[30:31], s[34:35]
	s_cbranch_execz .LBB383_18
; %bb.17:                               ;   in Loop: Header=BB383_4 Depth=2
	v_bcnt_u32_b32 v1, v1, 0
	v_bcnt_u32_b32 v1, v2, v1
	s_waitcnt lgkmcnt(0)
	v_add_u32_e32 v1, v22, v1
	ds_write_b32 v23, v1 offset:32
.LBB383_18:                             ;   in Loop: Header=BB383_4 Depth=2
	s_or_b64 exec, exec, s[30:31]
	v_lshrrev_b32_e32 v2, s49, v51
	v_lshrrev_b32_e32 v1, s46, v52
	v_and_b32_e32 v2, s50, v2
	v_and_b32_e32 v1, s48, v1
	v_lshlrev_b32_e32 v2, s47, v2
	v_cndmask_b32_e64 v1, 0, v1, s[28:29]
	v_cndmask_b32_e32 v2, 0, v2, vcc
	v_or_b32_e32 v1, v1, v2
	v_lshlrev_b32_e32 v2, 5, v1
	v_add_u32_e32 v26, v75, v2
	v_and_b32_e32 v2, 1, v1
	v_add_co_u32_e32 v3, vcc, -1, v2
	v_addc_co_u32_e64 v4, s[28:29], 0, -1, vcc
	v_cmp_ne_u32_e32 vcc, 0, v2
	v_lshlrev_b32_e32 v36, 30, v1
	v_xor_b32_e32 v2, vcc_hi, v4
	v_xor_b32_e32 v3, vcc_lo, v3
	v_cmp_gt_i64_e32 vcc, 0, v[35:36]
	v_not_b32_e32 v4, v36
	v_ashrrev_i32_e32 v4, 31, v4
	v_and_b32_e32 v3, exec_lo, v3
	v_xor_b32_e32 v27, vcc_hi, v4
	v_xor_b32_e32 v4, vcc_lo, v4
	v_lshlrev_b32_e32 v36, 29, v1
	v_and_b32_e32 v3, v3, v4
	v_cmp_gt_i64_e32 vcc, 0, v[35:36]
	v_not_b32_e32 v4, v36
	v_and_b32_e32 v2, exec_hi, v2
	v_ashrrev_i32_e32 v4, 31, v4
	v_and_b32_e32 v2, v2, v27
	v_xor_b32_e32 v27, vcc_hi, v4
	v_xor_b32_e32 v4, vcc_lo, v4
	v_lshlrev_b32_e32 v36, 28, v1
	v_and_b32_e32 v3, v3, v4
	v_cmp_gt_i64_e32 vcc, 0, v[35:36]
	v_not_b32_e32 v4, v36
	v_ashrrev_i32_e32 v4, 31, v4
	v_and_b32_e32 v2, v2, v27
	v_xor_b32_e32 v27, vcc_hi, v4
	v_xor_b32_e32 v4, vcc_lo, v4
	v_lshlrev_b32_e32 v36, 27, v1
	v_and_b32_e32 v3, v3, v4
	v_cmp_gt_i64_e32 vcc, 0, v[35:36]
	v_not_b32_e32 v4, v36
	v_ashrrev_i32_e32 v4, 31, v4
	v_and_b32_e32 v2, v2, v27
	v_xor_b32_e32 v27, vcc_hi, v4
	v_xor_b32_e32 v4, vcc_lo, v4
	v_lshlrev_b32_e32 v36, 26, v1
	v_and_b32_e32 v3, v3, v4
	v_cmp_gt_i64_e32 vcc, 0, v[35:36]
	v_not_b32_e32 v4, v36
	v_ashrrev_i32_e32 v4, 31, v4
	v_and_b32_e32 v2, v2, v27
	v_xor_b32_e32 v27, vcc_hi, v4
	v_xor_b32_e32 v4, vcc_lo, v4
	v_lshlrev_b32_e32 v36, 25, v1
	v_and_b32_e32 v3, v3, v4
	v_cmp_gt_i64_e32 vcc, 0, v[35:36]
	v_not_b32_e32 v4, v36
	v_ashrrev_i32_e32 v4, 31, v4
	v_lshlrev_b32_e32 v36, 24, v1
	v_and_b32_e32 v2, v2, v27
	v_xor_b32_e32 v27, vcc_hi, v4
	v_xor_b32_e32 v4, vcc_lo, v4
	v_cmp_gt_i64_e32 vcc, 0, v[35:36]
	v_not_b32_e32 v1, v36
	v_ashrrev_i32_e32 v1, 31, v1
	v_and_b32_e32 v3, v3, v4
	v_xor_b32_e32 v4, vcc_hi, v1
	v_xor_b32_e32 v1, vcc_lo, v1
	; wave barrier
	ds_read_b32 v25, v26 offset:32
	v_and_b32_e32 v2, v2, v27
	v_and_b32_e32 v1, v3, v1
	;; [unrolled: 1-line block ×3, first 2 shown]
	v_mbcnt_lo_u32_b32 v3, v1, 0
	v_mbcnt_hi_u32_b32 v27, v2, v3
	v_cmp_ne_u64_e32 vcc, 0, v[1:2]
	v_cmp_eq_u32_e64 s[28:29], 0, v27
	s_and_b64 s[30:31], s[28:29], vcc
	; wave barrier
	s_and_saveexec_b64 s[28:29], s[30:31]
	s_cbranch_execz .LBB383_20
; %bb.19:                               ;   in Loop: Header=BB383_4 Depth=2
	v_bcnt_u32_b32 v1, v1, 0
	v_bcnt_u32_b32 v1, v2, v1
	s_waitcnt lgkmcnt(0)
	v_add_u32_e32 v1, v25, v1
	ds_write_b32 v26, v1 offset:32
.LBB383_20:                             ;   in Loop: Header=BB383_4 Depth=2
	s_or_b64 exec, exec, s[28:29]
	; wave barrier
	s_waitcnt lgkmcnt(0)
	s_barrier
	ds_read2_b64 v[1:4], v67 offset0:4 offset1:5
	s_waitcnt lgkmcnt(0)
	v_add_u32_e32 v28, v2, v1
	v_add3_u32 v4, v28, v3, v4
	s_nop 1
	v_mov_b32_dpp v28, v4 row_shr:1 row_mask:0xf bank_mask:0xf
	v_cndmask_b32_e64 v28, v28, 0, s[10:11]
	v_add_u32_e32 v4, v28, v4
	s_nop 1
	v_mov_b32_dpp v28, v4 row_shr:2 row_mask:0xf bank_mask:0xf
	v_cndmask_b32_e64 v28, 0, v28, s[12:13]
	v_add_u32_e32 v4, v4, v28
	;; [unrolled: 4-line block ×4, first 2 shown]
	s_nop 1
	v_mov_b32_dpp v28, v4 row_bcast:15 row_mask:0xf bank_mask:0xf
	v_cndmask_b32_e64 v28, v28, 0, s[18:19]
	v_add_u32_e32 v4, v4, v28
	s_nop 1
	v_mov_b32_dpp v28, v4 row_bcast:31 row_mask:0xf bank_mask:0xf
	v_cndmask_b32_e64 v28, 0, v28, s[6:7]
	v_add_u32_e32 v4, v4, v28
	s_and_saveexec_b64 s[28:29], s[20:21]
; %bb.21:                               ;   in Loop: Header=BB383_4 Depth=2
	ds_write_b32 v69, v4
; %bb.22:                               ;   in Loop: Header=BB383_4 Depth=2
	s_or_b64 exec, exec, s[28:29]
	s_waitcnt lgkmcnt(0)
	s_barrier
	s_and_saveexec_b64 s[28:29], s[0:1]
	s_cbranch_execz .LBB383_24
; %bb.23:                               ;   in Loop: Header=BB383_4 Depth=2
	ds_read_b32 v28, v70
	s_waitcnt lgkmcnt(0)
	s_nop 0
	v_mov_b32_dpp v29, v28 row_shr:1 row_mask:0xf bank_mask:0xf
	v_cndmask_b32_e64 v29, v29, 0, s[22:23]
	v_add_u32_e32 v28, v29, v28
	s_nop 1
	v_mov_b32_dpp v29, v28 row_shr:2 row_mask:0xf bank_mask:0xf
	v_cndmask_b32_e64 v29, 0, v29, s[24:25]
	v_add_u32_e32 v28, v28, v29
	;; [unrolled: 4-line block ×3, first 2 shown]
	ds_write_b32 v70, v28
.LBB383_24:                             ;   in Loop: Header=BB383_4 Depth=2
	s_or_b64 exec, exec, s[28:29]
	v_mov_b32_e32 v28, 0
	s_waitcnt lgkmcnt(0)
	s_barrier
	s_and_saveexec_b64 s[28:29], s[2:3]
; %bb.25:                               ;   in Loop: Header=BB383_4 Depth=2
	ds_read_b32 v28, v72
; %bb.26:                               ;   in Loop: Header=BB383_4 Depth=2
	s_or_b64 exec, exec, s[28:29]
	s_waitcnt lgkmcnt(0)
	v_add_u32_e32 v4, v28, v4
	ds_bpermute_b32 v4, v74, v4
	v_lshlrev_b32_e32 v5, 3, v5
	s_cmp_gt_u32 s46, 55
	s_mov_b64 s[28:29], -1
	s_waitcnt lgkmcnt(0)
	v_cndmask_b32_e64 v4, v4, v28, s[8:9]
	v_cndmask_b32_e64 v28, v4, 0, s[4:5]
	v_add_u32_e32 v29, v28, v1
	v_add_u32_e32 v1, v29, v2
	;; [unrolled: 1-line block ×3, first 2 shown]
	ds_write2_b64 v67, v[28:29], v[1:2] offset0:4 offset1:5
	s_waitcnt lgkmcnt(0)
	s_barrier
	ds_read_b32 v1, v6 offset:32
	ds_read_b32 v2, v8 offset:32
	;; [unrolled: 1-line block ×8, first 2 shown]
	s_waitcnt lgkmcnt(7)
	v_lshl_add_u32 v36, v1, 3, v5
	v_lshlrev_b32_e32 v1, 3, v9
	v_lshlrev_b32_e32 v5, 3, v7
	s_waitcnt lgkmcnt(6)
	v_lshlrev_b32_e32 v2, 3, v2
	v_add3_u32 v76, v1, v5, v2
	v_lshlrev_b32_e32 v1, 3, v12
	v_lshlrev_b32_e32 v2, 3, v10
	s_waitcnt lgkmcnt(5)
	v_lshlrev_b32_e32 v3, 3, v3
	v_add3_u32 v77, v1, v2, v3
	;; [unrolled: 5-line block ×7, first 2 shown]
                                        ; implicit-def: $vgpr17_vgpr18
                                        ; implicit-def: $vgpr21_vgpr22
                                        ; implicit-def: $vgpr25_vgpr26
                                        ; implicit-def: $vgpr29_vgpr30
                                        ; implicit-def: $vgpr1_vgpr2
                                        ; implicit-def: $vgpr5_vgpr6
                                        ; implicit-def: $vgpr9_vgpr10
                                        ; implicit-def: $vgpr13_vgpr14
	s_cbranch_scc1 .LBB383_3
; %bb.27:                               ;   in Loop: Header=BB383_4 Depth=2
	s_barrier
	ds_write_b64 v36, v[65:66]
	ds_write_b64 v76, v[63:64]
	;; [unrolled: 1-line block ×8, first 2 shown]
	s_waitcnt lgkmcnt(0)
	s_barrier
	ds_read2st64_b64 v[1:4], v71 offset1:1
	ds_read2st64_b64 v[5:8], v71 offset0:2 offset1:3
	ds_read2st64_b64 v[9:12], v71 offset0:4 offset1:5
	;; [unrolled: 1-line block ×3, first 2 shown]
	s_waitcnt lgkmcnt(0)
	s_barrier
	ds_write_b64 v36, v[49:50]
	ds_write_b64 v76, v[47:48]
	;; [unrolled: 1-line block ×8, first 2 shown]
	s_waitcnt lgkmcnt(0)
	s_barrier
	ds_read2st64_b64 v[17:20], v71 offset1:1
	ds_read2st64_b64 v[21:24], v71 offset0:2 offset1:3
	ds_read2st64_b64 v[25:28], v71 offset0:4 offset1:5
	;; [unrolled: 1-line block ×3, first 2 shown]
	s_add_i32 s45, s45, -8
	s_add_i32 s44, s44, 8
	s_add_i32 s46, s46, 8
	s_mov_b64 s[28:29], 0
	s_waitcnt lgkmcnt(0)
	s_barrier
	s_branch .LBB383_3
.LBB383_28:
	s_add_u32 s0, s38, s40
	s_addc_u32 s1, s39, s41
	v_lshlrev_b32_e32 v0, 3, v0
	s_waitcnt lgkmcnt(3)
	v_add_u32_e32 v1, v3, v19
	v_add_u32_e32 v2, v4, v20
	v_add_u32_e32 v3, v5, v21
	v_add_u32_e32 v4, v6, v22
	s_waitcnt lgkmcnt(2)
	v_add_u32_e32 v5, v7, v23
	v_add_u32_e32 v6, v8, v24
	v_add_u32_e32 v7, v9, v25
	v_add_u32_e32 v8, v10, v26
	;; [unrolled: 5-line block ×4, first 2 shown]
	v_mov_b32_e32 v17, s1
	v_add_co_u32_e32 v18, vcc, s0, v0
	v_addc_co_u32_e32 v17, vcc, 0, v17, vcc
	global_store_dwordx2 v0, v[1:2], s[0:1]
	s_movk_i32 s0, 0x2000
	v_add_co_u32_e32 v0, vcc, s0, v18
	v_addc_co_u32_e32 v1, vcc, 0, v17, vcc
	s_movk_i32 s0, 0x4000
	global_store_dwordx2 v[0:1], v[3:4], off offset:-4096
	global_store_dwordx2 v[0:1], v[5:6], off
	v_add_co_u32_e32 v0, vcc, s0, v18
	v_addc_co_u32_e32 v1, vcc, 0, v17, vcc
	s_movk_i32 s0, 0x5000
	global_store_dwordx2 v[0:1], v[7:8], off offset:-4096
	global_store_dwordx2 v[0:1], v[9:10], off
	v_add_co_u32_e32 v0, vcc, s0, v18
	v_addc_co_u32_e32 v1, vcc, 0, v17, vcc
	global_store_dwordx2 v[0:1], v[11:12], off
	v_add_co_u32_e32 v0, vcc, 0x6000, v18
	v_addc_co_u32_e32 v1, vcc, 0, v17, vcc
	;; [unrolled: 3-line block ×3, first 2 shown]
	global_store_dwordx2 v[0:1], v[15:16], off
	s_endpgm
	.section	.rodata,"a",@progbits
	.p2align	6, 0x0
	.amdhsa_kernel _Z17sort_pairs_kernelI22helper_blocked_stripedN15benchmark_utils11custom_typeIiiEELj512ELj8ELj10EEvPKT0_PS4_
		.amdhsa_group_segment_fixed_size 32768
		.amdhsa_private_segment_fixed_size 0
		.amdhsa_kernarg_size 272
		.amdhsa_user_sgpr_count 6
		.amdhsa_user_sgpr_private_segment_buffer 1
		.amdhsa_user_sgpr_dispatch_ptr 0
		.amdhsa_user_sgpr_queue_ptr 0
		.amdhsa_user_sgpr_kernarg_segment_ptr 1
		.amdhsa_user_sgpr_dispatch_id 0
		.amdhsa_user_sgpr_flat_scratch_init 0
		.amdhsa_user_sgpr_private_segment_size 0
		.amdhsa_uses_dynamic_stack 0
		.amdhsa_system_sgpr_private_segment_wavefront_offset 0
		.amdhsa_system_sgpr_workgroup_id_x 1
		.amdhsa_system_sgpr_workgroup_id_y 0
		.amdhsa_system_sgpr_workgroup_id_z 0
		.amdhsa_system_sgpr_workgroup_info 0
		.amdhsa_system_vgpr_workitem_id 2
		.amdhsa_next_free_vgpr 83
		.amdhsa_next_free_sgpr 98
		.amdhsa_reserve_vcc 1
		.amdhsa_reserve_flat_scratch 0
		.amdhsa_float_round_mode_32 0
		.amdhsa_float_round_mode_16_64 0
		.amdhsa_float_denorm_mode_32 3
		.amdhsa_float_denorm_mode_16_64 3
		.amdhsa_dx10_clamp 1
		.amdhsa_ieee_mode 1
		.amdhsa_fp16_overflow 0
		.amdhsa_exception_fp_ieee_invalid_op 0
		.amdhsa_exception_fp_denorm_src 0
		.amdhsa_exception_fp_ieee_div_zero 0
		.amdhsa_exception_fp_ieee_overflow 0
		.amdhsa_exception_fp_ieee_underflow 0
		.amdhsa_exception_fp_ieee_inexact 0
		.amdhsa_exception_int_div_zero 0
	.end_amdhsa_kernel
	.section	.text._Z17sort_pairs_kernelI22helper_blocked_stripedN15benchmark_utils11custom_typeIiiEELj512ELj8ELj10EEvPKT0_PS4_,"axG",@progbits,_Z17sort_pairs_kernelI22helper_blocked_stripedN15benchmark_utils11custom_typeIiiEELj512ELj8ELj10EEvPKT0_PS4_,comdat
.Lfunc_end383:
	.size	_Z17sort_pairs_kernelI22helper_blocked_stripedN15benchmark_utils11custom_typeIiiEELj512ELj8ELj10EEvPKT0_PS4_, .Lfunc_end383-_Z17sort_pairs_kernelI22helper_blocked_stripedN15benchmark_utils11custom_typeIiiEELj512ELj8ELj10EEvPKT0_PS4_
                                        ; -- End function
	.set _Z17sort_pairs_kernelI22helper_blocked_stripedN15benchmark_utils11custom_typeIiiEELj512ELj8ELj10EEvPKT0_PS4_.num_vgpr, 83
	.set _Z17sort_pairs_kernelI22helper_blocked_stripedN15benchmark_utils11custom_typeIiiEELj512ELj8ELj10EEvPKT0_PS4_.num_agpr, 0
	.set _Z17sort_pairs_kernelI22helper_blocked_stripedN15benchmark_utils11custom_typeIiiEELj512ELj8ELj10EEvPKT0_PS4_.numbered_sgpr, 51
	.set _Z17sort_pairs_kernelI22helper_blocked_stripedN15benchmark_utils11custom_typeIiiEELj512ELj8ELj10EEvPKT0_PS4_.num_named_barrier, 0
	.set _Z17sort_pairs_kernelI22helper_blocked_stripedN15benchmark_utils11custom_typeIiiEELj512ELj8ELj10EEvPKT0_PS4_.private_seg_size, 0
	.set _Z17sort_pairs_kernelI22helper_blocked_stripedN15benchmark_utils11custom_typeIiiEELj512ELj8ELj10EEvPKT0_PS4_.uses_vcc, 1
	.set _Z17sort_pairs_kernelI22helper_blocked_stripedN15benchmark_utils11custom_typeIiiEELj512ELj8ELj10EEvPKT0_PS4_.uses_flat_scratch, 0
	.set _Z17sort_pairs_kernelI22helper_blocked_stripedN15benchmark_utils11custom_typeIiiEELj512ELj8ELj10EEvPKT0_PS4_.has_dyn_sized_stack, 0
	.set _Z17sort_pairs_kernelI22helper_blocked_stripedN15benchmark_utils11custom_typeIiiEELj512ELj8ELj10EEvPKT0_PS4_.has_recursion, 0
	.set _Z17sort_pairs_kernelI22helper_blocked_stripedN15benchmark_utils11custom_typeIiiEELj512ELj8ELj10EEvPKT0_PS4_.has_indirect_call, 0
	.section	.AMDGPU.csdata,"",@progbits
; Kernel info:
; codeLenInByte = 5856
; TotalNumSgprs: 55
; NumVgprs: 83
; ScratchSize: 0
; MemoryBound: 0
; FloatMode: 240
; IeeeMode: 1
; LDSByteSize: 32768 bytes/workgroup (compile time only)
; SGPRBlocks: 12
; VGPRBlocks: 20
; NumSGPRsForWavesPerEU: 102
; NumVGPRsForWavesPerEU: 83
; Occupancy: 3
; WaveLimiterHint : 1
; COMPUTE_PGM_RSRC2:SCRATCH_EN: 0
; COMPUTE_PGM_RSRC2:USER_SGPR: 6
; COMPUTE_PGM_RSRC2:TRAP_HANDLER: 0
; COMPUTE_PGM_RSRC2:TGID_X_EN: 1
; COMPUTE_PGM_RSRC2:TGID_Y_EN: 0
; COMPUTE_PGM_RSRC2:TGID_Z_EN: 0
; COMPUTE_PGM_RSRC2:TIDIG_COMP_CNT: 2
	.section	.AMDGPU.gpr_maximums,"",@progbits
	.set amdgpu.max_num_vgpr, 0
	.set amdgpu.max_num_agpr, 0
	.set amdgpu.max_num_sgpr, 0
	.section	.AMDGPU.csdata,"",@progbits
	.type	__hip_cuid_4a1d278ef3331fe8,@object ; @__hip_cuid_4a1d278ef3331fe8
	.section	.bss,"aw",@nobits
	.globl	__hip_cuid_4a1d278ef3331fe8
__hip_cuid_4a1d278ef3331fe8:
	.byte	0                               ; 0x0
	.size	__hip_cuid_4a1d278ef3331fe8, 1

	.ident	"AMD clang version 22.0.0git (https://github.com/RadeonOpenCompute/llvm-project roc-7.2.4 26084 f58b06dce1f9c15707c5f808fd002e18c2accf7e)"
	.section	".note.GNU-stack","",@progbits
	.addrsig
	.addrsig_sym __hip_cuid_4a1d278ef3331fe8
	.amdgpu_metadata
---
amdhsa.kernels:
  - .args:
      - .address_space:  global
        .offset:         0
        .size:           8
        .value_kind:     global_buffer
      - .address_space:  global
        .offset:         8
        .size:           8
        .value_kind:     global_buffer
      - .offset:         16
        .size:           4
        .value_kind:     hidden_block_count_x
      - .offset:         20
        .size:           4
        .value_kind:     hidden_block_count_y
      - .offset:         24
        .size:           4
        .value_kind:     hidden_block_count_z
      - .offset:         28
        .size:           2
        .value_kind:     hidden_group_size_x
      - .offset:         30
        .size:           2
        .value_kind:     hidden_group_size_y
      - .offset:         32
        .size:           2
        .value_kind:     hidden_group_size_z
      - .offset:         34
        .size:           2
        .value_kind:     hidden_remainder_x
      - .offset:         36
        .size:           2
        .value_kind:     hidden_remainder_y
      - .offset:         38
        .size:           2
        .value_kind:     hidden_remainder_z
      - .offset:         56
        .size:           8
        .value_kind:     hidden_global_offset_x
      - .offset:         64
        .size:           8
        .value_kind:     hidden_global_offset_y
      - .offset:         72
        .size:           8
        .value_kind:     hidden_global_offset_z
      - .offset:         80
        .size:           2
        .value_kind:     hidden_grid_dims
    .group_segment_fixed_size: 1040
    .kernarg_segment_align: 8
    .kernarg_segment_size: 272
    .language:       OpenCL C
    .language_version:
      - 2
      - 0
    .max_flat_workgroup_size: 64
    .name:           _Z16sort_keys_kernelI22helper_blocked_blockediLj64ELj1ELj10EEvPKT0_PS1_
    .private_segment_fixed_size: 0
    .sgpr_count:     28
    .sgpr_spill_count: 0
    .symbol:         _Z16sort_keys_kernelI22helper_blocked_blockediLj64ELj1ELj10EEvPKT0_PS1_.kd
    .uniform_work_group_size: 1
    .uses_dynamic_stack: false
    .vgpr_count:     23
    .vgpr_spill_count: 0
    .wavefront_size: 64
  - .args:
      - .address_space:  global
        .offset:         0
        .size:           8
        .value_kind:     global_buffer
      - .address_space:  global
        .offset:         8
        .size:           8
        .value_kind:     global_buffer
      - .offset:         16
        .size:           4
        .value_kind:     hidden_block_count_x
      - .offset:         20
        .size:           4
        .value_kind:     hidden_block_count_y
      - .offset:         24
        .size:           4
        .value_kind:     hidden_block_count_z
      - .offset:         28
        .size:           2
        .value_kind:     hidden_group_size_x
      - .offset:         30
        .size:           2
        .value_kind:     hidden_group_size_y
      - .offset:         32
        .size:           2
        .value_kind:     hidden_group_size_z
      - .offset:         34
        .size:           2
        .value_kind:     hidden_remainder_x
      - .offset:         36
        .size:           2
        .value_kind:     hidden_remainder_y
      - .offset:         38
        .size:           2
        .value_kind:     hidden_remainder_z
      - .offset:         56
        .size:           8
        .value_kind:     hidden_global_offset_x
      - .offset:         64
        .size:           8
        .value_kind:     hidden_global_offset_y
      - .offset:         72
        .size:           8
        .value_kind:     hidden_global_offset_z
      - .offset:         80
        .size:           2
        .value_kind:     hidden_grid_dims
    .group_segment_fixed_size: 1040
    .kernarg_segment_align: 8
    .kernarg_segment_size: 272
    .language:       OpenCL C
    .language_version:
      - 2
      - 0
    .max_flat_workgroup_size: 64
    .name:           _Z17sort_pairs_kernelI22helper_blocked_blockediLj64ELj1ELj10EEvPKT0_PS1_
    .private_segment_fixed_size: 0
    .sgpr_count:     30
    .sgpr_spill_count: 0
    .symbol:         _Z17sort_pairs_kernelI22helper_blocked_blockediLj64ELj1ELj10EEvPKT0_PS1_.kd
    .uniform_work_group_size: 1
    .uses_dynamic_stack: false
    .vgpr_count:     23
    .vgpr_spill_count: 0
    .wavefront_size: 64
  - .args:
      - .address_space:  global
        .offset:         0
        .size:           8
        .value_kind:     global_buffer
      - .address_space:  global
        .offset:         8
        .size:           8
        .value_kind:     global_buffer
      - .offset:         16
        .size:           4
        .value_kind:     hidden_block_count_x
      - .offset:         20
        .size:           4
        .value_kind:     hidden_block_count_y
      - .offset:         24
        .size:           4
        .value_kind:     hidden_block_count_z
      - .offset:         28
        .size:           2
        .value_kind:     hidden_group_size_x
      - .offset:         30
        .size:           2
        .value_kind:     hidden_group_size_y
      - .offset:         32
        .size:           2
        .value_kind:     hidden_group_size_z
      - .offset:         34
        .size:           2
        .value_kind:     hidden_remainder_x
      - .offset:         36
        .size:           2
        .value_kind:     hidden_remainder_y
      - .offset:         38
        .size:           2
        .value_kind:     hidden_remainder_z
      - .offset:         56
        .size:           8
        .value_kind:     hidden_global_offset_x
      - .offset:         64
        .size:           8
        .value_kind:     hidden_global_offset_y
      - .offset:         72
        .size:           8
        .value_kind:     hidden_global_offset_z
      - .offset:         80
        .size:           2
        .value_kind:     hidden_grid_dims
    .group_segment_fixed_size: 1040
    .kernarg_segment_align: 8
    .kernarg_segment_size: 272
    .language:       OpenCL C
    .language_version:
      - 2
      - 0
    .max_flat_workgroup_size: 64
    .name:           _Z16sort_keys_kernelI22helper_blocked_blockediLj64ELj3ELj10EEvPKT0_PS1_
    .private_segment_fixed_size: 0
    .sgpr_count:     30
    .sgpr_spill_count: 0
    .symbol:         _Z16sort_keys_kernelI22helper_blocked_blockediLj64ELj3ELj10EEvPKT0_PS1_.kd
    .uniform_work_group_size: 1
    .uses_dynamic_stack: false
    .vgpr_count:     25
    .vgpr_spill_count: 0
    .wavefront_size: 64
  - .args:
      - .address_space:  global
        .offset:         0
        .size:           8
        .value_kind:     global_buffer
      - .address_space:  global
        .offset:         8
        .size:           8
        .value_kind:     global_buffer
      - .offset:         16
        .size:           4
        .value_kind:     hidden_block_count_x
      - .offset:         20
        .size:           4
        .value_kind:     hidden_block_count_y
      - .offset:         24
        .size:           4
        .value_kind:     hidden_block_count_z
      - .offset:         28
        .size:           2
        .value_kind:     hidden_group_size_x
      - .offset:         30
        .size:           2
        .value_kind:     hidden_group_size_y
      - .offset:         32
        .size:           2
        .value_kind:     hidden_group_size_z
      - .offset:         34
        .size:           2
        .value_kind:     hidden_remainder_x
      - .offset:         36
        .size:           2
        .value_kind:     hidden_remainder_y
      - .offset:         38
        .size:           2
        .value_kind:     hidden_remainder_z
      - .offset:         56
        .size:           8
        .value_kind:     hidden_global_offset_x
      - .offset:         64
        .size:           8
        .value_kind:     hidden_global_offset_y
      - .offset:         72
        .size:           8
        .value_kind:     hidden_global_offset_z
      - .offset:         80
        .size:           2
        .value_kind:     hidden_grid_dims
    .group_segment_fixed_size: 1040
    .kernarg_segment_align: 8
    .kernarg_segment_size: 272
    .language:       OpenCL C
    .language_version:
      - 2
      - 0
    .max_flat_workgroup_size: 64
    .name:           _Z17sort_pairs_kernelI22helper_blocked_blockediLj64ELj3ELj10EEvPKT0_PS1_
    .private_segment_fixed_size: 0
    .sgpr_count:     30
    .sgpr_spill_count: 0
    .symbol:         _Z17sort_pairs_kernelI22helper_blocked_blockediLj64ELj3ELj10EEvPKT0_PS1_.kd
    .uniform_work_group_size: 1
    .uses_dynamic_stack: false
    .vgpr_count:     28
    .vgpr_spill_count: 0
    .wavefront_size: 64
  - .args:
      - .address_space:  global
        .offset:         0
        .size:           8
        .value_kind:     global_buffer
      - .address_space:  global
        .offset:         8
        .size:           8
        .value_kind:     global_buffer
      - .offset:         16
        .size:           4
        .value_kind:     hidden_block_count_x
      - .offset:         20
        .size:           4
        .value_kind:     hidden_block_count_y
      - .offset:         24
        .size:           4
        .value_kind:     hidden_block_count_z
      - .offset:         28
        .size:           2
        .value_kind:     hidden_group_size_x
      - .offset:         30
        .size:           2
        .value_kind:     hidden_group_size_y
      - .offset:         32
        .size:           2
        .value_kind:     hidden_group_size_z
      - .offset:         34
        .size:           2
        .value_kind:     hidden_remainder_x
      - .offset:         36
        .size:           2
        .value_kind:     hidden_remainder_y
      - .offset:         38
        .size:           2
        .value_kind:     hidden_remainder_z
      - .offset:         56
        .size:           8
        .value_kind:     hidden_global_offset_x
      - .offset:         64
        .size:           8
        .value_kind:     hidden_global_offset_y
      - .offset:         72
        .size:           8
        .value_kind:     hidden_global_offset_z
      - .offset:         80
        .size:           2
        .value_kind:     hidden_grid_dims
    .group_segment_fixed_size: 1040
    .kernarg_segment_align: 8
    .kernarg_segment_size: 272
    .language:       OpenCL C
    .language_version:
      - 2
      - 0
    .max_flat_workgroup_size: 64
    .name:           _Z16sort_keys_kernelI22helper_blocked_blockediLj64ELj4ELj10EEvPKT0_PS1_
    .private_segment_fixed_size: 0
    .sgpr_count:     40
    .sgpr_spill_count: 0
    .symbol:         _Z16sort_keys_kernelI22helper_blocked_blockediLj64ELj4ELj10EEvPKT0_PS1_.kd
    .uniform_work_group_size: 1
    .uses_dynamic_stack: false
    .vgpr_count:     31
    .vgpr_spill_count: 0
    .wavefront_size: 64
  - .args:
      - .address_space:  global
        .offset:         0
        .size:           8
        .value_kind:     global_buffer
      - .address_space:  global
        .offset:         8
        .size:           8
        .value_kind:     global_buffer
      - .offset:         16
        .size:           4
        .value_kind:     hidden_block_count_x
      - .offset:         20
        .size:           4
        .value_kind:     hidden_block_count_y
      - .offset:         24
        .size:           4
        .value_kind:     hidden_block_count_z
      - .offset:         28
        .size:           2
        .value_kind:     hidden_group_size_x
      - .offset:         30
        .size:           2
        .value_kind:     hidden_group_size_y
      - .offset:         32
        .size:           2
        .value_kind:     hidden_group_size_z
      - .offset:         34
        .size:           2
        .value_kind:     hidden_remainder_x
      - .offset:         36
        .size:           2
        .value_kind:     hidden_remainder_y
      - .offset:         38
        .size:           2
        .value_kind:     hidden_remainder_z
      - .offset:         56
        .size:           8
        .value_kind:     hidden_global_offset_x
      - .offset:         64
        .size:           8
        .value_kind:     hidden_global_offset_y
      - .offset:         72
        .size:           8
        .value_kind:     hidden_global_offset_z
      - .offset:         80
        .size:           2
        .value_kind:     hidden_grid_dims
    .group_segment_fixed_size: 1040
    .kernarg_segment_align: 8
    .kernarg_segment_size: 272
    .language:       OpenCL C
    .language_version:
      - 2
      - 0
    .max_flat_workgroup_size: 64
    .name:           _Z17sort_pairs_kernelI22helper_blocked_blockediLj64ELj4ELj10EEvPKT0_PS1_
    .private_segment_fixed_size: 0
    .sgpr_count:     40
    .sgpr_spill_count: 0
    .symbol:         _Z17sort_pairs_kernelI22helper_blocked_blockediLj64ELj4ELj10EEvPKT0_PS1_.kd
    .uniform_work_group_size: 1
    .uses_dynamic_stack: false
    .vgpr_count:     36
    .vgpr_spill_count: 0
    .wavefront_size: 64
  - .args:
      - .address_space:  global
        .offset:         0
        .size:           8
        .value_kind:     global_buffer
      - .address_space:  global
        .offset:         8
        .size:           8
        .value_kind:     global_buffer
      - .offset:         16
        .size:           4
        .value_kind:     hidden_block_count_x
      - .offset:         20
        .size:           4
        .value_kind:     hidden_block_count_y
      - .offset:         24
        .size:           4
        .value_kind:     hidden_block_count_z
      - .offset:         28
        .size:           2
        .value_kind:     hidden_group_size_x
      - .offset:         30
        .size:           2
        .value_kind:     hidden_group_size_y
      - .offset:         32
        .size:           2
        .value_kind:     hidden_group_size_z
      - .offset:         34
        .size:           2
        .value_kind:     hidden_remainder_x
      - .offset:         36
        .size:           2
        .value_kind:     hidden_remainder_y
      - .offset:         38
        .size:           2
        .value_kind:     hidden_remainder_z
      - .offset:         56
        .size:           8
        .value_kind:     hidden_global_offset_x
      - .offset:         64
        .size:           8
        .value_kind:     hidden_global_offset_y
      - .offset:         72
        .size:           8
        .value_kind:     hidden_global_offset_z
      - .offset:         80
        .size:           2
        .value_kind:     hidden_grid_dims
    .group_segment_fixed_size: 2048
    .kernarg_segment_align: 8
    .kernarg_segment_size: 272
    .language:       OpenCL C
    .language_version:
      - 2
      - 0
    .max_flat_workgroup_size: 64
    .name:           _Z16sort_keys_kernelI22helper_blocked_blockediLj64ELj8ELj10EEvPKT0_PS1_
    .private_segment_fixed_size: 0
    .sgpr_count:     30
    .sgpr_spill_count: 0
    .symbol:         _Z16sort_keys_kernelI22helper_blocked_blockediLj64ELj8ELj10EEvPKT0_PS1_.kd
    .uniform_work_group_size: 1
    .uses_dynamic_stack: false
    .vgpr_count:     45
    .vgpr_spill_count: 0
    .wavefront_size: 64
  - .args:
      - .address_space:  global
        .offset:         0
        .size:           8
        .value_kind:     global_buffer
      - .address_space:  global
        .offset:         8
        .size:           8
        .value_kind:     global_buffer
      - .offset:         16
        .size:           4
        .value_kind:     hidden_block_count_x
      - .offset:         20
        .size:           4
        .value_kind:     hidden_block_count_y
      - .offset:         24
        .size:           4
        .value_kind:     hidden_block_count_z
      - .offset:         28
        .size:           2
        .value_kind:     hidden_group_size_x
      - .offset:         30
        .size:           2
        .value_kind:     hidden_group_size_y
      - .offset:         32
        .size:           2
        .value_kind:     hidden_group_size_z
      - .offset:         34
        .size:           2
        .value_kind:     hidden_remainder_x
      - .offset:         36
        .size:           2
        .value_kind:     hidden_remainder_y
      - .offset:         38
        .size:           2
        .value_kind:     hidden_remainder_z
      - .offset:         56
        .size:           8
        .value_kind:     hidden_global_offset_x
      - .offset:         64
        .size:           8
        .value_kind:     hidden_global_offset_y
      - .offset:         72
        .size:           8
        .value_kind:     hidden_global_offset_z
      - .offset:         80
        .size:           2
        .value_kind:     hidden_grid_dims
    .group_segment_fixed_size: 2048
    .kernarg_segment_align: 8
    .kernarg_segment_size: 272
    .language:       OpenCL C
    .language_version:
      - 2
      - 0
    .max_flat_workgroup_size: 64
    .name:           _Z17sort_pairs_kernelI22helper_blocked_blockediLj64ELj8ELj10EEvPKT0_PS1_
    .private_segment_fixed_size: 0
    .sgpr_count:     30
    .sgpr_spill_count: 0
    .symbol:         _Z17sort_pairs_kernelI22helper_blocked_blockediLj64ELj8ELj10EEvPKT0_PS1_.kd
    .uniform_work_group_size: 1
    .uses_dynamic_stack: false
    .vgpr_count:     54
    .vgpr_spill_count: 0
    .wavefront_size: 64
  - .args:
      - .address_space:  global
        .offset:         0
        .size:           8
        .value_kind:     global_buffer
      - .address_space:  global
        .offset:         8
        .size:           8
        .value_kind:     global_buffer
      - .offset:         16
        .size:           4
        .value_kind:     hidden_block_count_x
      - .offset:         20
        .size:           4
        .value_kind:     hidden_block_count_y
      - .offset:         24
        .size:           4
        .value_kind:     hidden_block_count_z
      - .offset:         28
        .size:           2
        .value_kind:     hidden_group_size_x
      - .offset:         30
        .size:           2
        .value_kind:     hidden_group_size_y
      - .offset:         32
        .size:           2
        .value_kind:     hidden_group_size_z
      - .offset:         34
        .size:           2
        .value_kind:     hidden_remainder_x
      - .offset:         36
        .size:           2
        .value_kind:     hidden_remainder_y
      - .offset:         38
        .size:           2
        .value_kind:     hidden_remainder_z
      - .offset:         56
        .size:           8
        .value_kind:     hidden_global_offset_x
      - .offset:         64
        .size:           8
        .value_kind:     hidden_global_offset_y
      - .offset:         72
        .size:           8
        .value_kind:     hidden_global_offset_z
      - .offset:         80
        .size:           2
        .value_kind:     hidden_grid_dims
    .group_segment_fixed_size: 2064
    .kernarg_segment_align: 8
    .kernarg_segment_size: 272
    .language:       OpenCL C
    .language_version:
      - 2
      - 0
    .max_flat_workgroup_size: 128
    .name:           _Z16sort_keys_kernelI22helper_blocked_blockediLj128ELj1ELj10EEvPKT0_PS1_
    .private_segment_fixed_size: 0
    .sgpr_count:     41
    .sgpr_spill_count: 0
    .symbol:         _Z16sort_keys_kernelI22helper_blocked_blockediLj128ELj1ELj10EEvPKT0_PS1_.kd
    .uniform_work_group_size: 1
    .uses_dynamic_stack: false
    .vgpr_count:     31
    .vgpr_spill_count: 0
    .wavefront_size: 64
  - .args:
      - .address_space:  global
        .offset:         0
        .size:           8
        .value_kind:     global_buffer
      - .address_space:  global
        .offset:         8
        .size:           8
        .value_kind:     global_buffer
      - .offset:         16
        .size:           4
        .value_kind:     hidden_block_count_x
      - .offset:         20
        .size:           4
        .value_kind:     hidden_block_count_y
      - .offset:         24
        .size:           4
        .value_kind:     hidden_block_count_z
      - .offset:         28
        .size:           2
        .value_kind:     hidden_group_size_x
      - .offset:         30
        .size:           2
        .value_kind:     hidden_group_size_y
      - .offset:         32
        .size:           2
        .value_kind:     hidden_group_size_z
      - .offset:         34
        .size:           2
        .value_kind:     hidden_remainder_x
      - .offset:         36
        .size:           2
        .value_kind:     hidden_remainder_y
      - .offset:         38
        .size:           2
        .value_kind:     hidden_remainder_z
      - .offset:         56
        .size:           8
        .value_kind:     hidden_global_offset_x
      - .offset:         64
        .size:           8
        .value_kind:     hidden_global_offset_y
      - .offset:         72
        .size:           8
        .value_kind:     hidden_global_offset_z
      - .offset:         80
        .size:           2
        .value_kind:     hidden_grid_dims
    .group_segment_fixed_size: 2064
    .kernarg_segment_align: 8
    .kernarg_segment_size: 272
    .language:       OpenCL C
    .language_version:
      - 2
      - 0
    .max_flat_workgroup_size: 128
    .name:           _Z17sort_pairs_kernelI22helper_blocked_blockediLj128ELj1ELj10EEvPKT0_PS1_
    .private_segment_fixed_size: 0
    .sgpr_count:     41
    .sgpr_spill_count: 0
    .symbol:         _Z17sort_pairs_kernelI22helper_blocked_blockediLj128ELj1ELj10EEvPKT0_PS1_.kd
    .uniform_work_group_size: 1
    .uses_dynamic_stack: false
    .vgpr_count:     32
    .vgpr_spill_count: 0
    .wavefront_size: 64
  - .args:
      - .address_space:  global
        .offset:         0
        .size:           8
        .value_kind:     global_buffer
      - .address_space:  global
        .offset:         8
        .size:           8
        .value_kind:     global_buffer
      - .offset:         16
        .size:           4
        .value_kind:     hidden_block_count_x
      - .offset:         20
        .size:           4
        .value_kind:     hidden_block_count_y
      - .offset:         24
        .size:           4
        .value_kind:     hidden_block_count_z
      - .offset:         28
        .size:           2
        .value_kind:     hidden_group_size_x
      - .offset:         30
        .size:           2
        .value_kind:     hidden_group_size_y
      - .offset:         32
        .size:           2
        .value_kind:     hidden_group_size_z
      - .offset:         34
        .size:           2
        .value_kind:     hidden_remainder_x
      - .offset:         36
        .size:           2
        .value_kind:     hidden_remainder_y
      - .offset:         38
        .size:           2
        .value_kind:     hidden_remainder_z
      - .offset:         56
        .size:           8
        .value_kind:     hidden_global_offset_x
      - .offset:         64
        .size:           8
        .value_kind:     hidden_global_offset_y
      - .offset:         72
        .size:           8
        .value_kind:     hidden_global_offset_z
      - .offset:         80
        .size:           2
        .value_kind:     hidden_grid_dims
    .group_segment_fixed_size: 2064
    .kernarg_segment_align: 8
    .kernarg_segment_size: 272
    .language:       OpenCL C
    .language_version:
      - 2
      - 0
    .max_flat_workgroup_size: 128
    .name:           _Z16sort_keys_kernelI22helper_blocked_blockediLj128ELj3ELj10EEvPKT0_PS1_
    .private_segment_fixed_size: 0
    .sgpr_count:     40
    .sgpr_spill_count: 0
    .symbol:         _Z16sort_keys_kernelI22helper_blocked_blockediLj128ELj3ELj10EEvPKT0_PS1_.kd
    .uniform_work_group_size: 1
    .uses_dynamic_stack: false
    .vgpr_count:     35
    .vgpr_spill_count: 0
    .wavefront_size: 64
  - .args:
      - .address_space:  global
        .offset:         0
        .size:           8
        .value_kind:     global_buffer
      - .address_space:  global
        .offset:         8
        .size:           8
        .value_kind:     global_buffer
      - .offset:         16
        .size:           4
        .value_kind:     hidden_block_count_x
      - .offset:         20
        .size:           4
        .value_kind:     hidden_block_count_y
      - .offset:         24
        .size:           4
        .value_kind:     hidden_block_count_z
      - .offset:         28
        .size:           2
        .value_kind:     hidden_group_size_x
      - .offset:         30
        .size:           2
        .value_kind:     hidden_group_size_y
      - .offset:         32
        .size:           2
        .value_kind:     hidden_group_size_z
      - .offset:         34
        .size:           2
        .value_kind:     hidden_remainder_x
      - .offset:         36
        .size:           2
        .value_kind:     hidden_remainder_y
      - .offset:         38
        .size:           2
        .value_kind:     hidden_remainder_z
      - .offset:         56
        .size:           8
        .value_kind:     hidden_global_offset_x
      - .offset:         64
        .size:           8
        .value_kind:     hidden_global_offset_y
      - .offset:         72
        .size:           8
        .value_kind:     hidden_global_offset_z
      - .offset:         80
        .size:           2
        .value_kind:     hidden_grid_dims
    .group_segment_fixed_size: 2064
    .kernarg_segment_align: 8
    .kernarg_segment_size: 272
    .language:       OpenCL C
    .language_version:
      - 2
      - 0
    .max_flat_workgroup_size: 128
    .name:           _Z17sort_pairs_kernelI22helper_blocked_blockediLj128ELj3ELj10EEvPKT0_PS1_
    .private_segment_fixed_size: 0
    .sgpr_count:     42
    .sgpr_spill_count: 0
    .symbol:         _Z17sort_pairs_kernelI22helper_blocked_blockediLj128ELj3ELj10EEvPKT0_PS1_.kd
    .uniform_work_group_size: 1
    .uses_dynamic_stack: false
    .vgpr_count:     34
    .vgpr_spill_count: 0
    .wavefront_size: 64
  - .args:
      - .address_space:  global
        .offset:         0
        .size:           8
        .value_kind:     global_buffer
      - .address_space:  global
        .offset:         8
        .size:           8
        .value_kind:     global_buffer
      - .offset:         16
        .size:           4
        .value_kind:     hidden_block_count_x
      - .offset:         20
        .size:           4
        .value_kind:     hidden_block_count_y
      - .offset:         24
        .size:           4
        .value_kind:     hidden_block_count_z
      - .offset:         28
        .size:           2
        .value_kind:     hidden_group_size_x
      - .offset:         30
        .size:           2
        .value_kind:     hidden_group_size_y
      - .offset:         32
        .size:           2
        .value_kind:     hidden_group_size_z
      - .offset:         34
        .size:           2
        .value_kind:     hidden_remainder_x
      - .offset:         36
        .size:           2
        .value_kind:     hidden_remainder_y
      - .offset:         38
        .size:           2
        .value_kind:     hidden_remainder_z
      - .offset:         56
        .size:           8
        .value_kind:     hidden_global_offset_x
      - .offset:         64
        .size:           8
        .value_kind:     hidden_global_offset_y
      - .offset:         72
        .size:           8
        .value_kind:     hidden_global_offset_z
      - .offset:         80
        .size:           2
        .value_kind:     hidden_grid_dims
    .group_segment_fixed_size: 2064
    .kernarg_segment_align: 8
    .kernarg_segment_size: 272
    .language:       OpenCL C
    .language_version:
      - 2
      - 0
    .max_flat_workgroup_size: 128
    .name:           _Z16sort_keys_kernelI22helper_blocked_blockediLj128ELj4ELj10EEvPKT0_PS1_
    .private_segment_fixed_size: 0
    .sgpr_count:     50
    .sgpr_spill_count: 0
    .symbol:         _Z16sort_keys_kernelI22helper_blocked_blockediLj128ELj4ELj10EEvPKT0_PS1_.kd
    .uniform_work_group_size: 1
    .uses_dynamic_stack: false
    .vgpr_count:     37
    .vgpr_spill_count: 0
    .wavefront_size: 64
  - .args:
      - .address_space:  global
        .offset:         0
        .size:           8
        .value_kind:     global_buffer
      - .address_space:  global
        .offset:         8
        .size:           8
        .value_kind:     global_buffer
      - .offset:         16
        .size:           4
        .value_kind:     hidden_block_count_x
      - .offset:         20
        .size:           4
        .value_kind:     hidden_block_count_y
      - .offset:         24
        .size:           4
        .value_kind:     hidden_block_count_z
      - .offset:         28
        .size:           2
        .value_kind:     hidden_group_size_x
      - .offset:         30
        .size:           2
        .value_kind:     hidden_group_size_y
      - .offset:         32
        .size:           2
        .value_kind:     hidden_group_size_z
      - .offset:         34
        .size:           2
        .value_kind:     hidden_remainder_x
      - .offset:         36
        .size:           2
        .value_kind:     hidden_remainder_y
      - .offset:         38
        .size:           2
        .value_kind:     hidden_remainder_z
      - .offset:         56
        .size:           8
        .value_kind:     hidden_global_offset_x
      - .offset:         64
        .size:           8
        .value_kind:     hidden_global_offset_y
      - .offset:         72
        .size:           8
        .value_kind:     hidden_global_offset_z
      - .offset:         80
        .size:           2
        .value_kind:     hidden_grid_dims
    .group_segment_fixed_size: 2064
    .kernarg_segment_align: 8
    .kernarg_segment_size: 272
    .language:       OpenCL C
    .language_version:
      - 2
      - 0
    .max_flat_workgroup_size: 128
    .name:           _Z17sort_pairs_kernelI22helper_blocked_blockediLj128ELj4ELj10EEvPKT0_PS1_
    .private_segment_fixed_size: 0
    .sgpr_count:     50
    .sgpr_spill_count: 0
    .symbol:         _Z17sort_pairs_kernelI22helper_blocked_blockediLj128ELj4ELj10EEvPKT0_PS1_.kd
    .uniform_work_group_size: 1
    .uses_dynamic_stack: false
    .vgpr_count:     41
    .vgpr_spill_count: 0
    .wavefront_size: 64
  - .args:
      - .address_space:  global
        .offset:         0
        .size:           8
        .value_kind:     global_buffer
      - .address_space:  global
        .offset:         8
        .size:           8
        .value_kind:     global_buffer
      - .offset:         16
        .size:           4
        .value_kind:     hidden_block_count_x
      - .offset:         20
        .size:           4
        .value_kind:     hidden_block_count_y
      - .offset:         24
        .size:           4
        .value_kind:     hidden_block_count_z
      - .offset:         28
        .size:           2
        .value_kind:     hidden_group_size_x
      - .offset:         30
        .size:           2
        .value_kind:     hidden_group_size_y
      - .offset:         32
        .size:           2
        .value_kind:     hidden_group_size_z
      - .offset:         34
        .size:           2
        .value_kind:     hidden_remainder_x
      - .offset:         36
        .size:           2
        .value_kind:     hidden_remainder_y
      - .offset:         38
        .size:           2
        .value_kind:     hidden_remainder_z
      - .offset:         56
        .size:           8
        .value_kind:     hidden_global_offset_x
      - .offset:         64
        .size:           8
        .value_kind:     hidden_global_offset_y
      - .offset:         72
        .size:           8
        .value_kind:     hidden_global_offset_z
      - .offset:         80
        .size:           2
        .value_kind:     hidden_grid_dims
    .group_segment_fixed_size: 4096
    .kernarg_segment_align: 8
    .kernarg_segment_size: 272
    .language:       OpenCL C
    .language_version:
      - 2
      - 0
    .max_flat_workgroup_size: 128
    .name:           _Z16sort_keys_kernelI22helper_blocked_blockediLj128ELj8ELj10EEvPKT0_PS1_
    .private_segment_fixed_size: 0
    .sgpr_count:     40
    .sgpr_spill_count: 0
    .symbol:         _Z16sort_keys_kernelI22helper_blocked_blockediLj128ELj8ELj10EEvPKT0_PS1_.kd
    .uniform_work_group_size: 1
    .uses_dynamic_stack: false
    .vgpr_count:     54
    .vgpr_spill_count: 0
    .wavefront_size: 64
  - .args:
      - .address_space:  global
        .offset:         0
        .size:           8
        .value_kind:     global_buffer
      - .address_space:  global
        .offset:         8
        .size:           8
        .value_kind:     global_buffer
      - .offset:         16
        .size:           4
        .value_kind:     hidden_block_count_x
      - .offset:         20
        .size:           4
        .value_kind:     hidden_block_count_y
      - .offset:         24
        .size:           4
        .value_kind:     hidden_block_count_z
      - .offset:         28
        .size:           2
        .value_kind:     hidden_group_size_x
      - .offset:         30
        .size:           2
        .value_kind:     hidden_group_size_y
      - .offset:         32
        .size:           2
        .value_kind:     hidden_group_size_z
      - .offset:         34
        .size:           2
        .value_kind:     hidden_remainder_x
      - .offset:         36
        .size:           2
        .value_kind:     hidden_remainder_y
      - .offset:         38
        .size:           2
        .value_kind:     hidden_remainder_z
      - .offset:         56
        .size:           8
        .value_kind:     hidden_global_offset_x
      - .offset:         64
        .size:           8
        .value_kind:     hidden_global_offset_y
      - .offset:         72
        .size:           8
        .value_kind:     hidden_global_offset_z
      - .offset:         80
        .size:           2
        .value_kind:     hidden_grid_dims
    .group_segment_fixed_size: 4096
    .kernarg_segment_align: 8
    .kernarg_segment_size: 272
    .language:       OpenCL C
    .language_version:
      - 2
      - 0
    .max_flat_workgroup_size: 128
    .name:           _Z17sort_pairs_kernelI22helper_blocked_blockediLj128ELj8ELj10EEvPKT0_PS1_
    .private_segment_fixed_size: 0
    .sgpr_count:     42
    .sgpr_spill_count: 0
    .symbol:         _Z17sort_pairs_kernelI22helper_blocked_blockediLj128ELj8ELj10EEvPKT0_PS1_.kd
    .uniform_work_group_size: 1
    .uses_dynamic_stack: false
    .vgpr_count:     58
    .vgpr_spill_count: 0
    .wavefront_size: 64
  - .args:
      - .address_space:  global
        .offset:         0
        .size:           8
        .value_kind:     global_buffer
      - .address_space:  global
        .offset:         8
        .size:           8
        .value_kind:     global_buffer
      - .offset:         16
        .size:           4
        .value_kind:     hidden_block_count_x
      - .offset:         20
        .size:           4
        .value_kind:     hidden_block_count_y
      - .offset:         24
        .size:           4
        .value_kind:     hidden_block_count_z
      - .offset:         28
        .size:           2
        .value_kind:     hidden_group_size_x
      - .offset:         30
        .size:           2
        .value_kind:     hidden_group_size_y
      - .offset:         32
        .size:           2
        .value_kind:     hidden_group_size_z
      - .offset:         34
        .size:           2
        .value_kind:     hidden_remainder_x
      - .offset:         36
        .size:           2
        .value_kind:     hidden_remainder_y
      - .offset:         38
        .size:           2
        .value_kind:     hidden_remainder_z
      - .offset:         56
        .size:           8
        .value_kind:     hidden_global_offset_x
      - .offset:         64
        .size:           8
        .value_kind:     hidden_global_offset_y
      - .offset:         72
        .size:           8
        .value_kind:     hidden_global_offset_z
      - .offset:         80
        .size:           2
        .value_kind:     hidden_grid_dims
    .group_segment_fixed_size: 3088
    .kernarg_segment_align: 8
    .kernarg_segment_size: 272
    .language:       OpenCL C
    .language_version:
      - 2
      - 0
    .max_flat_workgroup_size: 192
    .name:           _Z16sort_keys_kernelI22helper_blocked_blockediLj192ELj1ELj10EEvPKT0_PS1_
    .private_segment_fixed_size: 0
    .sgpr_count:     40
    .sgpr_spill_count: 0
    .symbol:         _Z16sort_keys_kernelI22helper_blocked_blockediLj192ELj1ELj10EEvPKT0_PS1_.kd
    .uniform_work_group_size: 1
    .uses_dynamic_stack: false
    .vgpr_count:     27
    .vgpr_spill_count: 0
    .wavefront_size: 64
  - .args:
      - .address_space:  global
        .offset:         0
        .size:           8
        .value_kind:     global_buffer
      - .address_space:  global
        .offset:         8
        .size:           8
        .value_kind:     global_buffer
      - .offset:         16
        .size:           4
        .value_kind:     hidden_block_count_x
      - .offset:         20
        .size:           4
        .value_kind:     hidden_block_count_y
      - .offset:         24
        .size:           4
        .value_kind:     hidden_block_count_z
      - .offset:         28
        .size:           2
        .value_kind:     hidden_group_size_x
      - .offset:         30
        .size:           2
        .value_kind:     hidden_group_size_y
      - .offset:         32
        .size:           2
        .value_kind:     hidden_group_size_z
      - .offset:         34
        .size:           2
        .value_kind:     hidden_remainder_x
      - .offset:         36
        .size:           2
        .value_kind:     hidden_remainder_y
      - .offset:         38
        .size:           2
        .value_kind:     hidden_remainder_z
      - .offset:         56
        .size:           8
        .value_kind:     hidden_global_offset_x
      - .offset:         64
        .size:           8
        .value_kind:     hidden_global_offset_y
      - .offset:         72
        .size:           8
        .value_kind:     hidden_global_offset_z
      - .offset:         80
        .size:           2
        .value_kind:     hidden_grid_dims
    .group_segment_fixed_size: 3088
    .kernarg_segment_align: 8
    .kernarg_segment_size: 272
    .language:       OpenCL C
    .language_version:
      - 2
      - 0
    .max_flat_workgroup_size: 192
    .name:           _Z17sort_pairs_kernelI22helper_blocked_blockediLj192ELj1ELj10EEvPKT0_PS1_
    .private_segment_fixed_size: 0
    .sgpr_count:     40
    .sgpr_spill_count: 0
    .symbol:         _Z17sort_pairs_kernelI22helper_blocked_blockediLj192ELj1ELj10EEvPKT0_PS1_.kd
    .uniform_work_group_size: 1
    .uses_dynamic_stack: false
    .vgpr_count:     28
    .vgpr_spill_count: 0
    .wavefront_size: 64
  - .args:
      - .address_space:  global
        .offset:         0
        .size:           8
        .value_kind:     global_buffer
      - .address_space:  global
        .offset:         8
        .size:           8
        .value_kind:     global_buffer
      - .offset:         16
        .size:           4
        .value_kind:     hidden_block_count_x
      - .offset:         20
        .size:           4
        .value_kind:     hidden_block_count_y
      - .offset:         24
        .size:           4
        .value_kind:     hidden_block_count_z
      - .offset:         28
        .size:           2
        .value_kind:     hidden_group_size_x
      - .offset:         30
        .size:           2
        .value_kind:     hidden_group_size_y
      - .offset:         32
        .size:           2
        .value_kind:     hidden_group_size_z
      - .offset:         34
        .size:           2
        .value_kind:     hidden_remainder_x
      - .offset:         36
        .size:           2
        .value_kind:     hidden_remainder_y
      - .offset:         38
        .size:           2
        .value_kind:     hidden_remainder_z
      - .offset:         56
        .size:           8
        .value_kind:     hidden_global_offset_x
      - .offset:         64
        .size:           8
        .value_kind:     hidden_global_offset_y
      - .offset:         72
        .size:           8
        .value_kind:     hidden_global_offset_z
      - .offset:         80
        .size:           2
        .value_kind:     hidden_grid_dims
    .group_segment_fixed_size: 3088
    .kernarg_segment_align: 8
    .kernarg_segment_size: 272
    .language:       OpenCL C
    .language_version:
      - 2
      - 0
    .max_flat_workgroup_size: 192
    .name:           _Z16sort_keys_kernelI22helper_blocked_blockediLj192ELj3ELj10EEvPKT0_PS1_
    .private_segment_fixed_size: 0
    .sgpr_count:     42
    .sgpr_spill_count: 0
    .symbol:         _Z16sort_keys_kernelI22helper_blocked_blockediLj192ELj3ELj10EEvPKT0_PS1_.kd
    .uniform_work_group_size: 1
    .uses_dynamic_stack: false
    .vgpr_count:     31
    .vgpr_spill_count: 0
    .wavefront_size: 64
  - .args:
      - .address_space:  global
        .offset:         0
        .size:           8
        .value_kind:     global_buffer
      - .address_space:  global
        .offset:         8
        .size:           8
        .value_kind:     global_buffer
      - .offset:         16
        .size:           4
        .value_kind:     hidden_block_count_x
      - .offset:         20
        .size:           4
        .value_kind:     hidden_block_count_y
      - .offset:         24
        .size:           4
        .value_kind:     hidden_block_count_z
      - .offset:         28
        .size:           2
        .value_kind:     hidden_group_size_x
      - .offset:         30
        .size:           2
        .value_kind:     hidden_group_size_y
      - .offset:         32
        .size:           2
        .value_kind:     hidden_group_size_z
      - .offset:         34
        .size:           2
        .value_kind:     hidden_remainder_x
      - .offset:         36
        .size:           2
        .value_kind:     hidden_remainder_y
      - .offset:         38
        .size:           2
        .value_kind:     hidden_remainder_z
      - .offset:         56
        .size:           8
        .value_kind:     hidden_global_offset_x
      - .offset:         64
        .size:           8
        .value_kind:     hidden_global_offset_y
      - .offset:         72
        .size:           8
        .value_kind:     hidden_global_offset_z
      - .offset:         80
        .size:           2
        .value_kind:     hidden_grid_dims
    .group_segment_fixed_size: 3088
    .kernarg_segment_align: 8
    .kernarg_segment_size: 272
    .language:       OpenCL C
    .language_version:
      - 2
      - 0
    .max_flat_workgroup_size: 192
    .name:           _Z17sort_pairs_kernelI22helper_blocked_blockediLj192ELj3ELj10EEvPKT0_PS1_
    .private_segment_fixed_size: 0
    .sgpr_count:     42
    .sgpr_spill_count: 0
    .symbol:         _Z17sort_pairs_kernelI22helper_blocked_blockediLj192ELj3ELj10EEvPKT0_PS1_.kd
    .uniform_work_group_size: 1
    .uses_dynamic_stack: false
    .vgpr_count:     34
    .vgpr_spill_count: 0
    .wavefront_size: 64
  - .args:
      - .address_space:  global
        .offset:         0
        .size:           8
        .value_kind:     global_buffer
      - .address_space:  global
        .offset:         8
        .size:           8
        .value_kind:     global_buffer
      - .offset:         16
        .size:           4
        .value_kind:     hidden_block_count_x
      - .offset:         20
        .size:           4
        .value_kind:     hidden_block_count_y
      - .offset:         24
        .size:           4
        .value_kind:     hidden_block_count_z
      - .offset:         28
        .size:           2
        .value_kind:     hidden_group_size_x
      - .offset:         30
        .size:           2
        .value_kind:     hidden_group_size_y
      - .offset:         32
        .size:           2
        .value_kind:     hidden_group_size_z
      - .offset:         34
        .size:           2
        .value_kind:     hidden_remainder_x
      - .offset:         36
        .size:           2
        .value_kind:     hidden_remainder_y
      - .offset:         38
        .size:           2
        .value_kind:     hidden_remainder_z
      - .offset:         56
        .size:           8
        .value_kind:     hidden_global_offset_x
      - .offset:         64
        .size:           8
        .value_kind:     hidden_global_offset_y
      - .offset:         72
        .size:           8
        .value_kind:     hidden_global_offset_z
      - .offset:         80
        .size:           2
        .value_kind:     hidden_grid_dims
    .group_segment_fixed_size: 3088
    .kernarg_segment_align: 8
    .kernarg_segment_size: 272
    .language:       OpenCL C
    .language_version:
      - 2
      - 0
    .max_flat_workgroup_size: 192
    .name:           _Z16sort_keys_kernelI22helper_blocked_blockediLj192ELj4ELj10EEvPKT0_PS1_
    .private_segment_fixed_size: 0
    .sgpr_count:     48
    .sgpr_spill_count: 0
    .symbol:         _Z16sort_keys_kernelI22helper_blocked_blockediLj192ELj4ELj10EEvPKT0_PS1_.kd
    .uniform_work_group_size: 1
    .uses_dynamic_stack: false
    .vgpr_count:     35
    .vgpr_spill_count: 0
    .wavefront_size: 64
  - .args:
      - .address_space:  global
        .offset:         0
        .size:           8
        .value_kind:     global_buffer
      - .address_space:  global
        .offset:         8
        .size:           8
        .value_kind:     global_buffer
      - .offset:         16
        .size:           4
        .value_kind:     hidden_block_count_x
      - .offset:         20
        .size:           4
        .value_kind:     hidden_block_count_y
      - .offset:         24
        .size:           4
        .value_kind:     hidden_block_count_z
      - .offset:         28
        .size:           2
        .value_kind:     hidden_group_size_x
      - .offset:         30
        .size:           2
        .value_kind:     hidden_group_size_y
      - .offset:         32
        .size:           2
        .value_kind:     hidden_group_size_z
      - .offset:         34
        .size:           2
        .value_kind:     hidden_remainder_x
      - .offset:         36
        .size:           2
        .value_kind:     hidden_remainder_y
      - .offset:         38
        .size:           2
        .value_kind:     hidden_remainder_z
      - .offset:         56
        .size:           8
        .value_kind:     hidden_global_offset_x
      - .offset:         64
        .size:           8
        .value_kind:     hidden_global_offset_y
      - .offset:         72
        .size:           8
        .value_kind:     hidden_global_offset_z
      - .offset:         80
        .size:           2
        .value_kind:     hidden_grid_dims
    .group_segment_fixed_size: 3088
    .kernarg_segment_align: 8
    .kernarg_segment_size: 272
    .language:       OpenCL C
    .language_version:
      - 2
      - 0
    .max_flat_workgroup_size: 192
    .name:           _Z17sort_pairs_kernelI22helper_blocked_blockediLj192ELj4ELj10EEvPKT0_PS1_
    .private_segment_fixed_size: 0
    .sgpr_count:     48
    .sgpr_spill_count: 0
    .symbol:         _Z17sort_pairs_kernelI22helper_blocked_blockediLj192ELj4ELj10EEvPKT0_PS1_.kd
    .uniform_work_group_size: 1
    .uses_dynamic_stack: false
    .vgpr_count:     42
    .vgpr_spill_count: 0
    .wavefront_size: 64
  - .args:
      - .address_space:  global
        .offset:         0
        .size:           8
        .value_kind:     global_buffer
      - .address_space:  global
        .offset:         8
        .size:           8
        .value_kind:     global_buffer
      - .offset:         16
        .size:           4
        .value_kind:     hidden_block_count_x
      - .offset:         20
        .size:           4
        .value_kind:     hidden_block_count_y
      - .offset:         24
        .size:           4
        .value_kind:     hidden_block_count_z
      - .offset:         28
        .size:           2
        .value_kind:     hidden_group_size_x
      - .offset:         30
        .size:           2
        .value_kind:     hidden_group_size_y
      - .offset:         32
        .size:           2
        .value_kind:     hidden_group_size_z
      - .offset:         34
        .size:           2
        .value_kind:     hidden_remainder_x
      - .offset:         36
        .size:           2
        .value_kind:     hidden_remainder_y
      - .offset:         38
        .size:           2
        .value_kind:     hidden_remainder_z
      - .offset:         56
        .size:           8
        .value_kind:     hidden_global_offset_x
      - .offset:         64
        .size:           8
        .value_kind:     hidden_global_offset_y
      - .offset:         72
        .size:           8
        .value_kind:     hidden_global_offset_z
      - .offset:         80
        .size:           2
        .value_kind:     hidden_grid_dims
    .group_segment_fixed_size: 6336
    .kernarg_segment_align: 8
    .kernarg_segment_size: 272
    .language:       OpenCL C
    .language_version:
      - 2
      - 0
    .max_flat_workgroup_size: 192
    .name:           _Z16sort_keys_kernelI22helper_blocked_blockediLj192ELj8ELj10EEvPKT0_PS1_
    .private_segment_fixed_size: 0
    .sgpr_count:     42
    .sgpr_spill_count: 0
    .symbol:         _Z16sort_keys_kernelI22helper_blocked_blockediLj192ELj8ELj10EEvPKT0_PS1_.kd
    .uniform_work_group_size: 1
    .uses_dynamic_stack: false
    .vgpr_count:     57
    .vgpr_spill_count: 0
    .wavefront_size: 64
  - .args:
      - .address_space:  global
        .offset:         0
        .size:           8
        .value_kind:     global_buffer
      - .address_space:  global
        .offset:         8
        .size:           8
        .value_kind:     global_buffer
      - .offset:         16
        .size:           4
        .value_kind:     hidden_block_count_x
      - .offset:         20
        .size:           4
        .value_kind:     hidden_block_count_y
      - .offset:         24
        .size:           4
        .value_kind:     hidden_block_count_z
      - .offset:         28
        .size:           2
        .value_kind:     hidden_group_size_x
      - .offset:         30
        .size:           2
        .value_kind:     hidden_group_size_y
      - .offset:         32
        .size:           2
        .value_kind:     hidden_group_size_z
      - .offset:         34
        .size:           2
        .value_kind:     hidden_remainder_x
      - .offset:         36
        .size:           2
        .value_kind:     hidden_remainder_y
      - .offset:         38
        .size:           2
        .value_kind:     hidden_remainder_z
      - .offset:         56
        .size:           8
        .value_kind:     hidden_global_offset_x
      - .offset:         64
        .size:           8
        .value_kind:     hidden_global_offset_y
      - .offset:         72
        .size:           8
        .value_kind:     hidden_global_offset_z
      - .offset:         80
        .size:           2
        .value_kind:     hidden_grid_dims
    .group_segment_fixed_size: 6336
    .kernarg_segment_align: 8
    .kernarg_segment_size: 272
    .language:       OpenCL C
    .language_version:
      - 2
      - 0
    .max_flat_workgroup_size: 192
    .name:           _Z17sort_pairs_kernelI22helper_blocked_blockediLj192ELj8ELj10EEvPKT0_PS1_
    .private_segment_fixed_size: 0
    .sgpr_count:     42
    .sgpr_spill_count: 0
    .symbol:         _Z17sort_pairs_kernelI22helper_blocked_blockediLj192ELj8ELj10EEvPKT0_PS1_.kd
    .uniform_work_group_size: 1
    .uses_dynamic_stack: false
    .vgpr_count:     63
    .vgpr_spill_count: 0
    .wavefront_size: 64
  - .args:
      - .address_space:  global
        .offset:         0
        .size:           8
        .value_kind:     global_buffer
      - .address_space:  global
        .offset:         8
        .size:           8
        .value_kind:     global_buffer
      - .offset:         16
        .size:           4
        .value_kind:     hidden_block_count_x
      - .offset:         20
        .size:           4
        .value_kind:     hidden_block_count_y
      - .offset:         24
        .size:           4
        .value_kind:     hidden_block_count_z
      - .offset:         28
        .size:           2
        .value_kind:     hidden_group_size_x
      - .offset:         30
        .size:           2
        .value_kind:     hidden_group_size_y
      - .offset:         32
        .size:           2
        .value_kind:     hidden_group_size_z
      - .offset:         34
        .size:           2
        .value_kind:     hidden_remainder_x
      - .offset:         36
        .size:           2
        .value_kind:     hidden_remainder_y
      - .offset:         38
        .size:           2
        .value_kind:     hidden_remainder_z
      - .offset:         56
        .size:           8
        .value_kind:     hidden_global_offset_x
      - .offset:         64
        .size:           8
        .value_kind:     hidden_global_offset_y
      - .offset:         72
        .size:           8
        .value_kind:     hidden_global_offset_z
      - .offset:         80
        .size:           2
        .value_kind:     hidden_grid_dims
    .group_segment_fixed_size: 4112
    .kernarg_segment_align: 8
    .kernarg_segment_size: 272
    .language:       OpenCL C
    .language_version:
      - 2
      - 0
    .max_flat_workgroup_size: 256
    .name:           _Z16sort_keys_kernelI22helper_blocked_blockediLj256ELj1ELj10EEvPKT0_PS1_
    .private_segment_fixed_size: 0
    .sgpr_count:     43
    .sgpr_spill_count: 0
    .symbol:         _Z16sort_keys_kernelI22helper_blocked_blockediLj256ELj1ELj10EEvPKT0_PS1_.kd
    .uniform_work_group_size: 1
    .uses_dynamic_stack: false
    .vgpr_count:     31
    .vgpr_spill_count: 0
    .wavefront_size: 64
  - .args:
      - .address_space:  global
        .offset:         0
        .size:           8
        .value_kind:     global_buffer
      - .address_space:  global
        .offset:         8
        .size:           8
        .value_kind:     global_buffer
      - .offset:         16
        .size:           4
        .value_kind:     hidden_block_count_x
      - .offset:         20
        .size:           4
        .value_kind:     hidden_block_count_y
      - .offset:         24
        .size:           4
        .value_kind:     hidden_block_count_z
      - .offset:         28
        .size:           2
        .value_kind:     hidden_group_size_x
      - .offset:         30
        .size:           2
        .value_kind:     hidden_group_size_y
      - .offset:         32
        .size:           2
        .value_kind:     hidden_group_size_z
      - .offset:         34
        .size:           2
        .value_kind:     hidden_remainder_x
      - .offset:         36
        .size:           2
        .value_kind:     hidden_remainder_y
      - .offset:         38
        .size:           2
        .value_kind:     hidden_remainder_z
      - .offset:         56
        .size:           8
        .value_kind:     hidden_global_offset_x
      - .offset:         64
        .size:           8
        .value_kind:     hidden_global_offset_y
      - .offset:         72
        .size:           8
        .value_kind:     hidden_global_offset_z
      - .offset:         80
        .size:           2
        .value_kind:     hidden_grid_dims
    .group_segment_fixed_size: 4112
    .kernarg_segment_align: 8
    .kernarg_segment_size: 272
    .language:       OpenCL C
    .language_version:
      - 2
      - 0
    .max_flat_workgroup_size: 256
    .name:           _Z17sort_pairs_kernelI22helper_blocked_blockediLj256ELj1ELj10EEvPKT0_PS1_
    .private_segment_fixed_size: 0
    .sgpr_count:     43
    .sgpr_spill_count: 0
    .symbol:         _Z17sort_pairs_kernelI22helper_blocked_blockediLj256ELj1ELj10EEvPKT0_PS1_.kd
    .uniform_work_group_size: 1
    .uses_dynamic_stack: false
    .vgpr_count:     32
    .vgpr_spill_count: 0
    .wavefront_size: 64
  - .args:
      - .address_space:  global
        .offset:         0
        .size:           8
        .value_kind:     global_buffer
      - .address_space:  global
        .offset:         8
        .size:           8
        .value_kind:     global_buffer
      - .offset:         16
        .size:           4
        .value_kind:     hidden_block_count_x
      - .offset:         20
        .size:           4
        .value_kind:     hidden_block_count_y
      - .offset:         24
        .size:           4
        .value_kind:     hidden_block_count_z
      - .offset:         28
        .size:           2
        .value_kind:     hidden_group_size_x
      - .offset:         30
        .size:           2
        .value_kind:     hidden_group_size_y
      - .offset:         32
        .size:           2
        .value_kind:     hidden_group_size_z
      - .offset:         34
        .size:           2
        .value_kind:     hidden_remainder_x
      - .offset:         36
        .size:           2
        .value_kind:     hidden_remainder_y
      - .offset:         38
        .size:           2
        .value_kind:     hidden_remainder_z
      - .offset:         56
        .size:           8
        .value_kind:     hidden_global_offset_x
      - .offset:         64
        .size:           8
        .value_kind:     hidden_global_offset_y
      - .offset:         72
        .size:           8
        .value_kind:     hidden_global_offset_z
      - .offset:         80
        .size:           2
        .value_kind:     hidden_grid_dims
    .group_segment_fixed_size: 4112
    .kernarg_segment_align: 8
    .kernarg_segment_size: 272
    .language:       OpenCL C
    .language_version:
      - 2
      - 0
    .max_flat_workgroup_size: 256
    .name:           _Z16sort_keys_kernelI22helper_blocked_blockediLj256ELj3ELj10EEvPKT0_PS1_
    .private_segment_fixed_size: 0
    .sgpr_count:     42
    .sgpr_spill_count: 0
    .symbol:         _Z16sort_keys_kernelI22helper_blocked_blockediLj256ELj3ELj10EEvPKT0_PS1_.kd
    .uniform_work_group_size: 1
    .uses_dynamic_stack: false
    .vgpr_count:     35
    .vgpr_spill_count: 0
    .wavefront_size: 64
  - .args:
      - .address_space:  global
        .offset:         0
        .size:           8
        .value_kind:     global_buffer
      - .address_space:  global
        .offset:         8
        .size:           8
        .value_kind:     global_buffer
      - .offset:         16
        .size:           4
        .value_kind:     hidden_block_count_x
      - .offset:         20
        .size:           4
        .value_kind:     hidden_block_count_y
      - .offset:         24
        .size:           4
        .value_kind:     hidden_block_count_z
      - .offset:         28
        .size:           2
        .value_kind:     hidden_group_size_x
      - .offset:         30
        .size:           2
        .value_kind:     hidden_group_size_y
      - .offset:         32
        .size:           2
        .value_kind:     hidden_group_size_z
      - .offset:         34
        .size:           2
        .value_kind:     hidden_remainder_x
      - .offset:         36
        .size:           2
        .value_kind:     hidden_remainder_y
      - .offset:         38
        .size:           2
        .value_kind:     hidden_remainder_z
      - .offset:         56
        .size:           8
        .value_kind:     hidden_global_offset_x
      - .offset:         64
        .size:           8
        .value_kind:     hidden_global_offset_y
      - .offset:         72
        .size:           8
        .value_kind:     hidden_global_offset_z
      - .offset:         80
        .size:           2
        .value_kind:     hidden_grid_dims
    .group_segment_fixed_size: 4112
    .kernarg_segment_align: 8
    .kernarg_segment_size: 272
    .language:       OpenCL C
    .language_version:
      - 2
      - 0
    .max_flat_workgroup_size: 256
    .name:           _Z17sort_pairs_kernelI22helper_blocked_blockediLj256ELj3ELj10EEvPKT0_PS1_
    .private_segment_fixed_size: 0
    .sgpr_count:     42
    .sgpr_spill_count: 0
    .symbol:         _Z17sort_pairs_kernelI22helper_blocked_blockediLj256ELj3ELj10EEvPKT0_PS1_.kd
    .uniform_work_group_size: 1
    .uses_dynamic_stack: false
    .vgpr_count:     38
    .vgpr_spill_count: 0
    .wavefront_size: 64
  - .args:
      - .address_space:  global
        .offset:         0
        .size:           8
        .value_kind:     global_buffer
      - .address_space:  global
        .offset:         8
        .size:           8
        .value_kind:     global_buffer
      - .offset:         16
        .size:           4
        .value_kind:     hidden_block_count_x
      - .offset:         20
        .size:           4
        .value_kind:     hidden_block_count_y
      - .offset:         24
        .size:           4
        .value_kind:     hidden_block_count_z
      - .offset:         28
        .size:           2
        .value_kind:     hidden_group_size_x
      - .offset:         30
        .size:           2
        .value_kind:     hidden_group_size_y
      - .offset:         32
        .size:           2
        .value_kind:     hidden_group_size_z
      - .offset:         34
        .size:           2
        .value_kind:     hidden_remainder_x
      - .offset:         36
        .size:           2
        .value_kind:     hidden_remainder_y
      - .offset:         38
        .size:           2
        .value_kind:     hidden_remainder_z
      - .offset:         56
        .size:           8
        .value_kind:     hidden_global_offset_x
      - .offset:         64
        .size:           8
        .value_kind:     hidden_global_offset_y
      - .offset:         72
        .size:           8
        .value_kind:     hidden_global_offset_z
      - .offset:         80
        .size:           2
        .value_kind:     hidden_grid_dims
    .group_segment_fixed_size: 4112
    .kernarg_segment_align: 8
    .kernarg_segment_size: 272
    .language:       OpenCL C
    .language_version:
      - 2
      - 0
    .max_flat_workgroup_size: 256
    .name:           _Z16sort_keys_kernelI22helper_blocked_blockediLj256ELj4ELj10EEvPKT0_PS1_
    .private_segment_fixed_size: 0
    .sgpr_count:     48
    .sgpr_spill_count: 0
    .symbol:         _Z16sort_keys_kernelI22helper_blocked_blockediLj256ELj4ELj10EEvPKT0_PS1_.kd
    .uniform_work_group_size: 1
    .uses_dynamic_stack: false
    .vgpr_count:     41
    .vgpr_spill_count: 0
    .wavefront_size: 64
  - .args:
      - .address_space:  global
        .offset:         0
        .size:           8
        .value_kind:     global_buffer
      - .address_space:  global
        .offset:         8
        .size:           8
        .value_kind:     global_buffer
      - .offset:         16
        .size:           4
        .value_kind:     hidden_block_count_x
      - .offset:         20
        .size:           4
        .value_kind:     hidden_block_count_y
      - .offset:         24
        .size:           4
        .value_kind:     hidden_block_count_z
      - .offset:         28
        .size:           2
        .value_kind:     hidden_group_size_x
      - .offset:         30
        .size:           2
        .value_kind:     hidden_group_size_y
      - .offset:         32
        .size:           2
        .value_kind:     hidden_group_size_z
      - .offset:         34
        .size:           2
        .value_kind:     hidden_remainder_x
      - .offset:         36
        .size:           2
        .value_kind:     hidden_remainder_y
      - .offset:         38
        .size:           2
        .value_kind:     hidden_remainder_z
      - .offset:         56
        .size:           8
        .value_kind:     hidden_global_offset_x
      - .offset:         64
        .size:           8
        .value_kind:     hidden_global_offset_y
      - .offset:         72
        .size:           8
        .value_kind:     hidden_global_offset_z
      - .offset:         80
        .size:           2
        .value_kind:     hidden_grid_dims
    .group_segment_fixed_size: 4112
    .kernarg_segment_align: 8
    .kernarg_segment_size: 272
    .language:       OpenCL C
    .language_version:
      - 2
      - 0
    .max_flat_workgroup_size: 256
    .name:           _Z17sort_pairs_kernelI22helper_blocked_blockediLj256ELj4ELj10EEvPKT0_PS1_
    .private_segment_fixed_size: 0
    .sgpr_count:     48
    .sgpr_spill_count: 0
    .symbol:         _Z17sort_pairs_kernelI22helper_blocked_blockediLj256ELj4ELj10EEvPKT0_PS1_.kd
    .uniform_work_group_size: 1
    .uses_dynamic_stack: false
    .vgpr_count:     45
    .vgpr_spill_count: 0
    .wavefront_size: 64
  - .args:
      - .address_space:  global
        .offset:         0
        .size:           8
        .value_kind:     global_buffer
      - .address_space:  global
        .offset:         8
        .size:           8
        .value_kind:     global_buffer
      - .offset:         16
        .size:           4
        .value_kind:     hidden_block_count_x
      - .offset:         20
        .size:           4
        .value_kind:     hidden_block_count_y
      - .offset:         24
        .size:           4
        .value_kind:     hidden_block_count_z
      - .offset:         28
        .size:           2
        .value_kind:     hidden_group_size_x
      - .offset:         30
        .size:           2
        .value_kind:     hidden_group_size_y
      - .offset:         32
        .size:           2
        .value_kind:     hidden_group_size_z
      - .offset:         34
        .size:           2
        .value_kind:     hidden_remainder_x
      - .offset:         36
        .size:           2
        .value_kind:     hidden_remainder_y
      - .offset:         38
        .size:           2
        .value_kind:     hidden_remainder_z
      - .offset:         56
        .size:           8
        .value_kind:     hidden_global_offset_x
      - .offset:         64
        .size:           8
        .value_kind:     hidden_global_offset_y
      - .offset:         72
        .size:           8
        .value_kind:     hidden_global_offset_z
      - .offset:         80
        .size:           2
        .value_kind:     hidden_grid_dims
    .group_segment_fixed_size: 8192
    .kernarg_segment_align: 8
    .kernarg_segment_size: 272
    .language:       OpenCL C
    .language_version:
      - 2
      - 0
    .max_flat_workgroup_size: 256
    .name:           _Z16sort_keys_kernelI22helper_blocked_blockediLj256ELj8ELj10EEvPKT0_PS1_
    .private_segment_fixed_size: 0
    .sgpr_count:     42
    .sgpr_spill_count: 0
    .symbol:         _Z16sort_keys_kernelI22helper_blocked_blockediLj256ELj8ELj10EEvPKT0_PS1_.kd
    .uniform_work_group_size: 1
    .uses_dynamic_stack: false
    .vgpr_count:     54
    .vgpr_spill_count: 0
    .wavefront_size: 64
  - .args:
      - .address_space:  global
        .offset:         0
        .size:           8
        .value_kind:     global_buffer
      - .address_space:  global
        .offset:         8
        .size:           8
        .value_kind:     global_buffer
      - .offset:         16
        .size:           4
        .value_kind:     hidden_block_count_x
      - .offset:         20
        .size:           4
        .value_kind:     hidden_block_count_y
      - .offset:         24
        .size:           4
        .value_kind:     hidden_block_count_z
      - .offset:         28
        .size:           2
        .value_kind:     hidden_group_size_x
      - .offset:         30
        .size:           2
        .value_kind:     hidden_group_size_y
      - .offset:         32
        .size:           2
        .value_kind:     hidden_group_size_z
      - .offset:         34
        .size:           2
        .value_kind:     hidden_remainder_x
      - .offset:         36
        .size:           2
        .value_kind:     hidden_remainder_y
      - .offset:         38
        .size:           2
        .value_kind:     hidden_remainder_z
      - .offset:         56
        .size:           8
        .value_kind:     hidden_global_offset_x
      - .offset:         64
        .size:           8
        .value_kind:     hidden_global_offset_y
      - .offset:         72
        .size:           8
        .value_kind:     hidden_global_offset_z
      - .offset:         80
        .size:           2
        .value_kind:     hidden_grid_dims
    .group_segment_fixed_size: 8192
    .kernarg_segment_align: 8
    .kernarg_segment_size: 272
    .language:       OpenCL C
    .language_version:
      - 2
      - 0
    .max_flat_workgroup_size: 256
    .name:           _Z17sort_pairs_kernelI22helper_blocked_blockediLj256ELj8ELj10EEvPKT0_PS1_
    .private_segment_fixed_size: 0
    .sgpr_count:     42
    .sgpr_spill_count: 0
    .symbol:         _Z17sort_pairs_kernelI22helper_blocked_blockediLj256ELj8ELj10EEvPKT0_PS1_.kd
    .uniform_work_group_size: 1
    .uses_dynamic_stack: false
    .vgpr_count:     62
    .vgpr_spill_count: 0
    .wavefront_size: 64
  - .args:
      - .address_space:  global
        .offset:         0
        .size:           8
        .value_kind:     global_buffer
      - .address_space:  global
        .offset:         8
        .size:           8
        .value_kind:     global_buffer
      - .offset:         16
        .size:           4
        .value_kind:     hidden_block_count_x
      - .offset:         20
        .size:           4
        .value_kind:     hidden_block_count_y
      - .offset:         24
        .size:           4
        .value_kind:     hidden_block_count_z
      - .offset:         28
        .size:           2
        .value_kind:     hidden_group_size_x
      - .offset:         30
        .size:           2
        .value_kind:     hidden_group_size_y
      - .offset:         32
        .size:           2
        .value_kind:     hidden_group_size_z
      - .offset:         34
        .size:           2
        .value_kind:     hidden_remainder_x
      - .offset:         36
        .size:           2
        .value_kind:     hidden_remainder_y
      - .offset:         38
        .size:           2
        .value_kind:     hidden_remainder_z
      - .offset:         56
        .size:           8
        .value_kind:     hidden_global_offset_x
      - .offset:         64
        .size:           8
        .value_kind:     hidden_global_offset_y
      - .offset:         72
        .size:           8
        .value_kind:     hidden_global_offset_z
      - .offset:         80
        .size:           2
        .value_kind:     hidden_grid_dims
    .group_segment_fixed_size: 5152
    .kernarg_segment_align: 8
    .kernarg_segment_size: 272
    .language:       OpenCL C
    .language_version:
      - 2
      - 0
    .max_flat_workgroup_size: 320
    .name:           _Z16sort_keys_kernelI22helper_blocked_blockediLj320ELj1ELj10EEvPKT0_PS1_
    .private_segment_fixed_size: 0
    .sgpr_count:     41
    .sgpr_spill_count: 0
    .symbol:         _Z16sort_keys_kernelI22helper_blocked_blockediLj320ELj1ELj10EEvPKT0_PS1_.kd
    .uniform_work_group_size: 1
    .uses_dynamic_stack: false
    .vgpr_count:     27
    .vgpr_spill_count: 0
    .wavefront_size: 64
  - .args:
      - .address_space:  global
        .offset:         0
        .size:           8
        .value_kind:     global_buffer
      - .address_space:  global
        .offset:         8
        .size:           8
        .value_kind:     global_buffer
      - .offset:         16
        .size:           4
        .value_kind:     hidden_block_count_x
      - .offset:         20
        .size:           4
        .value_kind:     hidden_block_count_y
      - .offset:         24
        .size:           4
        .value_kind:     hidden_block_count_z
      - .offset:         28
        .size:           2
        .value_kind:     hidden_group_size_x
      - .offset:         30
        .size:           2
        .value_kind:     hidden_group_size_y
      - .offset:         32
        .size:           2
        .value_kind:     hidden_group_size_z
      - .offset:         34
        .size:           2
        .value_kind:     hidden_remainder_x
      - .offset:         36
        .size:           2
        .value_kind:     hidden_remainder_y
      - .offset:         38
        .size:           2
        .value_kind:     hidden_remainder_z
      - .offset:         56
        .size:           8
        .value_kind:     hidden_global_offset_x
      - .offset:         64
        .size:           8
        .value_kind:     hidden_global_offset_y
      - .offset:         72
        .size:           8
        .value_kind:     hidden_global_offset_z
      - .offset:         80
        .size:           2
        .value_kind:     hidden_grid_dims
    .group_segment_fixed_size: 5152
    .kernarg_segment_align: 8
    .kernarg_segment_size: 272
    .language:       OpenCL C
    .language_version:
      - 2
      - 0
    .max_flat_workgroup_size: 320
    .name:           _Z17sort_pairs_kernelI22helper_blocked_blockediLj320ELj1ELj10EEvPKT0_PS1_
    .private_segment_fixed_size: 0
    .sgpr_count:     41
    .sgpr_spill_count: 0
    .symbol:         _Z17sort_pairs_kernelI22helper_blocked_blockediLj320ELj1ELj10EEvPKT0_PS1_.kd
    .uniform_work_group_size: 1
    .uses_dynamic_stack: false
    .vgpr_count:     28
    .vgpr_spill_count: 0
    .wavefront_size: 64
  - .args:
      - .address_space:  global
        .offset:         0
        .size:           8
        .value_kind:     global_buffer
      - .address_space:  global
        .offset:         8
        .size:           8
        .value_kind:     global_buffer
      - .offset:         16
        .size:           4
        .value_kind:     hidden_block_count_x
      - .offset:         20
        .size:           4
        .value_kind:     hidden_block_count_y
      - .offset:         24
        .size:           4
        .value_kind:     hidden_block_count_z
      - .offset:         28
        .size:           2
        .value_kind:     hidden_group_size_x
      - .offset:         30
        .size:           2
        .value_kind:     hidden_group_size_y
      - .offset:         32
        .size:           2
        .value_kind:     hidden_group_size_z
      - .offset:         34
        .size:           2
        .value_kind:     hidden_remainder_x
      - .offset:         36
        .size:           2
        .value_kind:     hidden_remainder_y
      - .offset:         38
        .size:           2
        .value_kind:     hidden_remainder_z
      - .offset:         56
        .size:           8
        .value_kind:     hidden_global_offset_x
      - .offset:         64
        .size:           8
        .value_kind:     hidden_global_offset_y
      - .offset:         72
        .size:           8
        .value_kind:     hidden_global_offset_z
      - .offset:         80
        .size:           2
        .value_kind:     hidden_grid_dims
    .group_segment_fixed_size: 5152
    .kernarg_segment_align: 8
    .kernarg_segment_size: 272
    .language:       OpenCL C
    .language_version:
      - 2
      - 0
    .max_flat_workgroup_size: 320
    .name:           _Z16sort_keys_kernelI22helper_blocked_blockediLj320ELj3ELj10EEvPKT0_PS1_
    .private_segment_fixed_size: 0
    .sgpr_count:     44
    .sgpr_spill_count: 0
    .symbol:         _Z16sort_keys_kernelI22helper_blocked_blockediLj320ELj3ELj10EEvPKT0_PS1_.kd
    .uniform_work_group_size: 1
    .uses_dynamic_stack: false
    .vgpr_count:     31
    .vgpr_spill_count: 0
    .wavefront_size: 64
  - .args:
      - .address_space:  global
        .offset:         0
        .size:           8
        .value_kind:     global_buffer
      - .address_space:  global
        .offset:         8
        .size:           8
        .value_kind:     global_buffer
      - .offset:         16
        .size:           4
        .value_kind:     hidden_block_count_x
      - .offset:         20
        .size:           4
        .value_kind:     hidden_block_count_y
      - .offset:         24
        .size:           4
        .value_kind:     hidden_block_count_z
      - .offset:         28
        .size:           2
        .value_kind:     hidden_group_size_x
      - .offset:         30
        .size:           2
        .value_kind:     hidden_group_size_y
      - .offset:         32
        .size:           2
        .value_kind:     hidden_group_size_z
      - .offset:         34
        .size:           2
        .value_kind:     hidden_remainder_x
      - .offset:         36
        .size:           2
        .value_kind:     hidden_remainder_y
      - .offset:         38
        .size:           2
        .value_kind:     hidden_remainder_z
      - .offset:         56
        .size:           8
        .value_kind:     hidden_global_offset_x
      - .offset:         64
        .size:           8
        .value_kind:     hidden_global_offset_y
      - .offset:         72
        .size:           8
        .value_kind:     hidden_global_offset_z
      - .offset:         80
        .size:           2
        .value_kind:     hidden_grid_dims
    .group_segment_fixed_size: 5152
    .kernarg_segment_align: 8
    .kernarg_segment_size: 272
    .language:       OpenCL C
    .language_version:
      - 2
      - 0
    .max_flat_workgroup_size: 320
    .name:           _Z17sort_pairs_kernelI22helper_blocked_blockediLj320ELj3ELj10EEvPKT0_PS1_
    .private_segment_fixed_size: 0
    .sgpr_count:     44
    .sgpr_spill_count: 0
    .symbol:         _Z17sort_pairs_kernelI22helper_blocked_blockediLj320ELj3ELj10EEvPKT0_PS1_.kd
    .uniform_work_group_size: 1
    .uses_dynamic_stack: false
    .vgpr_count:     34
    .vgpr_spill_count: 0
    .wavefront_size: 64
  - .args:
      - .address_space:  global
        .offset:         0
        .size:           8
        .value_kind:     global_buffer
      - .address_space:  global
        .offset:         8
        .size:           8
        .value_kind:     global_buffer
      - .offset:         16
        .size:           4
        .value_kind:     hidden_block_count_x
      - .offset:         20
        .size:           4
        .value_kind:     hidden_block_count_y
      - .offset:         24
        .size:           4
        .value_kind:     hidden_block_count_z
      - .offset:         28
        .size:           2
        .value_kind:     hidden_group_size_x
      - .offset:         30
        .size:           2
        .value_kind:     hidden_group_size_y
      - .offset:         32
        .size:           2
        .value_kind:     hidden_group_size_z
      - .offset:         34
        .size:           2
        .value_kind:     hidden_remainder_x
      - .offset:         36
        .size:           2
        .value_kind:     hidden_remainder_y
      - .offset:         38
        .size:           2
        .value_kind:     hidden_remainder_z
      - .offset:         56
        .size:           8
        .value_kind:     hidden_global_offset_x
      - .offset:         64
        .size:           8
        .value_kind:     hidden_global_offset_y
      - .offset:         72
        .size:           8
        .value_kind:     hidden_global_offset_z
      - .offset:         80
        .size:           2
        .value_kind:     hidden_grid_dims
    .group_segment_fixed_size: 5280
    .kernarg_segment_align: 8
    .kernarg_segment_size: 272
    .language:       OpenCL C
    .language_version:
      - 2
      - 0
    .max_flat_workgroup_size: 320
    .name:           _Z16sort_keys_kernelI22helper_blocked_blockediLj320ELj4ELj10EEvPKT0_PS1_
    .private_segment_fixed_size: 0
    .sgpr_count:     52
    .sgpr_spill_count: 0
    .symbol:         _Z16sort_keys_kernelI22helper_blocked_blockediLj320ELj4ELj10EEvPKT0_PS1_.kd
    .uniform_work_group_size: 1
    .uses_dynamic_stack: false
    .vgpr_count:     39
    .vgpr_spill_count: 0
    .wavefront_size: 64
  - .args:
      - .address_space:  global
        .offset:         0
        .size:           8
        .value_kind:     global_buffer
      - .address_space:  global
        .offset:         8
        .size:           8
        .value_kind:     global_buffer
      - .offset:         16
        .size:           4
        .value_kind:     hidden_block_count_x
      - .offset:         20
        .size:           4
        .value_kind:     hidden_block_count_y
      - .offset:         24
        .size:           4
        .value_kind:     hidden_block_count_z
      - .offset:         28
        .size:           2
        .value_kind:     hidden_group_size_x
      - .offset:         30
        .size:           2
        .value_kind:     hidden_group_size_y
      - .offset:         32
        .size:           2
        .value_kind:     hidden_group_size_z
      - .offset:         34
        .size:           2
        .value_kind:     hidden_remainder_x
      - .offset:         36
        .size:           2
        .value_kind:     hidden_remainder_y
      - .offset:         38
        .size:           2
        .value_kind:     hidden_remainder_z
      - .offset:         56
        .size:           8
        .value_kind:     hidden_global_offset_x
      - .offset:         64
        .size:           8
        .value_kind:     hidden_global_offset_y
      - .offset:         72
        .size:           8
        .value_kind:     hidden_global_offset_z
      - .offset:         80
        .size:           2
        .value_kind:     hidden_grid_dims
    .group_segment_fixed_size: 5280
    .kernarg_segment_align: 8
    .kernarg_segment_size: 272
    .language:       OpenCL C
    .language_version:
      - 2
      - 0
    .max_flat_workgroup_size: 320
    .name:           _Z17sort_pairs_kernelI22helper_blocked_blockediLj320ELj4ELj10EEvPKT0_PS1_
    .private_segment_fixed_size: 0
    .sgpr_count:     52
    .sgpr_spill_count: 0
    .symbol:         _Z17sort_pairs_kernelI22helper_blocked_blockediLj320ELj4ELj10EEvPKT0_PS1_.kd
    .uniform_work_group_size: 1
    .uses_dynamic_stack: false
    .vgpr_count:     44
    .vgpr_spill_count: 0
    .wavefront_size: 64
  - .args:
      - .address_space:  global
        .offset:         0
        .size:           8
        .value_kind:     global_buffer
      - .address_space:  global
        .offset:         8
        .size:           8
        .value_kind:     global_buffer
      - .offset:         16
        .size:           4
        .value_kind:     hidden_block_count_x
      - .offset:         20
        .size:           4
        .value_kind:     hidden_block_count_y
      - .offset:         24
        .size:           4
        .value_kind:     hidden_block_count_z
      - .offset:         28
        .size:           2
        .value_kind:     hidden_group_size_x
      - .offset:         30
        .size:           2
        .value_kind:     hidden_group_size_y
      - .offset:         32
        .size:           2
        .value_kind:     hidden_group_size_z
      - .offset:         34
        .size:           2
        .value_kind:     hidden_remainder_x
      - .offset:         36
        .size:           2
        .value_kind:     hidden_remainder_y
      - .offset:         38
        .size:           2
        .value_kind:     hidden_remainder_z
      - .offset:         56
        .size:           8
        .value_kind:     hidden_global_offset_x
      - .offset:         64
        .size:           8
        .value_kind:     hidden_global_offset_y
      - .offset:         72
        .size:           8
        .value_kind:     hidden_global_offset_z
      - .offset:         80
        .size:           2
        .value_kind:     hidden_grid_dims
    .group_segment_fixed_size: 10560
    .kernarg_segment_align: 8
    .kernarg_segment_size: 272
    .language:       OpenCL C
    .language_version:
      - 2
      - 0
    .max_flat_workgroup_size: 320
    .name:           _Z16sort_keys_kernelI22helper_blocked_blockediLj320ELj8ELj10EEvPKT0_PS1_
    .private_segment_fixed_size: 0
    .sgpr_count:     44
    .sgpr_spill_count: 0
    .symbol:         _Z16sort_keys_kernelI22helper_blocked_blockediLj320ELj8ELj10EEvPKT0_PS1_.kd
    .uniform_work_group_size: 1
    .uses_dynamic_stack: false
    .vgpr_count:     57
    .vgpr_spill_count: 0
    .wavefront_size: 64
  - .args:
      - .address_space:  global
        .offset:         0
        .size:           8
        .value_kind:     global_buffer
      - .address_space:  global
        .offset:         8
        .size:           8
        .value_kind:     global_buffer
      - .offset:         16
        .size:           4
        .value_kind:     hidden_block_count_x
      - .offset:         20
        .size:           4
        .value_kind:     hidden_block_count_y
      - .offset:         24
        .size:           4
        .value_kind:     hidden_block_count_z
      - .offset:         28
        .size:           2
        .value_kind:     hidden_group_size_x
      - .offset:         30
        .size:           2
        .value_kind:     hidden_group_size_y
      - .offset:         32
        .size:           2
        .value_kind:     hidden_group_size_z
      - .offset:         34
        .size:           2
        .value_kind:     hidden_remainder_x
      - .offset:         36
        .size:           2
        .value_kind:     hidden_remainder_y
      - .offset:         38
        .size:           2
        .value_kind:     hidden_remainder_z
      - .offset:         56
        .size:           8
        .value_kind:     hidden_global_offset_x
      - .offset:         64
        .size:           8
        .value_kind:     hidden_global_offset_y
      - .offset:         72
        .size:           8
        .value_kind:     hidden_global_offset_z
      - .offset:         80
        .size:           2
        .value_kind:     hidden_grid_dims
    .group_segment_fixed_size: 10560
    .kernarg_segment_align: 8
    .kernarg_segment_size: 272
    .language:       OpenCL C
    .language_version:
      - 2
      - 0
    .max_flat_workgroup_size: 320
    .name:           _Z17sort_pairs_kernelI22helper_blocked_blockediLj320ELj8ELj10EEvPKT0_PS1_
    .private_segment_fixed_size: 0
    .sgpr_count:     44
    .sgpr_spill_count: 0
    .symbol:         _Z17sort_pairs_kernelI22helper_blocked_blockediLj320ELj8ELj10EEvPKT0_PS1_.kd
    .uniform_work_group_size: 1
    .uses_dynamic_stack: false
    .vgpr_count:     63
    .vgpr_spill_count: 0
    .wavefront_size: 64
  - .args:
      - .address_space:  global
        .offset:         0
        .size:           8
        .value_kind:     global_buffer
      - .address_space:  global
        .offset:         8
        .size:           8
        .value_kind:     global_buffer
      - .offset:         16
        .size:           4
        .value_kind:     hidden_block_count_x
      - .offset:         20
        .size:           4
        .value_kind:     hidden_block_count_y
      - .offset:         24
        .size:           4
        .value_kind:     hidden_block_count_z
      - .offset:         28
        .size:           2
        .value_kind:     hidden_group_size_x
      - .offset:         30
        .size:           2
        .value_kind:     hidden_group_size_y
      - .offset:         32
        .size:           2
        .value_kind:     hidden_group_size_z
      - .offset:         34
        .size:           2
        .value_kind:     hidden_remainder_x
      - .offset:         36
        .size:           2
        .value_kind:     hidden_remainder_y
      - .offset:         38
        .size:           2
        .value_kind:     hidden_remainder_z
      - .offset:         56
        .size:           8
        .value_kind:     hidden_global_offset_x
      - .offset:         64
        .size:           8
        .value_kind:     hidden_global_offset_y
      - .offset:         72
        .size:           8
        .value_kind:     hidden_global_offset_z
      - .offset:         80
        .size:           2
        .value_kind:     hidden_grid_dims
    .group_segment_fixed_size: 8224
    .kernarg_segment_align: 8
    .kernarg_segment_size: 272
    .language:       OpenCL C
    .language_version:
      - 2
      - 0
    .max_flat_workgroup_size: 512
    .name:           _Z16sort_keys_kernelI22helper_blocked_blockediLj512ELj1ELj10EEvPKT0_PS1_
    .private_segment_fixed_size: 0
    .sgpr_count:     46
    .sgpr_spill_count: 0
    .symbol:         _Z16sort_keys_kernelI22helper_blocked_blockediLj512ELj1ELj10EEvPKT0_PS1_.kd
    .uniform_work_group_size: 1
    .uses_dynamic_stack: false
    .vgpr_count:     31
    .vgpr_spill_count: 0
    .wavefront_size: 64
  - .args:
      - .address_space:  global
        .offset:         0
        .size:           8
        .value_kind:     global_buffer
      - .address_space:  global
        .offset:         8
        .size:           8
        .value_kind:     global_buffer
      - .offset:         16
        .size:           4
        .value_kind:     hidden_block_count_x
      - .offset:         20
        .size:           4
        .value_kind:     hidden_block_count_y
      - .offset:         24
        .size:           4
        .value_kind:     hidden_block_count_z
      - .offset:         28
        .size:           2
        .value_kind:     hidden_group_size_x
      - .offset:         30
        .size:           2
        .value_kind:     hidden_group_size_y
      - .offset:         32
        .size:           2
        .value_kind:     hidden_group_size_z
      - .offset:         34
        .size:           2
        .value_kind:     hidden_remainder_x
      - .offset:         36
        .size:           2
        .value_kind:     hidden_remainder_y
      - .offset:         38
        .size:           2
        .value_kind:     hidden_remainder_z
      - .offset:         56
        .size:           8
        .value_kind:     hidden_global_offset_x
      - .offset:         64
        .size:           8
        .value_kind:     hidden_global_offset_y
      - .offset:         72
        .size:           8
        .value_kind:     hidden_global_offset_z
      - .offset:         80
        .size:           2
        .value_kind:     hidden_grid_dims
    .group_segment_fixed_size: 8224
    .kernarg_segment_align: 8
    .kernarg_segment_size: 272
    .language:       OpenCL C
    .language_version:
      - 2
      - 0
    .max_flat_workgroup_size: 512
    .name:           _Z17sort_pairs_kernelI22helper_blocked_blockediLj512ELj1ELj10EEvPKT0_PS1_
    .private_segment_fixed_size: 0
    .sgpr_count:     46
    .sgpr_spill_count: 0
    .symbol:         _Z17sort_pairs_kernelI22helper_blocked_blockediLj512ELj1ELj10EEvPKT0_PS1_.kd
    .uniform_work_group_size: 1
    .uses_dynamic_stack: false
    .vgpr_count:     32
    .vgpr_spill_count: 0
    .wavefront_size: 64
  - .args:
      - .address_space:  global
        .offset:         0
        .size:           8
        .value_kind:     global_buffer
      - .address_space:  global
        .offset:         8
        .size:           8
        .value_kind:     global_buffer
      - .offset:         16
        .size:           4
        .value_kind:     hidden_block_count_x
      - .offset:         20
        .size:           4
        .value_kind:     hidden_block_count_y
      - .offset:         24
        .size:           4
        .value_kind:     hidden_block_count_z
      - .offset:         28
        .size:           2
        .value_kind:     hidden_group_size_x
      - .offset:         30
        .size:           2
        .value_kind:     hidden_group_size_y
      - .offset:         32
        .size:           2
        .value_kind:     hidden_group_size_z
      - .offset:         34
        .size:           2
        .value_kind:     hidden_remainder_x
      - .offset:         36
        .size:           2
        .value_kind:     hidden_remainder_y
      - .offset:         38
        .size:           2
        .value_kind:     hidden_remainder_z
      - .offset:         56
        .size:           8
        .value_kind:     hidden_global_offset_x
      - .offset:         64
        .size:           8
        .value_kind:     hidden_global_offset_y
      - .offset:         72
        .size:           8
        .value_kind:     hidden_global_offset_z
      - .offset:         80
        .size:           2
        .value_kind:     hidden_grid_dims
    .group_segment_fixed_size: 8224
    .kernarg_segment_align: 8
    .kernarg_segment_size: 272
    .language:       OpenCL C
    .language_version:
      - 2
      - 0
    .max_flat_workgroup_size: 512
    .name:           _Z16sort_keys_kernelI22helper_blocked_blockediLj512ELj3ELj10EEvPKT0_PS1_
    .private_segment_fixed_size: 0
    .sgpr_count:     44
    .sgpr_spill_count: 0
    .symbol:         _Z16sort_keys_kernelI22helper_blocked_blockediLj512ELj3ELj10EEvPKT0_PS1_.kd
    .uniform_work_group_size: 1
    .uses_dynamic_stack: false
    .vgpr_count:     35
    .vgpr_spill_count: 0
    .wavefront_size: 64
  - .args:
      - .address_space:  global
        .offset:         0
        .size:           8
        .value_kind:     global_buffer
      - .address_space:  global
        .offset:         8
        .size:           8
        .value_kind:     global_buffer
      - .offset:         16
        .size:           4
        .value_kind:     hidden_block_count_x
      - .offset:         20
        .size:           4
        .value_kind:     hidden_block_count_y
      - .offset:         24
        .size:           4
        .value_kind:     hidden_block_count_z
      - .offset:         28
        .size:           2
        .value_kind:     hidden_group_size_x
      - .offset:         30
        .size:           2
        .value_kind:     hidden_group_size_y
      - .offset:         32
        .size:           2
        .value_kind:     hidden_group_size_z
      - .offset:         34
        .size:           2
        .value_kind:     hidden_remainder_x
      - .offset:         36
        .size:           2
        .value_kind:     hidden_remainder_y
      - .offset:         38
        .size:           2
        .value_kind:     hidden_remainder_z
      - .offset:         56
        .size:           8
        .value_kind:     hidden_global_offset_x
      - .offset:         64
        .size:           8
        .value_kind:     hidden_global_offset_y
      - .offset:         72
        .size:           8
        .value_kind:     hidden_global_offset_z
      - .offset:         80
        .size:           2
        .value_kind:     hidden_grid_dims
    .group_segment_fixed_size: 8224
    .kernarg_segment_align: 8
    .kernarg_segment_size: 272
    .language:       OpenCL C
    .language_version:
      - 2
      - 0
    .max_flat_workgroup_size: 512
    .name:           _Z17sort_pairs_kernelI22helper_blocked_blockediLj512ELj3ELj10EEvPKT0_PS1_
    .private_segment_fixed_size: 0
    .sgpr_count:     44
    .sgpr_spill_count: 0
    .symbol:         _Z17sort_pairs_kernelI22helper_blocked_blockediLj512ELj3ELj10EEvPKT0_PS1_.kd
    .uniform_work_group_size: 1
    .uses_dynamic_stack: false
    .vgpr_count:     38
    .vgpr_spill_count: 0
    .wavefront_size: 64
  - .args:
      - .address_space:  global
        .offset:         0
        .size:           8
        .value_kind:     global_buffer
      - .address_space:  global
        .offset:         8
        .size:           8
        .value_kind:     global_buffer
      - .offset:         16
        .size:           4
        .value_kind:     hidden_block_count_x
      - .offset:         20
        .size:           4
        .value_kind:     hidden_block_count_y
      - .offset:         24
        .size:           4
        .value_kind:     hidden_block_count_z
      - .offset:         28
        .size:           2
        .value_kind:     hidden_group_size_x
      - .offset:         30
        .size:           2
        .value_kind:     hidden_group_size_y
      - .offset:         32
        .size:           2
        .value_kind:     hidden_group_size_z
      - .offset:         34
        .size:           2
        .value_kind:     hidden_remainder_x
      - .offset:         36
        .size:           2
        .value_kind:     hidden_remainder_y
      - .offset:         38
        .size:           2
        .value_kind:     hidden_remainder_z
      - .offset:         56
        .size:           8
        .value_kind:     hidden_global_offset_x
      - .offset:         64
        .size:           8
        .value_kind:     hidden_global_offset_y
      - .offset:         72
        .size:           8
        .value_kind:     hidden_global_offset_z
      - .offset:         80
        .size:           2
        .value_kind:     hidden_grid_dims
    .group_segment_fixed_size: 8224
    .kernarg_segment_align: 8
    .kernarg_segment_size: 272
    .language:       OpenCL C
    .language_version:
      - 2
      - 0
    .max_flat_workgroup_size: 512
    .name:           _Z16sort_keys_kernelI22helper_blocked_blockediLj512ELj4ELj10EEvPKT0_PS1_
    .private_segment_fixed_size: 0
    .sgpr_count:     52
    .sgpr_spill_count: 0
    .symbol:         _Z16sort_keys_kernelI22helper_blocked_blockediLj512ELj4ELj10EEvPKT0_PS1_.kd
    .uniform_work_group_size: 1
    .uses_dynamic_stack: false
    .vgpr_count:     41
    .vgpr_spill_count: 0
    .wavefront_size: 64
  - .args:
      - .address_space:  global
        .offset:         0
        .size:           8
        .value_kind:     global_buffer
      - .address_space:  global
        .offset:         8
        .size:           8
        .value_kind:     global_buffer
      - .offset:         16
        .size:           4
        .value_kind:     hidden_block_count_x
      - .offset:         20
        .size:           4
        .value_kind:     hidden_block_count_y
      - .offset:         24
        .size:           4
        .value_kind:     hidden_block_count_z
      - .offset:         28
        .size:           2
        .value_kind:     hidden_group_size_x
      - .offset:         30
        .size:           2
        .value_kind:     hidden_group_size_y
      - .offset:         32
        .size:           2
        .value_kind:     hidden_group_size_z
      - .offset:         34
        .size:           2
        .value_kind:     hidden_remainder_x
      - .offset:         36
        .size:           2
        .value_kind:     hidden_remainder_y
      - .offset:         38
        .size:           2
        .value_kind:     hidden_remainder_z
      - .offset:         56
        .size:           8
        .value_kind:     hidden_global_offset_x
      - .offset:         64
        .size:           8
        .value_kind:     hidden_global_offset_y
      - .offset:         72
        .size:           8
        .value_kind:     hidden_global_offset_z
      - .offset:         80
        .size:           2
        .value_kind:     hidden_grid_dims
    .group_segment_fixed_size: 8224
    .kernarg_segment_align: 8
    .kernarg_segment_size: 272
    .language:       OpenCL C
    .language_version:
      - 2
      - 0
    .max_flat_workgroup_size: 512
    .name:           _Z17sort_pairs_kernelI22helper_blocked_blockediLj512ELj4ELj10EEvPKT0_PS1_
    .private_segment_fixed_size: 0
    .sgpr_count:     52
    .sgpr_spill_count: 0
    .symbol:         _Z17sort_pairs_kernelI22helper_blocked_blockediLj512ELj4ELj10EEvPKT0_PS1_.kd
    .uniform_work_group_size: 1
    .uses_dynamic_stack: false
    .vgpr_count:     45
    .vgpr_spill_count: 0
    .wavefront_size: 64
  - .args:
      - .address_space:  global
        .offset:         0
        .size:           8
        .value_kind:     global_buffer
      - .address_space:  global
        .offset:         8
        .size:           8
        .value_kind:     global_buffer
      - .offset:         16
        .size:           4
        .value_kind:     hidden_block_count_x
      - .offset:         20
        .size:           4
        .value_kind:     hidden_block_count_y
      - .offset:         24
        .size:           4
        .value_kind:     hidden_block_count_z
      - .offset:         28
        .size:           2
        .value_kind:     hidden_group_size_x
      - .offset:         30
        .size:           2
        .value_kind:     hidden_group_size_y
      - .offset:         32
        .size:           2
        .value_kind:     hidden_group_size_z
      - .offset:         34
        .size:           2
        .value_kind:     hidden_remainder_x
      - .offset:         36
        .size:           2
        .value_kind:     hidden_remainder_y
      - .offset:         38
        .size:           2
        .value_kind:     hidden_remainder_z
      - .offset:         56
        .size:           8
        .value_kind:     hidden_global_offset_x
      - .offset:         64
        .size:           8
        .value_kind:     hidden_global_offset_y
      - .offset:         72
        .size:           8
        .value_kind:     hidden_global_offset_z
      - .offset:         80
        .size:           2
        .value_kind:     hidden_grid_dims
    .group_segment_fixed_size: 16384
    .kernarg_segment_align: 8
    .kernarg_segment_size: 272
    .language:       OpenCL C
    .language_version:
      - 2
      - 0
    .max_flat_workgroup_size: 512
    .name:           _Z16sort_keys_kernelI22helper_blocked_blockediLj512ELj8ELj10EEvPKT0_PS1_
    .private_segment_fixed_size: 0
    .sgpr_count:     44
    .sgpr_spill_count: 0
    .symbol:         _Z16sort_keys_kernelI22helper_blocked_blockediLj512ELj8ELj10EEvPKT0_PS1_.kd
    .uniform_work_group_size: 1
    .uses_dynamic_stack: false
    .vgpr_count:     54
    .vgpr_spill_count: 0
    .wavefront_size: 64
  - .args:
      - .address_space:  global
        .offset:         0
        .size:           8
        .value_kind:     global_buffer
      - .address_space:  global
        .offset:         8
        .size:           8
        .value_kind:     global_buffer
      - .offset:         16
        .size:           4
        .value_kind:     hidden_block_count_x
      - .offset:         20
        .size:           4
        .value_kind:     hidden_block_count_y
      - .offset:         24
        .size:           4
        .value_kind:     hidden_block_count_z
      - .offset:         28
        .size:           2
        .value_kind:     hidden_group_size_x
      - .offset:         30
        .size:           2
        .value_kind:     hidden_group_size_y
      - .offset:         32
        .size:           2
        .value_kind:     hidden_group_size_z
      - .offset:         34
        .size:           2
        .value_kind:     hidden_remainder_x
      - .offset:         36
        .size:           2
        .value_kind:     hidden_remainder_y
      - .offset:         38
        .size:           2
        .value_kind:     hidden_remainder_z
      - .offset:         56
        .size:           8
        .value_kind:     hidden_global_offset_x
      - .offset:         64
        .size:           8
        .value_kind:     hidden_global_offset_y
      - .offset:         72
        .size:           8
        .value_kind:     hidden_global_offset_z
      - .offset:         80
        .size:           2
        .value_kind:     hidden_grid_dims
    .group_segment_fixed_size: 16384
    .kernarg_segment_align: 8
    .kernarg_segment_size: 272
    .language:       OpenCL C
    .language_version:
      - 2
      - 0
    .max_flat_workgroup_size: 512
    .name:           _Z17sort_pairs_kernelI22helper_blocked_blockediLj512ELj8ELj10EEvPKT0_PS1_
    .private_segment_fixed_size: 0
    .sgpr_count:     44
    .sgpr_spill_count: 0
    .symbol:         _Z17sort_pairs_kernelI22helper_blocked_blockediLj512ELj8ELj10EEvPKT0_PS1_.kd
    .uniform_work_group_size: 1
    .uses_dynamic_stack: false
    .vgpr_count:     62
    .vgpr_spill_count: 0
    .wavefront_size: 64
  - .args:
      - .address_space:  global
        .offset:         0
        .size:           8
        .value_kind:     global_buffer
      - .address_space:  global
        .offset:         8
        .size:           8
        .value_kind:     global_buffer
      - .offset:         16
        .size:           4
        .value_kind:     hidden_block_count_x
      - .offset:         20
        .size:           4
        .value_kind:     hidden_block_count_y
      - .offset:         24
        .size:           4
        .value_kind:     hidden_block_count_z
      - .offset:         28
        .size:           2
        .value_kind:     hidden_group_size_x
      - .offset:         30
        .size:           2
        .value_kind:     hidden_group_size_y
      - .offset:         32
        .size:           2
        .value_kind:     hidden_group_size_z
      - .offset:         34
        .size:           2
        .value_kind:     hidden_remainder_x
      - .offset:         36
        .size:           2
        .value_kind:     hidden_remainder_y
      - .offset:         38
        .size:           2
        .value_kind:     hidden_remainder_z
      - .offset:         56
        .size:           8
        .value_kind:     hidden_global_offset_x
      - .offset:         64
        .size:           8
        .value_kind:     hidden_global_offset_y
      - .offset:         72
        .size:           8
        .value_kind:     hidden_global_offset_z
      - .offset:         80
        .size:           2
        .value_kind:     hidden_grid_dims
    .group_segment_fixed_size: 1040
    .kernarg_segment_align: 8
    .kernarg_segment_size: 272
    .language:       OpenCL C
    .language_version:
      - 2
      - 0
    .max_flat_workgroup_size: 64
    .name:           _Z16sort_keys_kernelI22helper_blocked_blockedaLj64ELj1ELj10EEvPKT0_PS1_
    .private_segment_fixed_size: 0
    .sgpr_count:     27
    .sgpr_spill_count: 0
    .symbol:         _Z16sort_keys_kernelI22helper_blocked_blockedaLj64ELj1ELj10EEvPKT0_PS1_.kd
    .uniform_work_group_size: 1
    .uses_dynamic_stack: false
    .vgpr_count:     13
    .vgpr_spill_count: 0
    .wavefront_size: 64
  - .args:
      - .address_space:  global
        .offset:         0
        .size:           8
        .value_kind:     global_buffer
      - .address_space:  global
        .offset:         8
        .size:           8
        .value_kind:     global_buffer
      - .offset:         16
        .size:           4
        .value_kind:     hidden_block_count_x
      - .offset:         20
        .size:           4
        .value_kind:     hidden_block_count_y
      - .offset:         24
        .size:           4
        .value_kind:     hidden_block_count_z
      - .offset:         28
        .size:           2
        .value_kind:     hidden_group_size_x
      - .offset:         30
        .size:           2
        .value_kind:     hidden_group_size_y
      - .offset:         32
        .size:           2
        .value_kind:     hidden_group_size_z
      - .offset:         34
        .size:           2
        .value_kind:     hidden_remainder_x
      - .offset:         36
        .size:           2
        .value_kind:     hidden_remainder_y
      - .offset:         38
        .size:           2
        .value_kind:     hidden_remainder_z
      - .offset:         56
        .size:           8
        .value_kind:     hidden_global_offset_x
      - .offset:         64
        .size:           8
        .value_kind:     hidden_global_offset_y
      - .offset:         72
        .size:           8
        .value_kind:     hidden_global_offset_z
      - .offset:         80
        .size:           2
        .value_kind:     hidden_grid_dims
    .group_segment_fixed_size: 1040
    .kernarg_segment_align: 8
    .kernarg_segment_size: 272
    .language:       OpenCL C
    .language_version:
      - 2
      - 0
    .max_flat_workgroup_size: 64
    .name:           _Z17sort_pairs_kernelI22helper_blocked_blockedaLj64ELj1ELj10EEvPKT0_PS1_
    .private_segment_fixed_size: 0
    .sgpr_count:     27
    .sgpr_spill_count: 0
    .symbol:         _Z17sort_pairs_kernelI22helper_blocked_blockedaLj64ELj1ELj10EEvPKT0_PS1_.kd
    .uniform_work_group_size: 1
    .uses_dynamic_stack: false
    .vgpr_count:     14
    .vgpr_spill_count: 0
    .wavefront_size: 64
  - .args:
      - .address_space:  global
        .offset:         0
        .size:           8
        .value_kind:     global_buffer
      - .address_space:  global
        .offset:         8
        .size:           8
        .value_kind:     global_buffer
      - .offset:         16
        .size:           4
        .value_kind:     hidden_block_count_x
      - .offset:         20
        .size:           4
        .value_kind:     hidden_block_count_y
      - .offset:         24
        .size:           4
        .value_kind:     hidden_block_count_z
      - .offset:         28
        .size:           2
        .value_kind:     hidden_group_size_x
      - .offset:         30
        .size:           2
        .value_kind:     hidden_group_size_y
      - .offset:         32
        .size:           2
        .value_kind:     hidden_group_size_z
      - .offset:         34
        .size:           2
        .value_kind:     hidden_remainder_x
      - .offset:         36
        .size:           2
        .value_kind:     hidden_remainder_y
      - .offset:         38
        .size:           2
        .value_kind:     hidden_remainder_z
      - .offset:         56
        .size:           8
        .value_kind:     hidden_global_offset_x
      - .offset:         64
        .size:           8
        .value_kind:     hidden_global_offset_y
      - .offset:         72
        .size:           8
        .value_kind:     hidden_global_offset_z
      - .offset:         80
        .size:           2
        .value_kind:     hidden_grid_dims
    .group_segment_fixed_size: 1040
    .kernarg_segment_align: 8
    .kernarg_segment_size: 272
    .language:       OpenCL C
    .language_version:
      - 2
      - 0
    .max_flat_workgroup_size: 64
    .name:           _Z16sort_keys_kernelI22helper_blocked_blockedaLj64ELj3ELj10EEvPKT0_PS1_
    .private_segment_fixed_size: 0
    .sgpr_count:     26
    .sgpr_spill_count: 0
    .symbol:         _Z16sort_keys_kernelI22helper_blocked_blockedaLj64ELj3ELj10EEvPKT0_PS1_.kd
    .uniform_work_group_size: 1
    .uses_dynamic_stack: false
    .vgpr_count:     24
    .vgpr_spill_count: 0
    .wavefront_size: 64
  - .args:
      - .address_space:  global
        .offset:         0
        .size:           8
        .value_kind:     global_buffer
      - .address_space:  global
        .offset:         8
        .size:           8
        .value_kind:     global_buffer
      - .offset:         16
        .size:           4
        .value_kind:     hidden_block_count_x
      - .offset:         20
        .size:           4
        .value_kind:     hidden_block_count_y
      - .offset:         24
        .size:           4
        .value_kind:     hidden_block_count_z
      - .offset:         28
        .size:           2
        .value_kind:     hidden_group_size_x
      - .offset:         30
        .size:           2
        .value_kind:     hidden_group_size_y
      - .offset:         32
        .size:           2
        .value_kind:     hidden_group_size_z
      - .offset:         34
        .size:           2
        .value_kind:     hidden_remainder_x
      - .offset:         36
        .size:           2
        .value_kind:     hidden_remainder_y
      - .offset:         38
        .size:           2
        .value_kind:     hidden_remainder_z
      - .offset:         56
        .size:           8
        .value_kind:     hidden_global_offset_x
      - .offset:         64
        .size:           8
        .value_kind:     hidden_global_offset_y
      - .offset:         72
        .size:           8
        .value_kind:     hidden_global_offset_z
      - .offset:         80
        .size:           2
        .value_kind:     hidden_grid_dims
    .group_segment_fixed_size: 1040
    .kernarg_segment_align: 8
    .kernarg_segment_size: 272
    .language:       OpenCL C
    .language_version:
      - 2
      - 0
    .max_flat_workgroup_size: 64
    .name:           _Z17sort_pairs_kernelI22helper_blocked_blockedaLj64ELj3ELj10EEvPKT0_PS1_
    .private_segment_fixed_size: 0
    .sgpr_count:     28
    .sgpr_spill_count: 0
    .symbol:         _Z17sort_pairs_kernelI22helper_blocked_blockedaLj64ELj3ELj10EEvPKT0_PS1_.kd
    .uniform_work_group_size: 1
    .uses_dynamic_stack: false
    .vgpr_count:     27
    .vgpr_spill_count: 0
    .wavefront_size: 64
  - .args:
      - .address_space:  global
        .offset:         0
        .size:           8
        .value_kind:     global_buffer
      - .address_space:  global
        .offset:         8
        .size:           8
        .value_kind:     global_buffer
      - .offset:         16
        .size:           4
        .value_kind:     hidden_block_count_x
      - .offset:         20
        .size:           4
        .value_kind:     hidden_block_count_y
      - .offset:         24
        .size:           4
        .value_kind:     hidden_block_count_z
      - .offset:         28
        .size:           2
        .value_kind:     hidden_group_size_x
      - .offset:         30
        .size:           2
        .value_kind:     hidden_group_size_y
      - .offset:         32
        .size:           2
        .value_kind:     hidden_group_size_z
      - .offset:         34
        .size:           2
        .value_kind:     hidden_remainder_x
      - .offset:         36
        .size:           2
        .value_kind:     hidden_remainder_y
      - .offset:         38
        .size:           2
        .value_kind:     hidden_remainder_z
      - .offset:         56
        .size:           8
        .value_kind:     hidden_global_offset_x
      - .offset:         64
        .size:           8
        .value_kind:     hidden_global_offset_y
      - .offset:         72
        .size:           8
        .value_kind:     hidden_global_offset_z
      - .offset:         80
        .size:           2
        .value_kind:     hidden_grid_dims
    .group_segment_fixed_size: 1040
    .kernarg_segment_align: 8
    .kernarg_segment_size: 272
    .language:       OpenCL C
    .language_version:
      - 2
      - 0
    .max_flat_workgroup_size: 64
    .name:           _Z16sort_keys_kernelI22helper_blocked_blockedaLj64ELj4ELj10EEvPKT0_PS1_
    .private_segment_fixed_size: 0
    .sgpr_count:     42
    .sgpr_spill_count: 0
    .symbol:         _Z16sort_keys_kernelI22helper_blocked_blockedaLj64ELj4ELj10EEvPKT0_PS1_.kd
    .uniform_work_group_size: 1
    .uses_dynamic_stack: false
    .vgpr_count:     30
    .vgpr_spill_count: 0
    .wavefront_size: 64
  - .args:
      - .address_space:  global
        .offset:         0
        .size:           8
        .value_kind:     global_buffer
      - .address_space:  global
        .offset:         8
        .size:           8
        .value_kind:     global_buffer
      - .offset:         16
        .size:           4
        .value_kind:     hidden_block_count_x
      - .offset:         20
        .size:           4
        .value_kind:     hidden_block_count_y
      - .offset:         24
        .size:           4
        .value_kind:     hidden_block_count_z
      - .offset:         28
        .size:           2
        .value_kind:     hidden_group_size_x
      - .offset:         30
        .size:           2
        .value_kind:     hidden_group_size_y
      - .offset:         32
        .size:           2
        .value_kind:     hidden_group_size_z
      - .offset:         34
        .size:           2
        .value_kind:     hidden_remainder_x
      - .offset:         36
        .size:           2
        .value_kind:     hidden_remainder_y
      - .offset:         38
        .size:           2
        .value_kind:     hidden_remainder_z
      - .offset:         56
        .size:           8
        .value_kind:     hidden_global_offset_x
      - .offset:         64
        .size:           8
        .value_kind:     hidden_global_offset_y
      - .offset:         72
        .size:           8
        .value_kind:     hidden_global_offset_z
      - .offset:         80
        .size:           2
        .value_kind:     hidden_grid_dims
    .group_segment_fixed_size: 1040
    .kernarg_segment_align: 8
    .kernarg_segment_size: 272
    .language:       OpenCL C
    .language_version:
      - 2
      - 0
    .max_flat_workgroup_size: 64
    .name:           _Z17sort_pairs_kernelI22helper_blocked_blockedaLj64ELj4ELj10EEvPKT0_PS1_
    .private_segment_fixed_size: 0
    .sgpr_count:     46
    .sgpr_spill_count: 0
    .symbol:         _Z17sort_pairs_kernelI22helper_blocked_blockedaLj64ELj4ELj10EEvPKT0_PS1_.kd
    .uniform_work_group_size: 1
    .uses_dynamic_stack: false
    .vgpr_count:     46
    .vgpr_spill_count: 0
    .wavefront_size: 64
  - .args:
      - .address_space:  global
        .offset:         0
        .size:           8
        .value_kind:     global_buffer
      - .address_space:  global
        .offset:         8
        .size:           8
        .value_kind:     global_buffer
      - .offset:         16
        .size:           4
        .value_kind:     hidden_block_count_x
      - .offset:         20
        .size:           4
        .value_kind:     hidden_block_count_y
      - .offset:         24
        .size:           4
        .value_kind:     hidden_block_count_z
      - .offset:         28
        .size:           2
        .value_kind:     hidden_group_size_x
      - .offset:         30
        .size:           2
        .value_kind:     hidden_group_size_y
      - .offset:         32
        .size:           2
        .value_kind:     hidden_group_size_z
      - .offset:         34
        .size:           2
        .value_kind:     hidden_remainder_x
      - .offset:         36
        .size:           2
        .value_kind:     hidden_remainder_y
      - .offset:         38
        .size:           2
        .value_kind:     hidden_remainder_z
      - .offset:         56
        .size:           8
        .value_kind:     hidden_global_offset_x
      - .offset:         64
        .size:           8
        .value_kind:     hidden_global_offset_y
      - .offset:         72
        .size:           8
        .value_kind:     hidden_global_offset_z
      - .offset:         80
        .size:           2
        .value_kind:     hidden_grid_dims
    .group_segment_fixed_size: 1040
    .kernarg_segment_align: 8
    .kernarg_segment_size: 272
    .language:       OpenCL C
    .language_version:
      - 2
      - 0
    .max_flat_workgroup_size: 64
    .name:           _Z16sort_keys_kernelI22helper_blocked_blockedaLj64ELj8ELj10EEvPKT0_PS1_
    .private_segment_fixed_size: 0
    .sgpr_count:     32
    .sgpr_spill_count: 0
    .symbol:         _Z16sort_keys_kernelI22helper_blocked_blockedaLj64ELj8ELj10EEvPKT0_PS1_.kd
    .uniform_work_group_size: 1
    .uses_dynamic_stack: false
    .vgpr_count:     44
    .vgpr_spill_count: 0
    .wavefront_size: 64
  - .args:
      - .address_space:  global
        .offset:         0
        .size:           8
        .value_kind:     global_buffer
      - .address_space:  global
        .offset:         8
        .size:           8
        .value_kind:     global_buffer
      - .offset:         16
        .size:           4
        .value_kind:     hidden_block_count_x
      - .offset:         20
        .size:           4
        .value_kind:     hidden_block_count_y
      - .offset:         24
        .size:           4
        .value_kind:     hidden_block_count_z
      - .offset:         28
        .size:           2
        .value_kind:     hidden_group_size_x
      - .offset:         30
        .size:           2
        .value_kind:     hidden_group_size_y
      - .offset:         32
        .size:           2
        .value_kind:     hidden_group_size_z
      - .offset:         34
        .size:           2
        .value_kind:     hidden_remainder_x
      - .offset:         36
        .size:           2
        .value_kind:     hidden_remainder_y
      - .offset:         38
        .size:           2
        .value_kind:     hidden_remainder_z
      - .offset:         56
        .size:           8
        .value_kind:     hidden_global_offset_x
      - .offset:         64
        .size:           8
        .value_kind:     hidden_global_offset_y
      - .offset:         72
        .size:           8
        .value_kind:     hidden_global_offset_z
      - .offset:         80
        .size:           2
        .value_kind:     hidden_grid_dims
    .group_segment_fixed_size: 1040
    .kernarg_segment_align: 8
    .kernarg_segment_size: 272
    .language:       OpenCL C
    .language_version:
      - 2
      - 0
    .max_flat_workgroup_size: 64
    .name:           _Z17sort_pairs_kernelI22helper_blocked_blockedaLj64ELj8ELj10EEvPKT0_PS1_
    .private_segment_fixed_size: 0
    .sgpr_count:     33
    .sgpr_spill_count: 0
    .symbol:         _Z17sort_pairs_kernelI22helper_blocked_blockedaLj64ELj8ELj10EEvPKT0_PS1_.kd
    .uniform_work_group_size: 1
    .uses_dynamic_stack: false
    .vgpr_count:     52
    .vgpr_spill_count: 0
    .wavefront_size: 64
  - .args:
      - .address_space:  global
        .offset:         0
        .size:           8
        .value_kind:     global_buffer
      - .address_space:  global
        .offset:         8
        .size:           8
        .value_kind:     global_buffer
      - .offset:         16
        .size:           4
        .value_kind:     hidden_block_count_x
      - .offset:         20
        .size:           4
        .value_kind:     hidden_block_count_y
      - .offset:         24
        .size:           4
        .value_kind:     hidden_block_count_z
      - .offset:         28
        .size:           2
        .value_kind:     hidden_group_size_x
      - .offset:         30
        .size:           2
        .value_kind:     hidden_group_size_y
      - .offset:         32
        .size:           2
        .value_kind:     hidden_group_size_z
      - .offset:         34
        .size:           2
        .value_kind:     hidden_remainder_x
      - .offset:         36
        .size:           2
        .value_kind:     hidden_remainder_y
      - .offset:         38
        .size:           2
        .value_kind:     hidden_remainder_z
      - .offset:         56
        .size:           8
        .value_kind:     hidden_global_offset_x
      - .offset:         64
        .size:           8
        .value_kind:     hidden_global_offset_y
      - .offset:         72
        .size:           8
        .value_kind:     hidden_global_offset_z
      - .offset:         80
        .size:           2
        .value_kind:     hidden_grid_dims
    .group_segment_fixed_size: 2064
    .kernarg_segment_align: 8
    .kernarg_segment_size: 272
    .language:       OpenCL C
    .language_version:
      - 2
      - 0
    .max_flat_workgroup_size: 128
    .name:           _Z16sort_keys_kernelI22helper_blocked_blockedaLj128ELj1ELj10EEvPKT0_PS1_
    .private_segment_fixed_size: 0
    .sgpr_count:     34
    .sgpr_spill_count: 0
    .symbol:         _Z16sort_keys_kernelI22helper_blocked_blockedaLj128ELj1ELj10EEvPKT0_PS1_.kd
    .uniform_work_group_size: 1
    .uses_dynamic_stack: false
    .vgpr_count:     22
    .vgpr_spill_count: 0
    .wavefront_size: 64
  - .args:
      - .address_space:  global
        .offset:         0
        .size:           8
        .value_kind:     global_buffer
      - .address_space:  global
        .offset:         8
        .size:           8
        .value_kind:     global_buffer
      - .offset:         16
        .size:           4
        .value_kind:     hidden_block_count_x
      - .offset:         20
        .size:           4
        .value_kind:     hidden_block_count_y
      - .offset:         24
        .size:           4
        .value_kind:     hidden_block_count_z
      - .offset:         28
        .size:           2
        .value_kind:     hidden_group_size_x
      - .offset:         30
        .size:           2
        .value_kind:     hidden_group_size_y
      - .offset:         32
        .size:           2
        .value_kind:     hidden_group_size_z
      - .offset:         34
        .size:           2
        .value_kind:     hidden_remainder_x
      - .offset:         36
        .size:           2
        .value_kind:     hidden_remainder_y
      - .offset:         38
        .size:           2
        .value_kind:     hidden_remainder_z
      - .offset:         56
        .size:           8
        .value_kind:     hidden_global_offset_x
      - .offset:         64
        .size:           8
        .value_kind:     hidden_global_offset_y
      - .offset:         72
        .size:           8
        .value_kind:     hidden_global_offset_z
      - .offset:         80
        .size:           2
        .value_kind:     hidden_grid_dims
    .group_segment_fixed_size: 2064
    .kernarg_segment_align: 8
    .kernarg_segment_size: 272
    .language:       OpenCL C
    .language_version:
      - 2
      - 0
    .max_flat_workgroup_size: 128
    .name:           _Z17sort_pairs_kernelI22helper_blocked_blockedaLj128ELj1ELj10EEvPKT0_PS1_
    .private_segment_fixed_size: 0
    .sgpr_count:     34
    .sgpr_spill_count: 0
    .symbol:         _Z17sort_pairs_kernelI22helper_blocked_blockedaLj128ELj1ELj10EEvPKT0_PS1_.kd
    .uniform_work_group_size: 1
    .uses_dynamic_stack: false
    .vgpr_count:     23
    .vgpr_spill_count: 0
    .wavefront_size: 64
  - .args:
      - .address_space:  global
        .offset:         0
        .size:           8
        .value_kind:     global_buffer
      - .address_space:  global
        .offset:         8
        .size:           8
        .value_kind:     global_buffer
      - .offset:         16
        .size:           4
        .value_kind:     hidden_block_count_x
      - .offset:         20
        .size:           4
        .value_kind:     hidden_block_count_y
      - .offset:         24
        .size:           4
        .value_kind:     hidden_block_count_z
      - .offset:         28
        .size:           2
        .value_kind:     hidden_group_size_x
      - .offset:         30
        .size:           2
        .value_kind:     hidden_group_size_y
      - .offset:         32
        .size:           2
        .value_kind:     hidden_group_size_z
      - .offset:         34
        .size:           2
        .value_kind:     hidden_remainder_x
      - .offset:         36
        .size:           2
        .value_kind:     hidden_remainder_y
      - .offset:         38
        .size:           2
        .value_kind:     hidden_remainder_z
      - .offset:         56
        .size:           8
        .value_kind:     hidden_global_offset_x
      - .offset:         64
        .size:           8
        .value_kind:     hidden_global_offset_y
      - .offset:         72
        .size:           8
        .value_kind:     hidden_global_offset_z
      - .offset:         80
        .size:           2
        .value_kind:     hidden_grid_dims
    .group_segment_fixed_size: 2064
    .kernarg_segment_align: 8
    .kernarg_segment_size: 272
    .language:       OpenCL C
    .language_version:
      - 2
      - 0
    .max_flat_workgroup_size: 128
    .name:           _Z16sort_keys_kernelI22helper_blocked_blockedaLj128ELj3ELj10EEvPKT0_PS1_
    .private_segment_fixed_size: 0
    .sgpr_count:     34
    .sgpr_spill_count: 0
    .symbol:         _Z16sort_keys_kernelI22helper_blocked_blockedaLj128ELj3ELj10EEvPKT0_PS1_.kd
    .uniform_work_group_size: 1
    .uses_dynamic_stack: false
    .vgpr_count:     33
    .vgpr_spill_count: 0
    .wavefront_size: 64
  - .args:
      - .address_space:  global
        .offset:         0
        .size:           8
        .value_kind:     global_buffer
      - .address_space:  global
        .offset:         8
        .size:           8
        .value_kind:     global_buffer
      - .offset:         16
        .size:           4
        .value_kind:     hidden_block_count_x
      - .offset:         20
        .size:           4
        .value_kind:     hidden_block_count_y
      - .offset:         24
        .size:           4
        .value_kind:     hidden_block_count_z
      - .offset:         28
        .size:           2
        .value_kind:     hidden_group_size_x
      - .offset:         30
        .size:           2
        .value_kind:     hidden_group_size_y
      - .offset:         32
        .size:           2
        .value_kind:     hidden_group_size_z
      - .offset:         34
        .size:           2
        .value_kind:     hidden_remainder_x
      - .offset:         36
        .size:           2
        .value_kind:     hidden_remainder_y
      - .offset:         38
        .size:           2
        .value_kind:     hidden_remainder_z
      - .offset:         56
        .size:           8
        .value_kind:     hidden_global_offset_x
      - .offset:         64
        .size:           8
        .value_kind:     hidden_global_offset_y
      - .offset:         72
        .size:           8
        .value_kind:     hidden_global_offset_z
      - .offset:         80
        .size:           2
        .value_kind:     hidden_grid_dims
    .group_segment_fixed_size: 2064
    .kernarg_segment_align: 8
    .kernarg_segment_size: 272
    .language:       OpenCL C
    .language_version:
      - 2
      - 0
    .max_flat_workgroup_size: 128
    .name:           _Z17sort_pairs_kernelI22helper_blocked_blockedaLj128ELj3ELj10EEvPKT0_PS1_
    .private_segment_fixed_size: 0
    .sgpr_count:     35
    .sgpr_spill_count: 0
    .symbol:         _Z17sort_pairs_kernelI22helper_blocked_blockedaLj128ELj3ELj10EEvPKT0_PS1_.kd
    .uniform_work_group_size: 1
    .uses_dynamic_stack: false
    .vgpr_count:     35
    .vgpr_spill_count: 0
    .wavefront_size: 64
  - .args:
      - .address_space:  global
        .offset:         0
        .size:           8
        .value_kind:     global_buffer
      - .address_space:  global
        .offset:         8
        .size:           8
        .value_kind:     global_buffer
      - .offset:         16
        .size:           4
        .value_kind:     hidden_block_count_x
      - .offset:         20
        .size:           4
        .value_kind:     hidden_block_count_y
      - .offset:         24
        .size:           4
        .value_kind:     hidden_block_count_z
      - .offset:         28
        .size:           2
        .value_kind:     hidden_group_size_x
      - .offset:         30
        .size:           2
        .value_kind:     hidden_group_size_y
      - .offset:         32
        .size:           2
        .value_kind:     hidden_group_size_z
      - .offset:         34
        .size:           2
        .value_kind:     hidden_remainder_x
      - .offset:         36
        .size:           2
        .value_kind:     hidden_remainder_y
      - .offset:         38
        .size:           2
        .value_kind:     hidden_remainder_z
      - .offset:         56
        .size:           8
        .value_kind:     hidden_global_offset_x
      - .offset:         64
        .size:           8
        .value_kind:     hidden_global_offset_y
      - .offset:         72
        .size:           8
        .value_kind:     hidden_global_offset_z
      - .offset:         80
        .size:           2
        .value_kind:     hidden_grid_dims
    .group_segment_fixed_size: 2064
    .kernarg_segment_align: 8
    .kernarg_segment_size: 272
    .language:       OpenCL C
    .language_version:
      - 2
      - 0
    .max_flat_workgroup_size: 128
    .name:           _Z16sort_keys_kernelI22helper_blocked_blockedaLj128ELj4ELj10EEvPKT0_PS1_
    .private_segment_fixed_size: 0
    .sgpr_count:     50
    .sgpr_spill_count: 0
    .symbol:         _Z16sort_keys_kernelI22helper_blocked_blockedaLj128ELj4ELj10EEvPKT0_PS1_.kd
    .uniform_work_group_size: 1
    .uses_dynamic_stack: false
    .vgpr_count:     38
    .vgpr_spill_count: 0
    .wavefront_size: 64
  - .args:
      - .address_space:  global
        .offset:         0
        .size:           8
        .value_kind:     global_buffer
      - .address_space:  global
        .offset:         8
        .size:           8
        .value_kind:     global_buffer
      - .offset:         16
        .size:           4
        .value_kind:     hidden_block_count_x
      - .offset:         20
        .size:           4
        .value_kind:     hidden_block_count_y
      - .offset:         24
        .size:           4
        .value_kind:     hidden_block_count_z
      - .offset:         28
        .size:           2
        .value_kind:     hidden_group_size_x
      - .offset:         30
        .size:           2
        .value_kind:     hidden_group_size_y
      - .offset:         32
        .size:           2
        .value_kind:     hidden_group_size_z
      - .offset:         34
        .size:           2
        .value_kind:     hidden_remainder_x
      - .offset:         36
        .size:           2
        .value_kind:     hidden_remainder_y
      - .offset:         38
        .size:           2
        .value_kind:     hidden_remainder_z
      - .offset:         56
        .size:           8
        .value_kind:     hidden_global_offset_x
      - .offset:         64
        .size:           8
        .value_kind:     hidden_global_offset_y
      - .offset:         72
        .size:           8
        .value_kind:     hidden_global_offset_z
      - .offset:         80
        .size:           2
        .value_kind:     hidden_grid_dims
    .group_segment_fixed_size: 2064
    .kernarg_segment_align: 8
    .kernarg_segment_size: 272
    .language:       OpenCL C
    .language_version:
      - 2
      - 0
    .max_flat_workgroup_size: 128
    .name:           _Z17sort_pairs_kernelI22helper_blocked_blockedaLj128ELj4ELj10EEvPKT0_PS1_
    .private_segment_fixed_size: 0
    .sgpr_count:     52
    .sgpr_spill_count: 0
    .symbol:         _Z17sort_pairs_kernelI22helper_blocked_blockedaLj128ELj4ELj10EEvPKT0_PS1_.kd
    .uniform_work_group_size: 1
    .uses_dynamic_stack: false
    .vgpr_count:     54
    .vgpr_spill_count: 0
    .wavefront_size: 64
  - .args:
      - .address_space:  global
        .offset:         0
        .size:           8
        .value_kind:     global_buffer
      - .address_space:  global
        .offset:         8
        .size:           8
        .value_kind:     global_buffer
      - .offset:         16
        .size:           4
        .value_kind:     hidden_block_count_x
      - .offset:         20
        .size:           4
        .value_kind:     hidden_block_count_y
      - .offset:         24
        .size:           4
        .value_kind:     hidden_block_count_z
      - .offset:         28
        .size:           2
        .value_kind:     hidden_group_size_x
      - .offset:         30
        .size:           2
        .value_kind:     hidden_group_size_y
      - .offset:         32
        .size:           2
        .value_kind:     hidden_group_size_z
      - .offset:         34
        .size:           2
        .value_kind:     hidden_remainder_x
      - .offset:         36
        .size:           2
        .value_kind:     hidden_remainder_y
      - .offset:         38
        .size:           2
        .value_kind:     hidden_remainder_z
      - .offset:         56
        .size:           8
        .value_kind:     hidden_global_offset_x
      - .offset:         64
        .size:           8
        .value_kind:     hidden_global_offset_y
      - .offset:         72
        .size:           8
        .value_kind:     hidden_global_offset_z
      - .offset:         80
        .size:           2
        .value_kind:     hidden_grid_dims
    .group_segment_fixed_size: 2064
    .kernarg_segment_align: 8
    .kernarg_segment_size: 272
    .language:       OpenCL C
    .language_version:
      - 2
      - 0
    .max_flat_workgroup_size: 128
    .name:           _Z16sort_keys_kernelI22helper_blocked_blockedaLj128ELj8ELj10EEvPKT0_PS1_
    .private_segment_fixed_size: 0
    .sgpr_count:     38
    .sgpr_spill_count: 0
    .symbol:         _Z16sort_keys_kernelI22helper_blocked_blockedaLj128ELj8ELj10EEvPKT0_PS1_.kd
    .uniform_work_group_size: 1
    .uses_dynamic_stack: false
    .vgpr_count:     53
    .vgpr_spill_count: 0
    .wavefront_size: 64
  - .args:
      - .address_space:  global
        .offset:         0
        .size:           8
        .value_kind:     global_buffer
      - .address_space:  global
        .offset:         8
        .size:           8
        .value_kind:     global_buffer
      - .offset:         16
        .size:           4
        .value_kind:     hidden_block_count_x
      - .offset:         20
        .size:           4
        .value_kind:     hidden_block_count_y
      - .offset:         24
        .size:           4
        .value_kind:     hidden_block_count_z
      - .offset:         28
        .size:           2
        .value_kind:     hidden_group_size_x
      - .offset:         30
        .size:           2
        .value_kind:     hidden_group_size_y
      - .offset:         32
        .size:           2
        .value_kind:     hidden_group_size_z
      - .offset:         34
        .size:           2
        .value_kind:     hidden_remainder_x
      - .offset:         36
        .size:           2
        .value_kind:     hidden_remainder_y
      - .offset:         38
        .size:           2
        .value_kind:     hidden_remainder_z
      - .offset:         56
        .size:           8
        .value_kind:     hidden_global_offset_x
      - .offset:         64
        .size:           8
        .value_kind:     hidden_global_offset_y
      - .offset:         72
        .size:           8
        .value_kind:     hidden_global_offset_z
      - .offset:         80
        .size:           2
        .value_kind:     hidden_grid_dims
    .group_segment_fixed_size: 2064
    .kernarg_segment_align: 8
    .kernarg_segment_size: 272
    .language:       OpenCL C
    .language_version:
      - 2
      - 0
    .max_flat_workgroup_size: 128
    .name:           _Z17sort_pairs_kernelI22helper_blocked_blockedaLj128ELj8ELj10EEvPKT0_PS1_
    .private_segment_fixed_size: 0
    .sgpr_count:     40
    .sgpr_spill_count: 0
    .symbol:         _Z17sort_pairs_kernelI22helper_blocked_blockedaLj128ELj8ELj10EEvPKT0_PS1_.kd
    .uniform_work_group_size: 1
    .uses_dynamic_stack: false
    .vgpr_count:     61
    .vgpr_spill_count: 0
    .wavefront_size: 64
  - .args:
      - .address_space:  global
        .offset:         0
        .size:           8
        .value_kind:     global_buffer
      - .address_space:  global
        .offset:         8
        .size:           8
        .value_kind:     global_buffer
      - .offset:         16
        .size:           4
        .value_kind:     hidden_block_count_x
      - .offset:         20
        .size:           4
        .value_kind:     hidden_block_count_y
      - .offset:         24
        .size:           4
        .value_kind:     hidden_block_count_z
      - .offset:         28
        .size:           2
        .value_kind:     hidden_group_size_x
      - .offset:         30
        .size:           2
        .value_kind:     hidden_group_size_y
      - .offset:         32
        .size:           2
        .value_kind:     hidden_group_size_z
      - .offset:         34
        .size:           2
        .value_kind:     hidden_remainder_x
      - .offset:         36
        .size:           2
        .value_kind:     hidden_remainder_y
      - .offset:         38
        .size:           2
        .value_kind:     hidden_remainder_z
      - .offset:         56
        .size:           8
        .value_kind:     hidden_global_offset_x
      - .offset:         64
        .size:           8
        .value_kind:     hidden_global_offset_y
      - .offset:         72
        .size:           8
        .value_kind:     hidden_global_offset_z
      - .offset:         80
        .size:           2
        .value_kind:     hidden_grid_dims
    .group_segment_fixed_size: 3088
    .kernarg_segment_align: 8
    .kernarg_segment_size: 272
    .language:       OpenCL C
    .language_version:
      - 2
      - 0
    .max_flat_workgroup_size: 192
    .name:           _Z16sort_keys_kernelI22helper_blocked_blockedaLj192ELj1ELj10EEvPKT0_PS1_
    .private_segment_fixed_size: 0
    .sgpr_count:     38
    .sgpr_spill_count: 0
    .symbol:         _Z16sort_keys_kernelI22helper_blocked_blockedaLj192ELj1ELj10EEvPKT0_PS1_.kd
    .uniform_work_group_size: 1
    .uses_dynamic_stack: false
    .vgpr_count:     18
    .vgpr_spill_count: 0
    .wavefront_size: 64
  - .args:
      - .address_space:  global
        .offset:         0
        .size:           8
        .value_kind:     global_buffer
      - .address_space:  global
        .offset:         8
        .size:           8
        .value_kind:     global_buffer
      - .offset:         16
        .size:           4
        .value_kind:     hidden_block_count_x
      - .offset:         20
        .size:           4
        .value_kind:     hidden_block_count_y
      - .offset:         24
        .size:           4
        .value_kind:     hidden_block_count_z
      - .offset:         28
        .size:           2
        .value_kind:     hidden_group_size_x
      - .offset:         30
        .size:           2
        .value_kind:     hidden_group_size_y
      - .offset:         32
        .size:           2
        .value_kind:     hidden_group_size_z
      - .offset:         34
        .size:           2
        .value_kind:     hidden_remainder_x
      - .offset:         36
        .size:           2
        .value_kind:     hidden_remainder_y
      - .offset:         38
        .size:           2
        .value_kind:     hidden_remainder_z
      - .offset:         56
        .size:           8
        .value_kind:     hidden_global_offset_x
      - .offset:         64
        .size:           8
        .value_kind:     hidden_global_offset_y
      - .offset:         72
        .size:           8
        .value_kind:     hidden_global_offset_z
      - .offset:         80
        .size:           2
        .value_kind:     hidden_grid_dims
    .group_segment_fixed_size: 3088
    .kernarg_segment_align: 8
    .kernarg_segment_size: 272
    .language:       OpenCL C
    .language_version:
      - 2
      - 0
    .max_flat_workgroup_size: 192
    .name:           _Z17sort_pairs_kernelI22helper_blocked_blockedaLj192ELj1ELj10EEvPKT0_PS1_
    .private_segment_fixed_size: 0
    .sgpr_count:     38
    .sgpr_spill_count: 0
    .symbol:         _Z17sort_pairs_kernelI22helper_blocked_blockedaLj192ELj1ELj10EEvPKT0_PS1_.kd
    .uniform_work_group_size: 1
    .uses_dynamic_stack: false
    .vgpr_count:     19
    .vgpr_spill_count: 0
    .wavefront_size: 64
  - .args:
      - .address_space:  global
        .offset:         0
        .size:           8
        .value_kind:     global_buffer
      - .address_space:  global
        .offset:         8
        .size:           8
        .value_kind:     global_buffer
      - .offset:         16
        .size:           4
        .value_kind:     hidden_block_count_x
      - .offset:         20
        .size:           4
        .value_kind:     hidden_block_count_y
      - .offset:         24
        .size:           4
        .value_kind:     hidden_block_count_z
      - .offset:         28
        .size:           2
        .value_kind:     hidden_group_size_x
      - .offset:         30
        .size:           2
        .value_kind:     hidden_group_size_y
      - .offset:         32
        .size:           2
        .value_kind:     hidden_group_size_z
      - .offset:         34
        .size:           2
        .value_kind:     hidden_remainder_x
      - .offset:         36
        .size:           2
        .value_kind:     hidden_remainder_y
      - .offset:         38
        .size:           2
        .value_kind:     hidden_remainder_z
      - .offset:         56
        .size:           8
        .value_kind:     hidden_global_offset_x
      - .offset:         64
        .size:           8
        .value_kind:     hidden_global_offset_y
      - .offset:         72
        .size:           8
        .value_kind:     hidden_global_offset_z
      - .offset:         80
        .size:           2
        .value_kind:     hidden_grid_dims
    .group_segment_fixed_size: 3088
    .kernarg_segment_align: 8
    .kernarg_segment_size: 272
    .language:       OpenCL C
    .language_version:
      - 2
      - 0
    .max_flat_workgroup_size: 192
    .name:           _Z16sort_keys_kernelI22helper_blocked_blockedaLj192ELj3ELj10EEvPKT0_PS1_
    .private_segment_fixed_size: 0
    .sgpr_count:     38
    .sgpr_spill_count: 0
    .symbol:         _Z16sort_keys_kernelI22helper_blocked_blockedaLj192ELj3ELj10EEvPKT0_PS1_.kd
    .uniform_work_group_size: 1
    .uses_dynamic_stack: false
    .vgpr_count:     27
    .vgpr_spill_count: 0
    .wavefront_size: 64
  - .args:
      - .address_space:  global
        .offset:         0
        .size:           8
        .value_kind:     global_buffer
      - .address_space:  global
        .offset:         8
        .size:           8
        .value_kind:     global_buffer
      - .offset:         16
        .size:           4
        .value_kind:     hidden_block_count_x
      - .offset:         20
        .size:           4
        .value_kind:     hidden_block_count_y
      - .offset:         24
        .size:           4
        .value_kind:     hidden_block_count_z
      - .offset:         28
        .size:           2
        .value_kind:     hidden_group_size_x
      - .offset:         30
        .size:           2
        .value_kind:     hidden_group_size_y
      - .offset:         32
        .size:           2
        .value_kind:     hidden_group_size_z
      - .offset:         34
        .size:           2
        .value_kind:     hidden_remainder_x
      - .offset:         36
        .size:           2
        .value_kind:     hidden_remainder_y
      - .offset:         38
        .size:           2
        .value_kind:     hidden_remainder_z
      - .offset:         56
        .size:           8
        .value_kind:     hidden_global_offset_x
      - .offset:         64
        .size:           8
        .value_kind:     hidden_global_offset_y
      - .offset:         72
        .size:           8
        .value_kind:     hidden_global_offset_z
      - .offset:         80
        .size:           2
        .value_kind:     hidden_grid_dims
    .group_segment_fixed_size: 3088
    .kernarg_segment_align: 8
    .kernarg_segment_size: 272
    .language:       OpenCL C
    .language_version:
      - 2
      - 0
    .max_flat_workgroup_size: 192
    .name:           _Z17sort_pairs_kernelI22helper_blocked_blockedaLj192ELj3ELj10EEvPKT0_PS1_
    .private_segment_fixed_size: 0
    .sgpr_count:     38
    .sgpr_spill_count: 0
    .symbol:         _Z17sort_pairs_kernelI22helper_blocked_blockedaLj192ELj3ELj10EEvPKT0_PS1_.kd
    .uniform_work_group_size: 1
    .uses_dynamic_stack: false
    .vgpr_count:     31
    .vgpr_spill_count: 0
    .wavefront_size: 64
  - .args:
      - .address_space:  global
        .offset:         0
        .size:           8
        .value_kind:     global_buffer
      - .address_space:  global
        .offset:         8
        .size:           8
        .value_kind:     global_buffer
      - .offset:         16
        .size:           4
        .value_kind:     hidden_block_count_x
      - .offset:         20
        .size:           4
        .value_kind:     hidden_block_count_y
      - .offset:         24
        .size:           4
        .value_kind:     hidden_block_count_z
      - .offset:         28
        .size:           2
        .value_kind:     hidden_group_size_x
      - .offset:         30
        .size:           2
        .value_kind:     hidden_group_size_y
      - .offset:         32
        .size:           2
        .value_kind:     hidden_group_size_z
      - .offset:         34
        .size:           2
        .value_kind:     hidden_remainder_x
      - .offset:         36
        .size:           2
        .value_kind:     hidden_remainder_y
      - .offset:         38
        .size:           2
        .value_kind:     hidden_remainder_z
      - .offset:         56
        .size:           8
        .value_kind:     hidden_global_offset_x
      - .offset:         64
        .size:           8
        .value_kind:     hidden_global_offset_y
      - .offset:         72
        .size:           8
        .value_kind:     hidden_global_offset_z
      - .offset:         80
        .size:           2
        .value_kind:     hidden_grid_dims
    .group_segment_fixed_size: 3088
    .kernarg_segment_align: 8
    .kernarg_segment_size: 272
    .language:       OpenCL C
    .language_version:
      - 2
      - 0
    .max_flat_workgroup_size: 192
    .name:           _Z16sort_keys_kernelI22helper_blocked_blockedaLj192ELj4ELj10EEvPKT0_PS1_
    .private_segment_fixed_size: 0
    .sgpr_count:     50
    .sgpr_spill_count: 0
    .symbol:         _Z16sort_keys_kernelI22helper_blocked_blockedaLj192ELj4ELj10EEvPKT0_PS1_.kd
    .uniform_work_group_size: 1
    .uses_dynamic_stack: false
    .vgpr_count:     34
    .vgpr_spill_count: 0
    .wavefront_size: 64
  - .args:
      - .address_space:  global
        .offset:         0
        .size:           8
        .value_kind:     global_buffer
      - .address_space:  global
        .offset:         8
        .size:           8
        .value_kind:     global_buffer
      - .offset:         16
        .size:           4
        .value_kind:     hidden_block_count_x
      - .offset:         20
        .size:           4
        .value_kind:     hidden_block_count_y
      - .offset:         24
        .size:           4
        .value_kind:     hidden_block_count_z
      - .offset:         28
        .size:           2
        .value_kind:     hidden_group_size_x
      - .offset:         30
        .size:           2
        .value_kind:     hidden_group_size_y
      - .offset:         32
        .size:           2
        .value_kind:     hidden_group_size_z
      - .offset:         34
        .size:           2
        .value_kind:     hidden_remainder_x
      - .offset:         36
        .size:           2
        .value_kind:     hidden_remainder_y
      - .offset:         38
        .size:           2
        .value_kind:     hidden_remainder_z
      - .offset:         56
        .size:           8
        .value_kind:     hidden_global_offset_x
      - .offset:         64
        .size:           8
        .value_kind:     hidden_global_offset_y
      - .offset:         72
        .size:           8
        .value_kind:     hidden_global_offset_z
      - .offset:         80
        .size:           2
        .value_kind:     hidden_grid_dims
    .group_segment_fixed_size: 3088
    .kernarg_segment_align: 8
    .kernarg_segment_size: 272
    .language:       OpenCL C
    .language_version:
      - 2
      - 0
    .max_flat_workgroup_size: 192
    .name:           _Z17sort_pairs_kernelI22helper_blocked_blockedaLj192ELj4ELj10EEvPKT0_PS1_
    .private_segment_fixed_size: 0
    .sgpr_count:     52
    .sgpr_spill_count: 0
    .symbol:         _Z17sort_pairs_kernelI22helper_blocked_blockedaLj192ELj4ELj10EEvPKT0_PS1_.kd
    .uniform_work_group_size: 1
    .uses_dynamic_stack: false
    .vgpr_count:     50
    .vgpr_spill_count: 0
    .wavefront_size: 64
  - .args:
      - .address_space:  global
        .offset:         0
        .size:           8
        .value_kind:     global_buffer
      - .address_space:  global
        .offset:         8
        .size:           8
        .value_kind:     global_buffer
      - .offset:         16
        .size:           4
        .value_kind:     hidden_block_count_x
      - .offset:         20
        .size:           4
        .value_kind:     hidden_block_count_y
      - .offset:         24
        .size:           4
        .value_kind:     hidden_block_count_z
      - .offset:         28
        .size:           2
        .value_kind:     hidden_group_size_x
      - .offset:         30
        .size:           2
        .value_kind:     hidden_group_size_y
      - .offset:         32
        .size:           2
        .value_kind:     hidden_group_size_z
      - .offset:         34
        .size:           2
        .value_kind:     hidden_remainder_x
      - .offset:         36
        .size:           2
        .value_kind:     hidden_remainder_y
      - .offset:         38
        .size:           2
        .value_kind:     hidden_remainder_z
      - .offset:         56
        .size:           8
        .value_kind:     hidden_global_offset_x
      - .offset:         64
        .size:           8
        .value_kind:     hidden_global_offset_y
      - .offset:         72
        .size:           8
        .value_kind:     hidden_global_offset_z
      - .offset:         80
        .size:           2
        .value_kind:     hidden_grid_dims
    .group_segment_fixed_size: 3088
    .kernarg_segment_align: 8
    .kernarg_segment_size: 272
    .language:       OpenCL C
    .language_version:
      - 2
      - 0
    .max_flat_workgroup_size: 192
    .name:           _Z16sort_keys_kernelI22helper_blocked_blockedaLj192ELj8ELj10EEvPKT0_PS1_
    .private_segment_fixed_size: 0
    .sgpr_count:     40
    .sgpr_spill_count: 0
    .symbol:         _Z16sort_keys_kernelI22helper_blocked_blockedaLj192ELj8ELj10EEvPKT0_PS1_.kd
    .uniform_work_group_size: 1
    .uses_dynamic_stack: false
    .vgpr_count:     47
    .vgpr_spill_count: 0
    .wavefront_size: 64
  - .args:
      - .address_space:  global
        .offset:         0
        .size:           8
        .value_kind:     global_buffer
      - .address_space:  global
        .offset:         8
        .size:           8
        .value_kind:     global_buffer
      - .offset:         16
        .size:           4
        .value_kind:     hidden_block_count_x
      - .offset:         20
        .size:           4
        .value_kind:     hidden_block_count_y
      - .offset:         24
        .size:           4
        .value_kind:     hidden_block_count_z
      - .offset:         28
        .size:           2
        .value_kind:     hidden_group_size_x
      - .offset:         30
        .size:           2
        .value_kind:     hidden_group_size_y
      - .offset:         32
        .size:           2
        .value_kind:     hidden_group_size_z
      - .offset:         34
        .size:           2
        .value_kind:     hidden_remainder_x
      - .offset:         36
        .size:           2
        .value_kind:     hidden_remainder_y
      - .offset:         38
        .size:           2
        .value_kind:     hidden_remainder_z
      - .offset:         56
        .size:           8
        .value_kind:     hidden_global_offset_x
      - .offset:         64
        .size:           8
        .value_kind:     hidden_global_offset_y
      - .offset:         72
        .size:           8
        .value_kind:     hidden_global_offset_z
      - .offset:         80
        .size:           2
        .value_kind:     hidden_grid_dims
    .group_segment_fixed_size: 3088
    .kernarg_segment_align: 8
    .kernarg_segment_size: 272
    .language:       OpenCL C
    .language_version:
      - 2
      - 0
    .max_flat_workgroup_size: 192
    .name:           _Z17sort_pairs_kernelI22helper_blocked_blockedaLj192ELj8ELj10EEvPKT0_PS1_
    .private_segment_fixed_size: 0
    .sgpr_count:     40
    .sgpr_spill_count: 0
    .symbol:         _Z17sort_pairs_kernelI22helper_blocked_blockedaLj192ELj8ELj10EEvPKT0_PS1_.kd
    .uniform_work_group_size: 1
    .uses_dynamic_stack: false
    .vgpr_count:     57
    .vgpr_spill_count: 0
    .wavefront_size: 64
  - .args:
      - .address_space:  global
        .offset:         0
        .size:           8
        .value_kind:     global_buffer
      - .address_space:  global
        .offset:         8
        .size:           8
        .value_kind:     global_buffer
      - .offset:         16
        .size:           4
        .value_kind:     hidden_block_count_x
      - .offset:         20
        .size:           4
        .value_kind:     hidden_block_count_y
      - .offset:         24
        .size:           4
        .value_kind:     hidden_block_count_z
      - .offset:         28
        .size:           2
        .value_kind:     hidden_group_size_x
      - .offset:         30
        .size:           2
        .value_kind:     hidden_group_size_y
      - .offset:         32
        .size:           2
        .value_kind:     hidden_group_size_z
      - .offset:         34
        .size:           2
        .value_kind:     hidden_remainder_x
      - .offset:         36
        .size:           2
        .value_kind:     hidden_remainder_y
      - .offset:         38
        .size:           2
        .value_kind:     hidden_remainder_z
      - .offset:         56
        .size:           8
        .value_kind:     hidden_global_offset_x
      - .offset:         64
        .size:           8
        .value_kind:     hidden_global_offset_y
      - .offset:         72
        .size:           8
        .value_kind:     hidden_global_offset_z
      - .offset:         80
        .size:           2
        .value_kind:     hidden_grid_dims
    .group_segment_fixed_size: 4112
    .kernarg_segment_align: 8
    .kernarg_segment_size: 272
    .language:       OpenCL C
    .language_version:
      - 2
      - 0
    .max_flat_workgroup_size: 256
    .name:           _Z16sort_keys_kernelI22helper_blocked_blockedaLj256ELj1ELj10EEvPKT0_PS1_
    .private_segment_fixed_size: 0
    .sgpr_count:     38
    .sgpr_spill_count: 0
    .symbol:         _Z16sort_keys_kernelI22helper_blocked_blockedaLj256ELj1ELj10EEvPKT0_PS1_.kd
    .uniform_work_group_size: 1
    .uses_dynamic_stack: false
    .vgpr_count:     22
    .vgpr_spill_count: 0
    .wavefront_size: 64
  - .args:
      - .address_space:  global
        .offset:         0
        .size:           8
        .value_kind:     global_buffer
      - .address_space:  global
        .offset:         8
        .size:           8
        .value_kind:     global_buffer
      - .offset:         16
        .size:           4
        .value_kind:     hidden_block_count_x
      - .offset:         20
        .size:           4
        .value_kind:     hidden_block_count_y
      - .offset:         24
        .size:           4
        .value_kind:     hidden_block_count_z
      - .offset:         28
        .size:           2
        .value_kind:     hidden_group_size_x
      - .offset:         30
        .size:           2
        .value_kind:     hidden_group_size_y
      - .offset:         32
        .size:           2
        .value_kind:     hidden_group_size_z
      - .offset:         34
        .size:           2
        .value_kind:     hidden_remainder_x
      - .offset:         36
        .size:           2
        .value_kind:     hidden_remainder_y
      - .offset:         38
        .size:           2
        .value_kind:     hidden_remainder_z
      - .offset:         56
        .size:           8
        .value_kind:     hidden_global_offset_x
      - .offset:         64
        .size:           8
        .value_kind:     hidden_global_offset_y
      - .offset:         72
        .size:           8
        .value_kind:     hidden_global_offset_z
      - .offset:         80
        .size:           2
        .value_kind:     hidden_grid_dims
    .group_segment_fixed_size: 4112
    .kernarg_segment_align: 8
    .kernarg_segment_size: 272
    .language:       OpenCL C
    .language_version:
      - 2
      - 0
    .max_flat_workgroup_size: 256
    .name:           _Z17sort_pairs_kernelI22helper_blocked_blockedaLj256ELj1ELj10EEvPKT0_PS1_
    .private_segment_fixed_size: 0
    .sgpr_count:     38
    .sgpr_spill_count: 0
    .symbol:         _Z17sort_pairs_kernelI22helper_blocked_blockedaLj256ELj1ELj10EEvPKT0_PS1_.kd
    .uniform_work_group_size: 1
    .uses_dynamic_stack: false
    .vgpr_count:     23
    .vgpr_spill_count: 0
    .wavefront_size: 64
  - .args:
      - .address_space:  global
        .offset:         0
        .size:           8
        .value_kind:     global_buffer
      - .address_space:  global
        .offset:         8
        .size:           8
        .value_kind:     global_buffer
      - .offset:         16
        .size:           4
        .value_kind:     hidden_block_count_x
      - .offset:         20
        .size:           4
        .value_kind:     hidden_block_count_y
      - .offset:         24
        .size:           4
        .value_kind:     hidden_block_count_z
      - .offset:         28
        .size:           2
        .value_kind:     hidden_group_size_x
      - .offset:         30
        .size:           2
        .value_kind:     hidden_group_size_y
      - .offset:         32
        .size:           2
        .value_kind:     hidden_group_size_z
      - .offset:         34
        .size:           2
        .value_kind:     hidden_remainder_x
      - .offset:         36
        .size:           2
        .value_kind:     hidden_remainder_y
      - .offset:         38
        .size:           2
        .value_kind:     hidden_remainder_z
      - .offset:         56
        .size:           8
        .value_kind:     hidden_global_offset_x
      - .offset:         64
        .size:           8
        .value_kind:     hidden_global_offset_y
      - .offset:         72
        .size:           8
        .value_kind:     hidden_global_offset_z
      - .offset:         80
        .size:           2
        .value_kind:     hidden_grid_dims
    .group_segment_fixed_size: 4112
    .kernarg_segment_align: 8
    .kernarg_segment_size: 272
    .language:       OpenCL C
    .language_version:
      - 2
      - 0
    .max_flat_workgroup_size: 256
    .name:           _Z16sort_keys_kernelI22helper_blocked_blockedaLj256ELj3ELj10EEvPKT0_PS1_
    .private_segment_fixed_size: 0
    .sgpr_count:     38
    .sgpr_spill_count: 0
    .symbol:         _Z16sort_keys_kernelI22helper_blocked_blockedaLj256ELj3ELj10EEvPKT0_PS1_.kd
    .uniform_work_group_size: 1
    .uses_dynamic_stack: false
    .vgpr_count:     33
    .vgpr_spill_count: 0
    .wavefront_size: 64
  - .args:
      - .address_space:  global
        .offset:         0
        .size:           8
        .value_kind:     global_buffer
      - .address_space:  global
        .offset:         8
        .size:           8
        .value_kind:     global_buffer
      - .offset:         16
        .size:           4
        .value_kind:     hidden_block_count_x
      - .offset:         20
        .size:           4
        .value_kind:     hidden_block_count_y
      - .offset:         24
        .size:           4
        .value_kind:     hidden_block_count_z
      - .offset:         28
        .size:           2
        .value_kind:     hidden_group_size_x
      - .offset:         30
        .size:           2
        .value_kind:     hidden_group_size_y
      - .offset:         32
        .size:           2
        .value_kind:     hidden_group_size_z
      - .offset:         34
        .size:           2
        .value_kind:     hidden_remainder_x
      - .offset:         36
        .size:           2
        .value_kind:     hidden_remainder_y
      - .offset:         38
        .size:           2
        .value_kind:     hidden_remainder_z
      - .offset:         56
        .size:           8
        .value_kind:     hidden_global_offset_x
      - .offset:         64
        .size:           8
        .value_kind:     hidden_global_offset_y
      - .offset:         72
        .size:           8
        .value_kind:     hidden_global_offset_z
      - .offset:         80
        .size:           2
        .value_kind:     hidden_grid_dims
    .group_segment_fixed_size: 4112
    .kernarg_segment_align: 8
    .kernarg_segment_size: 272
    .language:       OpenCL C
    .language_version:
      - 2
      - 0
    .max_flat_workgroup_size: 256
    .name:           _Z17sort_pairs_kernelI22helper_blocked_blockedaLj256ELj3ELj10EEvPKT0_PS1_
    .private_segment_fixed_size: 0
    .sgpr_count:     39
    .sgpr_spill_count: 0
    .symbol:         _Z17sort_pairs_kernelI22helper_blocked_blockedaLj256ELj3ELj10EEvPKT0_PS1_.kd
    .uniform_work_group_size: 1
    .uses_dynamic_stack: false
    .vgpr_count:     35
    .vgpr_spill_count: 0
    .wavefront_size: 64
  - .args:
      - .address_space:  global
        .offset:         0
        .size:           8
        .value_kind:     global_buffer
      - .address_space:  global
        .offset:         8
        .size:           8
        .value_kind:     global_buffer
      - .offset:         16
        .size:           4
        .value_kind:     hidden_block_count_x
      - .offset:         20
        .size:           4
        .value_kind:     hidden_block_count_y
      - .offset:         24
        .size:           4
        .value_kind:     hidden_block_count_z
      - .offset:         28
        .size:           2
        .value_kind:     hidden_group_size_x
      - .offset:         30
        .size:           2
        .value_kind:     hidden_group_size_y
      - .offset:         32
        .size:           2
        .value_kind:     hidden_group_size_z
      - .offset:         34
        .size:           2
        .value_kind:     hidden_remainder_x
      - .offset:         36
        .size:           2
        .value_kind:     hidden_remainder_y
      - .offset:         38
        .size:           2
        .value_kind:     hidden_remainder_z
      - .offset:         56
        .size:           8
        .value_kind:     hidden_global_offset_x
      - .offset:         64
        .size:           8
        .value_kind:     hidden_global_offset_y
      - .offset:         72
        .size:           8
        .value_kind:     hidden_global_offset_z
      - .offset:         80
        .size:           2
        .value_kind:     hidden_grid_dims
    .group_segment_fixed_size: 4112
    .kernarg_segment_align: 8
    .kernarg_segment_size: 272
    .language:       OpenCL C
    .language_version:
      - 2
      - 0
    .max_flat_workgroup_size: 256
    .name:           _Z16sort_keys_kernelI22helper_blocked_blockedaLj256ELj4ELj10EEvPKT0_PS1_
    .private_segment_fixed_size: 0
    .sgpr_count:     50
    .sgpr_spill_count: 0
    .symbol:         _Z16sort_keys_kernelI22helper_blocked_blockedaLj256ELj4ELj10EEvPKT0_PS1_.kd
    .uniform_work_group_size: 1
    .uses_dynamic_stack: false
    .vgpr_count:     38
    .vgpr_spill_count: 0
    .wavefront_size: 64
  - .args:
      - .address_space:  global
        .offset:         0
        .size:           8
        .value_kind:     global_buffer
      - .address_space:  global
        .offset:         8
        .size:           8
        .value_kind:     global_buffer
      - .offset:         16
        .size:           4
        .value_kind:     hidden_block_count_x
      - .offset:         20
        .size:           4
        .value_kind:     hidden_block_count_y
      - .offset:         24
        .size:           4
        .value_kind:     hidden_block_count_z
      - .offset:         28
        .size:           2
        .value_kind:     hidden_group_size_x
      - .offset:         30
        .size:           2
        .value_kind:     hidden_group_size_y
      - .offset:         32
        .size:           2
        .value_kind:     hidden_group_size_z
      - .offset:         34
        .size:           2
        .value_kind:     hidden_remainder_x
      - .offset:         36
        .size:           2
        .value_kind:     hidden_remainder_y
      - .offset:         38
        .size:           2
        .value_kind:     hidden_remainder_z
      - .offset:         56
        .size:           8
        .value_kind:     hidden_global_offset_x
      - .offset:         64
        .size:           8
        .value_kind:     hidden_global_offset_y
      - .offset:         72
        .size:           8
        .value_kind:     hidden_global_offset_z
      - .offset:         80
        .size:           2
        .value_kind:     hidden_grid_dims
    .group_segment_fixed_size: 4112
    .kernarg_segment_align: 8
    .kernarg_segment_size: 272
    .language:       OpenCL C
    .language_version:
      - 2
      - 0
    .max_flat_workgroup_size: 256
    .name:           _Z17sort_pairs_kernelI22helper_blocked_blockedaLj256ELj4ELj10EEvPKT0_PS1_
    .private_segment_fixed_size: 0
    .sgpr_count:     53
    .sgpr_spill_count: 0
    .symbol:         _Z17sort_pairs_kernelI22helper_blocked_blockedaLj256ELj4ELj10EEvPKT0_PS1_.kd
    .uniform_work_group_size: 1
    .uses_dynamic_stack: false
    .vgpr_count:     54
    .vgpr_spill_count: 0
    .wavefront_size: 64
  - .args:
      - .address_space:  global
        .offset:         0
        .size:           8
        .value_kind:     global_buffer
      - .address_space:  global
        .offset:         8
        .size:           8
        .value_kind:     global_buffer
      - .offset:         16
        .size:           4
        .value_kind:     hidden_block_count_x
      - .offset:         20
        .size:           4
        .value_kind:     hidden_block_count_y
      - .offset:         24
        .size:           4
        .value_kind:     hidden_block_count_z
      - .offset:         28
        .size:           2
        .value_kind:     hidden_group_size_x
      - .offset:         30
        .size:           2
        .value_kind:     hidden_group_size_y
      - .offset:         32
        .size:           2
        .value_kind:     hidden_group_size_z
      - .offset:         34
        .size:           2
        .value_kind:     hidden_remainder_x
      - .offset:         36
        .size:           2
        .value_kind:     hidden_remainder_y
      - .offset:         38
        .size:           2
        .value_kind:     hidden_remainder_z
      - .offset:         56
        .size:           8
        .value_kind:     hidden_global_offset_x
      - .offset:         64
        .size:           8
        .value_kind:     hidden_global_offset_y
      - .offset:         72
        .size:           8
        .value_kind:     hidden_global_offset_z
      - .offset:         80
        .size:           2
        .value_kind:     hidden_grid_dims
    .group_segment_fixed_size: 4112
    .kernarg_segment_align: 8
    .kernarg_segment_size: 272
    .language:       OpenCL C
    .language_version:
      - 2
      - 0
    .max_flat_workgroup_size: 256
    .name:           _Z16sort_keys_kernelI22helper_blocked_blockedaLj256ELj8ELj10EEvPKT0_PS1_
    .private_segment_fixed_size: 0
    .sgpr_count:     40
    .sgpr_spill_count: 0
    .symbol:         _Z16sort_keys_kernelI22helper_blocked_blockedaLj256ELj8ELj10EEvPKT0_PS1_.kd
    .uniform_work_group_size: 1
    .uses_dynamic_stack: false
    .vgpr_count:     53
    .vgpr_spill_count: 0
    .wavefront_size: 64
  - .args:
      - .address_space:  global
        .offset:         0
        .size:           8
        .value_kind:     global_buffer
      - .address_space:  global
        .offset:         8
        .size:           8
        .value_kind:     global_buffer
      - .offset:         16
        .size:           4
        .value_kind:     hidden_block_count_x
      - .offset:         20
        .size:           4
        .value_kind:     hidden_block_count_y
      - .offset:         24
        .size:           4
        .value_kind:     hidden_block_count_z
      - .offset:         28
        .size:           2
        .value_kind:     hidden_group_size_x
      - .offset:         30
        .size:           2
        .value_kind:     hidden_group_size_y
      - .offset:         32
        .size:           2
        .value_kind:     hidden_group_size_z
      - .offset:         34
        .size:           2
        .value_kind:     hidden_remainder_x
      - .offset:         36
        .size:           2
        .value_kind:     hidden_remainder_y
      - .offset:         38
        .size:           2
        .value_kind:     hidden_remainder_z
      - .offset:         56
        .size:           8
        .value_kind:     hidden_global_offset_x
      - .offset:         64
        .size:           8
        .value_kind:     hidden_global_offset_y
      - .offset:         72
        .size:           8
        .value_kind:     hidden_global_offset_z
      - .offset:         80
        .size:           2
        .value_kind:     hidden_grid_dims
    .group_segment_fixed_size: 4112
    .kernarg_segment_align: 8
    .kernarg_segment_size: 272
    .language:       OpenCL C
    .language_version:
      - 2
      - 0
    .max_flat_workgroup_size: 256
    .name:           _Z17sort_pairs_kernelI22helper_blocked_blockedaLj256ELj8ELj10EEvPKT0_PS1_
    .private_segment_fixed_size: 0
    .sgpr_count:     41
    .sgpr_spill_count: 0
    .symbol:         _Z17sort_pairs_kernelI22helper_blocked_blockedaLj256ELj8ELj10EEvPKT0_PS1_.kd
    .uniform_work_group_size: 1
    .uses_dynamic_stack: false
    .vgpr_count:     61
    .vgpr_spill_count: 0
    .wavefront_size: 64
  - .args:
      - .address_space:  global
        .offset:         0
        .size:           8
        .value_kind:     global_buffer
      - .address_space:  global
        .offset:         8
        .size:           8
        .value_kind:     global_buffer
      - .offset:         16
        .size:           4
        .value_kind:     hidden_block_count_x
      - .offset:         20
        .size:           4
        .value_kind:     hidden_block_count_y
      - .offset:         24
        .size:           4
        .value_kind:     hidden_block_count_z
      - .offset:         28
        .size:           2
        .value_kind:     hidden_group_size_x
      - .offset:         30
        .size:           2
        .value_kind:     hidden_group_size_y
      - .offset:         32
        .size:           2
        .value_kind:     hidden_group_size_z
      - .offset:         34
        .size:           2
        .value_kind:     hidden_remainder_x
      - .offset:         36
        .size:           2
        .value_kind:     hidden_remainder_y
      - .offset:         38
        .size:           2
        .value_kind:     hidden_remainder_z
      - .offset:         56
        .size:           8
        .value_kind:     hidden_global_offset_x
      - .offset:         64
        .size:           8
        .value_kind:     hidden_global_offset_y
      - .offset:         72
        .size:           8
        .value_kind:     hidden_global_offset_z
      - .offset:         80
        .size:           2
        .value_kind:     hidden_grid_dims
    .group_segment_fixed_size: 5152
    .kernarg_segment_align: 8
    .kernarg_segment_size: 272
    .language:       OpenCL C
    .language_version:
      - 2
      - 0
    .max_flat_workgroup_size: 320
    .name:           _Z16sort_keys_kernelI22helper_blocked_blockedaLj320ELj1ELj10EEvPKT0_PS1_
    .private_segment_fixed_size: 0
    .sgpr_count:     39
    .sgpr_spill_count: 0
    .symbol:         _Z16sort_keys_kernelI22helper_blocked_blockedaLj320ELj1ELj10EEvPKT0_PS1_.kd
    .uniform_work_group_size: 1
    .uses_dynamic_stack: false
    .vgpr_count:     18
    .vgpr_spill_count: 0
    .wavefront_size: 64
  - .args:
      - .address_space:  global
        .offset:         0
        .size:           8
        .value_kind:     global_buffer
      - .address_space:  global
        .offset:         8
        .size:           8
        .value_kind:     global_buffer
      - .offset:         16
        .size:           4
        .value_kind:     hidden_block_count_x
      - .offset:         20
        .size:           4
        .value_kind:     hidden_block_count_y
      - .offset:         24
        .size:           4
        .value_kind:     hidden_block_count_z
      - .offset:         28
        .size:           2
        .value_kind:     hidden_group_size_x
      - .offset:         30
        .size:           2
        .value_kind:     hidden_group_size_y
      - .offset:         32
        .size:           2
        .value_kind:     hidden_group_size_z
      - .offset:         34
        .size:           2
        .value_kind:     hidden_remainder_x
      - .offset:         36
        .size:           2
        .value_kind:     hidden_remainder_y
      - .offset:         38
        .size:           2
        .value_kind:     hidden_remainder_z
      - .offset:         56
        .size:           8
        .value_kind:     hidden_global_offset_x
      - .offset:         64
        .size:           8
        .value_kind:     hidden_global_offset_y
      - .offset:         72
        .size:           8
        .value_kind:     hidden_global_offset_z
      - .offset:         80
        .size:           2
        .value_kind:     hidden_grid_dims
    .group_segment_fixed_size: 5152
    .kernarg_segment_align: 8
    .kernarg_segment_size: 272
    .language:       OpenCL C
    .language_version:
      - 2
      - 0
    .max_flat_workgroup_size: 320
    .name:           _Z17sort_pairs_kernelI22helper_blocked_blockedaLj320ELj1ELj10EEvPKT0_PS1_
    .private_segment_fixed_size: 0
    .sgpr_count:     39
    .sgpr_spill_count: 0
    .symbol:         _Z17sort_pairs_kernelI22helper_blocked_blockedaLj320ELj1ELj10EEvPKT0_PS1_.kd
    .uniform_work_group_size: 1
    .uses_dynamic_stack: false
    .vgpr_count:     19
    .vgpr_spill_count: 0
    .wavefront_size: 64
  - .args:
      - .address_space:  global
        .offset:         0
        .size:           8
        .value_kind:     global_buffer
      - .address_space:  global
        .offset:         8
        .size:           8
        .value_kind:     global_buffer
      - .offset:         16
        .size:           4
        .value_kind:     hidden_block_count_x
      - .offset:         20
        .size:           4
        .value_kind:     hidden_block_count_y
      - .offset:         24
        .size:           4
        .value_kind:     hidden_block_count_z
      - .offset:         28
        .size:           2
        .value_kind:     hidden_group_size_x
      - .offset:         30
        .size:           2
        .value_kind:     hidden_group_size_y
      - .offset:         32
        .size:           2
        .value_kind:     hidden_group_size_z
      - .offset:         34
        .size:           2
        .value_kind:     hidden_remainder_x
      - .offset:         36
        .size:           2
        .value_kind:     hidden_remainder_y
      - .offset:         38
        .size:           2
        .value_kind:     hidden_remainder_z
      - .offset:         56
        .size:           8
        .value_kind:     hidden_global_offset_x
      - .offset:         64
        .size:           8
        .value_kind:     hidden_global_offset_y
      - .offset:         72
        .size:           8
        .value_kind:     hidden_global_offset_z
      - .offset:         80
        .size:           2
        .value_kind:     hidden_grid_dims
    .group_segment_fixed_size: 5152
    .kernarg_segment_align: 8
    .kernarg_segment_size: 272
    .language:       OpenCL C
    .language_version:
      - 2
      - 0
    .max_flat_workgroup_size: 320
    .name:           _Z16sort_keys_kernelI22helper_blocked_blockedaLj320ELj3ELj10EEvPKT0_PS1_
    .private_segment_fixed_size: 0
    .sgpr_count:     39
    .sgpr_spill_count: 0
    .symbol:         _Z16sort_keys_kernelI22helper_blocked_blockedaLj320ELj3ELj10EEvPKT0_PS1_.kd
    .uniform_work_group_size: 1
    .uses_dynamic_stack: false
    .vgpr_count:     27
    .vgpr_spill_count: 0
    .wavefront_size: 64
  - .args:
      - .address_space:  global
        .offset:         0
        .size:           8
        .value_kind:     global_buffer
      - .address_space:  global
        .offset:         8
        .size:           8
        .value_kind:     global_buffer
      - .offset:         16
        .size:           4
        .value_kind:     hidden_block_count_x
      - .offset:         20
        .size:           4
        .value_kind:     hidden_block_count_y
      - .offset:         24
        .size:           4
        .value_kind:     hidden_block_count_z
      - .offset:         28
        .size:           2
        .value_kind:     hidden_group_size_x
      - .offset:         30
        .size:           2
        .value_kind:     hidden_group_size_y
      - .offset:         32
        .size:           2
        .value_kind:     hidden_group_size_z
      - .offset:         34
        .size:           2
        .value_kind:     hidden_remainder_x
      - .offset:         36
        .size:           2
        .value_kind:     hidden_remainder_y
      - .offset:         38
        .size:           2
        .value_kind:     hidden_remainder_z
      - .offset:         56
        .size:           8
        .value_kind:     hidden_global_offset_x
      - .offset:         64
        .size:           8
        .value_kind:     hidden_global_offset_y
      - .offset:         72
        .size:           8
        .value_kind:     hidden_global_offset_z
      - .offset:         80
        .size:           2
        .value_kind:     hidden_grid_dims
    .group_segment_fixed_size: 5152
    .kernarg_segment_align: 8
    .kernarg_segment_size: 272
    .language:       OpenCL C
    .language_version:
      - 2
      - 0
    .max_flat_workgroup_size: 320
    .name:           _Z17sort_pairs_kernelI22helper_blocked_blockedaLj320ELj3ELj10EEvPKT0_PS1_
    .private_segment_fixed_size: 0
    .sgpr_count:     40
    .sgpr_spill_count: 0
    .symbol:         _Z17sort_pairs_kernelI22helper_blocked_blockedaLj320ELj3ELj10EEvPKT0_PS1_.kd
    .uniform_work_group_size: 1
    .uses_dynamic_stack: false
    .vgpr_count:     31
    .vgpr_spill_count: 0
    .wavefront_size: 64
  - .args:
      - .address_space:  global
        .offset:         0
        .size:           8
        .value_kind:     global_buffer
      - .address_space:  global
        .offset:         8
        .size:           8
        .value_kind:     global_buffer
      - .offset:         16
        .size:           4
        .value_kind:     hidden_block_count_x
      - .offset:         20
        .size:           4
        .value_kind:     hidden_block_count_y
      - .offset:         24
        .size:           4
        .value_kind:     hidden_block_count_z
      - .offset:         28
        .size:           2
        .value_kind:     hidden_group_size_x
      - .offset:         30
        .size:           2
        .value_kind:     hidden_group_size_y
      - .offset:         32
        .size:           2
        .value_kind:     hidden_group_size_z
      - .offset:         34
        .size:           2
        .value_kind:     hidden_remainder_x
      - .offset:         36
        .size:           2
        .value_kind:     hidden_remainder_y
      - .offset:         38
        .size:           2
        .value_kind:     hidden_remainder_z
      - .offset:         56
        .size:           8
        .value_kind:     hidden_global_offset_x
      - .offset:         64
        .size:           8
        .value_kind:     hidden_global_offset_y
      - .offset:         72
        .size:           8
        .value_kind:     hidden_global_offset_z
      - .offset:         80
        .size:           2
        .value_kind:     hidden_grid_dims
    .group_segment_fixed_size: 5152
    .kernarg_segment_align: 8
    .kernarg_segment_size: 272
    .language:       OpenCL C
    .language_version:
      - 2
      - 0
    .max_flat_workgroup_size: 320
    .name:           _Z16sort_keys_kernelI22helper_blocked_blockedaLj320ELj4ELj10EEvPKT0_PS1_
    .private_segment_fixed_size: 0
    .sgpr_count:     54
    .sgpr_spill_count: 0
    .symbol:         _Z16sort_keys_kernelI22helper_blocked_blockedaLj320ELj4ELj10EEvPKT0_PS1_.kd
    .uniform_work_group_size: 1
    .uses_dynamic_stack: false
    .vgpr_count:     34
    .vgpr_spill_count: 0
    .wavefront_size: 64
  - .args:
      - .address_space:  global
        .offset:         0
        .size:           8
        .value_kind:     global_buffer
      - .address_space:  global
        .offset:         8
        .size:           8
        .value_kind:     global_buffer
      - .offset:         16
        .size:           4
        .value_kind:     hidden_block_count_x
      - .offset:         20
        .size:           4
        .value_kind:     hidden_block_count_y
      - .offset:         24
        .size:           4
        .value_kind:     hidden_block_count_z
      - .offset:         28
        .size:           2
        .value_kind:     hidden_group_size_x
      - .offset:         30
        .size:           2
        .value_kind:     hidden_group_size_y
      - .offset:         32
        .size:           2
        .value_kind:     hidden_group_size_z
      - .offset:         34
        .size:           2
        .value_kind:     hidden_remainder_x
      - .offset:         36
        .size:           2
        .value_kind:     hidden_remainder_y
      - .offset:         38
        .size:           2
        .value_kind:     hidden_remainder_z
      - .offset:         56
        .size:           8
        .value_kind:     hidden_global_offset_x
      - .offset:         64
        .size:           8
        .value_kind:     hidden_global_offset_y
      - .offset:         72
        .size:           8
        .value_kind:     hidden_global_offset_z
      - .offset:         80
        .size:           2
        .value_kind:     hidden_grid_dims
    .group_segment_fixed_size: 5152
    .kernarg_segment_align: 8
    .kernarg_segment_size: 272
    .language:       OpenCL C
    .language_version:
      - 2
      - 0
    .max_flat_workgroup_size: 320
    .name:           _Z17sort_pairs_kernelI22helper_blocked_blockedaLj320ELj4ELj10EEvPKT0_PS1_
    .private_segment_fixed_size: 0
    .sgpr_count:     56
    .sgpr_spill_count: 0
    .symbol:         _Z17sort_pairs_kernelI22helper_blocked_blockedaLj320ELj4ELj10EEvPKT0_PS1_.kd
    .uniform_work_group_size: 1
    .uses_dynamic_stack: false
    .vgpr_count:     50
    .vgpr_spill_count: 0
    .wavefront_size: 64
  - .args:
      - .address_space:  global
        .offset:         0
        .size:           8
        .value_kind:     global_buffer
      - .address_space:  global
        .offset:         8
        .size:           8
        .value_kind:     global_buffer
      - .offset:         16
        .size:           4
        .value_kind:     hidden_block_count_x
      - .offset:         20
        .size:           4
        .value_kind:     hidden_block_count_y
      - .offset:         24
        .size:           4
        .value_kind:     hidden_block_count_z
      - .offset:         28
        .size:           2
        .value_kind:     hidden_group_size_x
      - .offset:         30
        .size:           2
        .value_kind:     hidden_group_size_y
      - .offset:         32
        .size:           2
        .value_kind:     hidden_group_size_z
      - .offset:         34
        .size:           2
        .value_kind:     hidden_remainder_x
      - .offset:         36
        .size:           2
        .value_kind:     hidden_remainder_y
      - .offset:         38
        .size:           2
        .value_kind:     hidden_remainder_z
      - .offset:         56
        .size:           8
        .value_kind:     hidden_global_offset_x
      - .offset:         64
        .size:           8
        .value_kind:     hidden_global_offset_y
      - .offset:         72
        .size:           8
        .value_kind:     hidden_global_offset_z
      - .offset:         80
        .size:           2
        .value_kind:     hidden_grid_dims
    .group_segment_fixed_size: 5152
    .kernarg_segment_align: 8
    .kernarg_segment_size: 272
    .language:       OpenCL C
    .language_version:
      - 2
      - 0
    .max_flat_workgroup_size: 320
    .name:           _Z16sort_keys_kernelI22helper_blocked_blockedaLj320ELj8ELj10EEvPKT0_PS1_
    .private_segment_fixed_size: 0
    .sgpr_count:     42
    .sgpr_spill_count: 0
    .symbol:         _Z16sort_keys_kernelI22helper_blocked_blockedaLj320ELj8ELj10EEvPKT0_PS1_.kd
    .uniform_work_group_size: 1
    .uses_dynamic_stack: false
    .vgpr_count:     47
    .vgpr_spill_count: 0
    .wavefront_size: 64
  - .args:
      - .address_space:  global
        .offset:         0
        .size:           8
        .value_kind:     global_buffer
      - .address_space:  global
        .offset:         8
        .size:           8
        .value_kind:     global_buffer
      - .offset:         16
        .size:           4
        .value_kind:     hidden_block_count_x
      - .offset:         20
        .size:           4
        .value_kind:     hidden_block_count_y
      - .offset:         24
        .size:           4
        .value_kind:     hidden_block_count_z
      - .offset:         28
        .size:           2
        .value_kind:     hidden_group_size_x
      - .offset:         30
        .size:           2
        .value_kind:     hidden_group_size_y
      - .offset:         32
        .size:           2
        .value_kind:     hidden_group_size_z
      - .offset:         34
        .size:           2
        .value_kind:     hidden_remainder_x
      - .offset:         36
        .size:           2
        .value_kind:     hidden_remainder_y
      - .offset:         38
        .size:           2
        .value_kind:     hidden_remainder_z
      - .offset:         56
        .size:           8
        .value_kind:     hidden_global_offset_x
      - .offset:         64
        .size:           8
        .value_kind:     hidden_global_offset_y
      - .offset:         72
        .size:           8
        .value_kind:     hidden_global_offset_z
      - .offset:         80
        .size:           2
        .value_kind:     hidden_grid_dims
    .group_segment_fixed_size: 5152
    .kernarg_segment_align: 8
    .kernarg_segment_size: 272
    .language:       OpenCL C
    .language_version:
      - 2
      - 0
    .max_flat_workgroup_size: 320
    .name:           _Z17sort_pairs_kernelI22helper_blocked_blockedaLj320ELj8ELj10EEvPKT0_PS1_
    .private_segment_fixed_size: 0
    .sgpr_count:     42
    .sgpr_spill_count: 0
    .symbol:         _Z17sort_pairs_kernelI22helper_blocked_blockedaLj320ELj8ELj10EEvPKT0_PS1_.kd
    .uniform_work_group_size: 1
    .uses_dynamic_stack: false
    .vgpr_count:     57
    .vgpr_spill_count: 0
    .wavefront_size: 64
  - .args:
      - .address_space:  global
        .offset:         0
        .size:           8
        .value_kind:     global_buffer
      - .address_space:  global
        .offset:         8
        .size:           8
        .value_kind:     global_buffer
      - .offset:         16
        .size:           4
        .value_kind:     hidden_block_count_x
      - .offset:         20
        .size:           4
        .value_kind:     hidden_block_count_y
      - .offset:         24
        .size:           4
        .value_kind:     hidden_block_count_z
      - .offset:         28
        .size:           2
        .value_kind:     hidden_group_size_x
      - .offset:         30
        .size:           2
        .value_kind:     hidden_group_size_y
      - .offset:         32
        .size:           2
        .value_kind:     hidden_group_size_z
      - .offset:         34
        .size:           2
        .value_kind:     hidden_remainder_x
      - .offset:         36
        .size:           2
        .value_kind:     hidden_remainder_y
      - .offset:         38
        .size:           2
        .value_kind:     hidden_remainder_z
      - .offset:         56
        .size:           8
        .value_kind:     hidden_global_offset_x
      - .offset:         64
        .size:           8
        .value_kind:     hidden_global_offset_y
      - .offset:         72
        .size:           8
        .value_kind:     hidden_global_offset_z
      - .offset:         80
        .size:           2
        .value_kind:     hidden_grid_dims
    .group_segment_fixed_size: 8224
    .kernarg_segment_align: 8
    .kernarg_segment_size: 272
    .language:       OpenCL C
    .language_version:
      - 2
      - 0
    .max_flat_workgroup_size: 512
    .name:           _Z16sort_keys_kernelI22helper_blocked_blockedaLj512ELj1ELj10EEvPKT0_PS1_
    .private_segment_fixed_size: 0
    .sgpr_count:     39
    .sgpr_spill_count: 0
    .symbol:         _Z16sort_keys_kernelI22helper_blocked_blockedaLj512ELj1ELj10EEvPKT0_PS1_.kd
    .uniform_work_group_size: 1
    .uses_dynamic_stack: false
    .vgpr_count:     22
    .vgpr_spill_count: 0
    .wavefront_size: 64
  - .args:
      - .address_space:  global
        .offset:         0
        .size:           8
        .value_kind:     global_buffer
      - .address_space:  global
        .offset:         8
        .size:           8
        .value_kind:     global_buffer
      - .offset:         16
        .size:           4
        .value_kind:     hidden_block_count_x
      - .offset:         20
        .size:           4
        .value_kind:     hidden_block_count_y
      - .offset:         24
        .size:           4
        .value_kind:     hidden_block_count_z
      - .offset:         28
        .size:           2
        .value_kind:     hidden_group_size_x
      - .offset:         30
        .size:           2
        .value_kind:     hidden_group_size_y
      - .offset:         32
        .size:           2
        .value_kind:     hidden_group_size_z
      - .offset:         34
        .size:           2
        .value_kind:     hidden_remainder_x
      - .offset:         36
        .size:           2
        .value_kind:     hidden_remainder_y
      - .offset:         38
        .size:           2
        .value_kind:     hidden_remainder_z
      - .offset:         56
        .size:           8
        .value_kind:     hidden_global_offset_x
      - .offset:         64
        .size:           8
        .value_kind:     hidden_global_offset_y
      - .offset:         72
        .size:           8
        .value_kind:     hidden_global_offset_z
      - .offset:         80
        .size:           2
        .value_kind:     hidden_grid_dims
    .group_segment_fixed_size: 8224
    .kernarg_segment_align: 8
    .kernarg_segment_size: 272
    .language:       OpenCL C
    .language_version:
      - 2
      - 0
    .max_flat_workgroup_size: 512
    .name:           _Z17sort_pairs_kernelI22helper_blocked_blockedaLj512ELj1ELj10EEvPKT0_PS1_
    .private_segment_fixed_size: 0
    .sgpr_count:     39
    .sgpr_spill_count: 0
    .symbol:         _Z17sort_pairs_kernelI22helper_blocked_blockedaLj512ELj1ELj10EEvPKT0_PS1_.kd
    .uniform_work_group_size: 1
    .uses_dynamic_stack: false
    .vgpr_count:     23
    .vgpr_spill_count: 0
    .wavefront_size: 64
  - .args:
      - .address_space:  global
        .offset:         0
        .size:           8
        .value_kind:     global_buffer
      - .address_space:  global
        .offset:         8
        .size:           8
        .value_kind:     global_buffer
      - .offset:         16
        .size:           4
        .value_kind:     hidden_block_count_x
      - .offset:         20
        .size:           4
        .value_kind:     hidden_block_count_y
      - .offset:         24
        .size:           4
        .value_kind:     hidden_block_count_z
      - .offset:         28
        .size:           2
        .value_kind:     hidden_group_size_x
      - .offset:         30
        .size:           2
        .value_kind:     hidden_group_size_y
      - .offset:         32
        .size:           2
        .value_kind:     hidden_group_size_z
      - .offset:         34
        .size:           2
        .value_kind:     hidden_remainder_x
      - .offset:         36
        .size:           2
        .value_kind:     hidden_remainder_y
      - .offset:         38
        .size:           2
        .value_kind:     hidden_remainder_z
      - .offset:         56
        .size:           8
        .value_kind:     hidden_global_offset_x
      - .offset:         64
        .size:           8
        .value_kind:     hidden_global_offset_y
      - .offset:         72
        .size:           8
        .value_kind:     hidden_global_offset_z
      - .offset:         80
        .size:           2
        .value_kind:     hidden_grid_dims
    .group_segment_fixed_size: 8224
    .kernarg_segment_align: 8
    .kernarg_segment_size: 272
    .language:       OpenCL C
    .language_version:
      - 2
      - 0
    .max_flat_workgroup_size: 512
    .name:           _Z16sort_keys_kernelI22helper_blocked_blockedaLj512ELj3ELj10EEvPKT0_PS1_
    .private_segment_fixed_size: 0
    .sgpr_count:     39
    .sgpr_spill_count: 0
    .symbol:         _Z16sort_keys_kernelI22helper_blocked_blockedaLj512ELj3ELj10EEvPKT0_PS1_.kd
    .uniform_work_group_size: 1
    .uses_dynamic_stack: false
    .vgpr_count:     33
    .vgpr_spill_count: 0
    .wavefront_size: 64
  - .args:
      - .address_space:  global
        .offset:         0
        .size:           8
        .value_kind:     global_buffer
      - .address_space:  global
        .offset:         8
        .size:           8
        .value_kind:     global_buffer
      - .offset:         16
        .size:           4
        .value_kind:     hidden_block_count_x
      - .offset:         20
        .size:           4
        .value_kind:     hidden_block_count_y
      - .offset:         24
        .size:           4
        .value_kind:     hidden_block_count_z
      - .offset:         28
        .size:           2
        .value_kind:     hidden_group_size_x
      - .offset:         30
        .size:           2
        .value_kind:     hidden_group_size_y
      - .offset:         32
        .size:           2
        .value_kind:     hidden_group_size_z
      - .offset:         34
        .size:           2
        .value_kind:     hidden_remainder_x
      - .offset:         36
        .size:           2
        .value_kind:     hidden_remainder_y
      - .offset:         38
        .size:           2
        .value_kind:     hidden_remainder_z
      - .offset:         56
        .size:           8
        .value_kind:     hidden_global_offset_x
      - .offset:         64
        .size:           8
        .value_kind:     hidden_global_offset_y
      - .offset:         72
        .size:           8
        .value_kind:     hidden_global_offset_z
      - .offset:         80
        .size:           2
        .value_kind:     hidden_grid_dims
    .group_segment_fixed_size: 8224
    .kernarg_segment_align: 8
    .kernarg_segment_size: 272
    .language:       OpenCL C
    .language_version:
      - 2
      - 0
    .max_flat_workgroup_size: 512
    .name:           _Z17sort_pairs_kernelI22helper_blocked_blockedaLj512ELj3ELj10EEvPKT0_PS1_
    .private_segment_fixed_size: 0
    .sgpr_count:     41
    .sgpr_spill_count: 0
    .symbol:         _Z17sort_pairs_kernelI22helper_blocked_blockedaLj512ELj3ELj10EEvPKT0_PS1_.kd
    .uniform_work_group_size: 1
    .uses_dynamic_stack: false
    .vgpr_count:     35
    .vgpr_spill_count: 0
    .wavefront_size: 64
  - .args:
      - .address_space:  global
        .offset:         0
        .size:           8
        .value_kind:     global_buffer
      - .address_space:  global
        .offset:         8
        .size:           8
        .value_kind:     global_buffer
      - .offset:         16
        .size:           4
        .value_kind:     hidden_block_count_x
      - .offset:         20
        .size:           4
        .value_kind:     hidden_block_count_y
      - .offset:         24
        .size:           4
        .value_kind:     hidden_block_count_z
      - .offset:         28
        .size:           2
        .value_kind:     hidden_group_size_x
      - .offset:         30
        .size:           2
        .value_kind:     hidden_group_size_y
      - .offset:         32
        .size:           2
        .value_kind:     hidden_group_size_z
      - .offset:         34
        .size:           2
        .value_kind:     hidden_remainder_x
      - .offset:         36
        .size:           2
        .value_kind:     hidden_remainder_y
      - .offset:         38
        .size:           2
        .value_kind:     hidden_remainder_z
      - .offset:         56
        .size:           8
        .value_kind:     hidden_global_offset_x
      - .offset:         64
        .size:           8
        .value_kind:     hidden_global_offset_y
      - .offset:         72
        .size:           8
        .value_kind:     hidden_global_offset_z
      - .offset:         80
        .size:           2
        .value_kind:     hidden_grid_dims
    .group_segment_fixed_size: 8224
    .kernarg_segment_align: 8
    .kernarg_segment_size: 272
    .language:       OpenCL C
    .language_version:
      - 2
      - 0
    .max_flat_workgroup_size: 512
    .name:           _Z16sort_keys_kernelI22helper_blocked_blockedaLj512ELj4ELj10EEvPKT0_PS1_
    .private_segment_fixed_size: 0
    .sgpr_count:     54
    .sgpr_spill_count: 0
    .symbol:         _Z16sort_keys_kernelI22helper_blocked_blockedaLj512ELj4ELj10EEvPKT0_PS1_.kd
    .uniform_work_group_size: 1
    .uses_dynamic_stack: false
    .vgpr_count:     38
    .vgpr_spill_count: 0
    .wavefront_size: 64
  - .args:
      - .address_space:  global
        .offset:         0
        .size:           8
        .value_kind:     global_buffer
      - .address_space:  global
        .offset:         8
        .size:           8
        .value_kind:     global_buffer
      - .offset:         16
        .size:           4
        .value_kind:     hidden_block_count_x
      - .offset:         20
        .size:           4
        .value_kind:     hidden_block_count_y
      - .offset:         24
        .size:           4
        .value_kind:     hidden_block_count_z
      - .offset:         28
        .size:           2
        .value_kind:     hidden_group_size_x
      - .offset:         30
        .size:           2
        .value_kind:     hidden_group_size_y
      - .offset:         32
        .size:           2
        .value_kind:     hidden_group_size_z
      - .offset:         34
        .size:           2
        .value_kind:     hidden_remainder_x
      - .offset:         36
        .size:           2
        .value_kind:     hidden_remainder_y
      - .offset:         38
        .size:           2
        .value_kind:     hidden_remainder_z
      - .offset:         56
        .size:           8
        .value_kind:     hidden_global_offset_x
      - .offset:         64
        .size:           8
        .value_kind:     hidden_global_offset_y
      - .offset:         72
        .size:           8
        .value_kind:     hidden_global_offset_z
      - .offset:         80
        .size:           2
        .value_kind:     hidden_grid_dims
    .group_segment_fixed_size: 8224
    .kernarg_segment_align: 8
    .kernarg_segment_size: 272
    .language:       OpenCL C
    .language_version:
      - 2
      - 0
    .max_flat_workgroup_size: 512
    .name:           _Z17sort_pairs_kernelI22helper_blocked_blockedaLj512ELj4ELj10EEvPKT0_PS1_
    .private_segment_fixed_size: 0
    .sgpr_count:     57
    .sgpr_spill_count: 0
    .symbol:         _Z17sort_pairs_kernelI22helper_blocked_blockedaLj512ELj4ELj10EEvPKT0_PS1_.kd
    .uniform_work_group_size: 1
    .uses_dynamic_stack: false
    .vgpr_count:     54
    .vgpr_spill_count: 0
    .wavefront_size: 64
  - .args:
      - .address_space:  global
        .offset:         0
        .size:           8
        .value_kind:     global_buffer
      - .address_space:  global
        .offset:         8
        .size:           8
        .value_kind:     global_buffer
      - .offset:         16
        .size:           4
        .value_kind:     hidden_block_count_x
      - .offset:         20
        .size:           4
        .value_kind:     hidden_block_count_y
      - .offset:         24
        .size:           4
        .value_kind:     hidden_block_count_z
      - .offset:         28
        .size:           2
        .value_kind:     hidden_group_size_x
      - .offset:         30
        .size:           2
        .value_kind:     hidden_group_size_y
      - .offset:         32
        .size:           2
        .value_kind:     hidden_group_size_z
      - .offset:         34
        .size:           2
        .value_kind:     hidden_remainder_x
      - .offset:         36
        .size:           2
        .value_kind:     hidden_remainder_y
      - .offset:         38
        .size:           2
        .value_kind:     hidden_remainder_z
      - .offset:         56
        .size:           8
        .value_kind:     hidden_global_offset_x
      - .offset:         64
        .size:           8
        .value_kind:     hidden_global_offset_y
      - .offset:         72
        .size:           8
        .value_kind:     hidden_global_offset_z
      - .offset:         80
        .size:           2
        .value_kind:     hidden_grid_dims
    .group_segment_fixed_size: 8224
    .kernarg_segment_align: 8
    .kernarg_segment_size: 272
    .language:       OpenCL C
    .language_version:
      - 2
      - 0
    .max_flat_workgroup_size: 512
    .name:           _Z16sort_keys_kernelI22helper_blocked_blockedaLj512ELj8ELj10EEvPKT0_PS1_
    .private_segment_fixed_size: 0
    .sgpr_count:     43
    .sgpr_spill_count: 0
    .symbol:         _Z16sort_keys_kernelI22helper_blocked_blockedaLj512ELj8ELj10EEvPKT0_PS1_.kd
    .uniform_work_group_size: 1
    .uses_dynamic_stack: false
    .vgpr_count:     53
    .vgpr_spill_count: 0
    .wavefront_size: 64
  - .args:
      - .address_space:  global
        .offset:         0
        .size:           8
        .value_kind:     global_buffer
      - .address_space:  global
        .offset:         8
        .size:           8
        .value_kind:     global_buffer
      - .offset:         16
        .size:           4
        .value_kind:     hidden_block_count_x
      - .offset:         20
        .size:           4
        .value_kind:     hidden_block_count_y
      - .offset:         24
        .size:           4
        .value_kind:     hidden_block_count_z
      - .offset:         28
        .size:           2
        .value_kind:     hidden_group_size_x
      - .offset:         30
        .size:           2
        .value_kind:     hidden_group_size_y
      - .offset:         32
        .size:           2
        .value_kind:     hidden_group_size_z
      - .offset:         34
        .size:           2
        .value_kind:     hidden_remainder_x
      - .offset:         36
        .size:           2
        .value_kind:     hidden_remainder_y
      - .offset:         38
        .size:           2
        .value_kind:     hidden_remainder_z
      - .offset:         56
        .size:           8
        .value_kind:     hidden_global_offset_x
      - .offset:         64
        .size:           8
        .value_kind:     hidden_global_offset_y
      - .offset:         72
        .size:           8
        .value_kind:     hidden_global_offset_z
      - .offset:         80
        .size:           2
        .value_kind:     hidden_grid_dims
    .group_segment_fixed_size: 8224
    .kernarg_segment_align: 8
    .kernarg_segment_size: 272
    .language:       OpenCL C
    .language_version:
      - 2
      - 0
    .max_flat_workgroup_size: 512
    .name:           _Z17sort_pairs_kernelI22helper_blocked_blockedaLj512ELj8ELj10EEvPKT0_PS1_
    .private_segment_fixed_size: 0
    .sgpr_count:     42
    .sgpr_spill_count: 0
    .symbol:         _Z17sort_pairs_kernelI22helper_blocked_blockedaLj512ELj8ELj10EEvPKT0_PS1_.kd
    .uniform_work_group_size: 1
    .uses_dynamic_stack: false
    .vgpr_count:     61
    .vgpr_spill_count: 0
    .wavefront_size: 64
  - .args:
      - .address_space:  global
        .offset:         0
        .size:           8
        .value_kind:     global_buffer
      - .address_space:  global
        .offset:         8
        .size:           8
        .value_kind:     global_buffer
      - .offset:         16
        .size:           4
        .value_kind:     hidden_block_count_x
      - .offset:         20
        .size:           4
        .value_kind:     hidden_block_count_y
      - .offset:         24
        .size:           4
        .value_kind:     hidden_block_count_z
      - .offset:         28
        .size:           2
        .value_kind:     hidden_group_size_x
      - .offset:         30
        .size:           2
        .value_kind:     hidden_group_size_y
      - .offset:         32
        .size:           2
        .value_kind:     hidden_group_size_z
      - .offset:         34
        .size:           2
        .value_kind:     hidden_remainder_x
      - .offset:         36
        .size:           2
        .value_kind:     hidden_remainder_y
      - .offset:         38
        .size:           2
        .value_kind:     hidden_remainder_z
      - .offset:         56
        .size:           8
        .value_kind:     hidden_global_offset_x
      - .offset:         64
        .size:           8
        .value_kind:     hidden_global_offset_y
      - .offset:         72
        .size:           8
        .value_kind:     hidden_global_offset_z
      - .offset:         80
        .size:           2
        .value_kind:     hidden_grid_dims
    .group_segment_fixed_size: 1040
    .kernarg_segment_align: 8
    .kernarg_segment_size: 272
    .language:       OpenCL C
    .language_version:
      - 2
      - 0
    .max_flat_workgroup_size: 64
    .name:           _Z16sort_keys_kernelI22helper_blocked_blockedxLj64ELj1ELj10EEvPKT0_PS1_
    .private_segment_fixed_size: 0
    .sgpr_count:     30
    .sgpr_spill_count: 0
    .symbol:         _Z16sort_keys_kernelI22helper_blocked_blockedxLj64ELj1ELj10EEvPKT0_PS1_.kd
    .uniform_work_group_size: 1
    .uses_dynamic_stack: false
    .vgpr_count:     18
    .vgpr_spill_count: 0
    .wavefront_size: 64
  - .args:
      - .address_space:  global
        .offset:         0
        .size:           8
        .value_kind:     global_buffer
      - .address_space:  global
        .offset:         8
        .size:           8
        .value_kind:     global_buffer
      - .offset:         16
        .size:           4
        .value_kind:     hidden_block_count_x
      - .offset:         20
        .size:           4
        .value_kind:     hidden_block_count_y
      - .offset:         24
        .size:           4
        .value_kind:     hidden_block_count_z
      - .offset:         28
        .size:           2
        .value_kind:     hidden_group_size_x
      - .offset:         30
        .size:           2
        .value_kind:     hidden_group_size_y
      - .offset:         32
        .size:           2
        .value_kind:     hidden_group_size_z
      - .offset:         34
        .size:           2
        .value_kind:     hidden_remainder_x
      - .offset:         36
        .size:           2
        .value_kind:     hidden_remainder_y
      - .offset:         38
        .size:           2
        .value_kind:     hidden_remainder_z
      - .offset:         56
        .size:           8
        .value_kind:     hidden_global_offset_x
      - .offset:         64
        .size:           8
        .value_kind:     hidden_global_offset_y
      - .offset:         72
        .size:           8
        .value_kind:     hidden_global_offset_z
      - .offset:         80
        .size:           2
        .value_kind:     hidden_grid_dims
    .group_segment_fixed_size: 1040
    .kernarg_segment_align: 8
    .kernarg_segment_size: 272
    .language:       OpenCL C
    .language_version:
      - 2
      - 0
    .max_flat_workgroup_size: 64
    .name:           _Z17sort_pairs_kernelI22helper_blocked_blockedxLj64ELj1ELj10EEvPKT0_PS1_
    .private_segment_fixed_size: 0
    .sgpr_count:     30
    .sgpr_spill_count: 0
    .symbol:         _Z17sort_pairs_kernelI22helper_blocked_blockedxLj64ELj1ELj10EEvPKT0_PS1_.kd
    .uniform_work_group_size: 1
    .uses_dynamic_stack: false
    .vgpr_count:     20
    .vgpr_spill_count: 0
    .wavefront_size: 64
  - .args:
      - .address_space:  global
        .offset:         0
        .size:           8
        .value_kind:     global_buffer
      - .address_space:  global
        .offset:         8
        .size:           8
        .value_kind:     global_buffer
      - .offset:         16
        .size:           4
        .value_kind:     hidden_block_count_x
      - .offset:         20
        .size:           4
        .value_kind:     hidden_block_count_y
      - .offset:         24
        .size:           4
        .value_kind:     hidden_block_count_z
      - .offset:         28
        .size:           2
        .value_kind:     hidden_group_size_x
      - .offset:         30
        .size:           2
        .value_kind:     hidden_group_size_y
      - .offset:         32
        .size:           2
        .value_kind:     hidden_group_size_z
      - .offset:         34
        .size:           2
        .value_kind:     hidden_remainder_x
      - .offset:         36
        .size:           2
        .value_kind:     hidden_remainder_y
      - .offset:         38
        .size:           2
        .value_kind:     hidden_remainder_z
      - .offset:         56
        .size:           8
        .value_kind:     hidden_global_offset_x
      - .offset:         64
        .size:           8
        .value_kind:     hidden_global_offset_y
      - .offset:         72
        .size:           8
        .value_kind:     hidden_global_offset_z
      - .offset:         80
        .size:           2
        .value_kind:     hidden_grid_dims
    .group_segment_fixed_size: 1536
    .kernarg_segment_align: 8
    .kernarg_segment_size: 272
    .language:       OpenCL C
    .language_version:
      - 2
      - 0
    .max_flat_workgroup_size: 64
    .name:           _Z16sort_keys_kernelI22helper_blocked_blockedxLj64ELj3ELj10EEvPKT0_PS1_
    .private_segment_fixed_size: 0
    .sgpr_count:     30
    .sgpr_spill_count: 0
    .symbol:         _Z16sort_keys_kernelI22helper_blocked_blockedxLj64ELj3ELj10EEvPKT0_PS1_.kd
    .uniform_work_group_size: 1
    .uses_dynamic_stack: false
    .vgpr_count:     29
    .vgpr_spill_count: 0
    .wavefront_size: 64
  - .args:
      - .address_space:  global
        .offset:         0
        .size:           8
        .value_kind:     global_buffer
      - .address_space:  global
        .offset:         8
        .size:           8
        .value_kind:     global_buffer
      - .offset:         16
        .size:           4
        .value_kind:     hidden_block_count_x
      - .offset:         20
        .size:           4
        .value_kind:     hidden_block_count_y
      - .offset:         24
        .size:           4
        .value_kind:     hidden_block_count_z
      - .offset:         28
        .size:           2
        .value_kind:     hidden_group_size_x
      - .offset:         30
        .size:           2
        .value_kind:     hidden_group_size_y
      - .offset:         32
        .size:           2
        .value_kind:     hidden_group_size_z
      - .offset:         34
        .size:           2
        .value_kind:     hidden_remainder_x
      - .offset:         36
        .size:           2
        .value_kind:     hidden_remainder_y
      - .offset:         38
        .size:           2
        .value_kind:     hidden_remainder_z
      - .offset:         56
        .size:           8
        .value_kind:     hidden_global_offset_x
      - .offset:         64
        .size:           8
        .value_kind:     hidden_global_offset_y
      - .offset:         72
        .size:           8
        .value_kind:     hidden_global_offset_z
      - .offset:         80
        .size:           2
        .value_kind:     hidden_grid_dims
    .group_segment_fixed_size: 1536
    .kernarg_segment_align: 8
    .kernarg_segment_size: 272
    .language:       OpenCL C
    .language_version:
      - 2
      - 0
    .max_flat_workgroup_size: 64
    .name:           _Z17sort_pairs_kernelI22helper_blocked_blockedxLj64ELj3ELj10EEvPKT0_PS1_
    .private_segment_fixed_size: 0
    .sgpr_count:     30
    .sgpr_spill_count: 0
    .symbol:         _Z17sort_pairs_kernelI22helper_blocked_blockedxLj64ELj3ELj10EEvPKT0_PS1_.kd
    .uniform_work_group_size: 1
    .uses_dynamic_stack: false
    .vgpr_count:     37
    .vgpr_spill_count: 0
    .wavefront_size: 64
  - .args:
      - .address_space:  global
        .offset:         0
        .size:           8
        .value_kind:     global_buffer
      - .address_space:  global
        .offset:         8
        .size:           8
        .value_kind:     global_buffer
      - .offset:         16
        .size:           4
        .value_kind:     hidden_block_count_x
      - .offset:         20
        .size:           4
        .value_kind:     hidden_block_count_y
      - .offset:         24
        .size:           4
        .value_kind:     hidden_block_count_z
      - .offset:         28
        .size:           2
        .value_kind:     hidden_group_size_x
      - .offset:         30
        .size:           2
        .value_kind:     hidden_group_size_y
      - .offset:         32
        .size:           2
        .value_kind:     hidden_group_size_z
      - .offset:         34
        .size:           2
        .value_kind:     hidden_remainder_x
      - .offset:         36
        .size:           2
        .value_kind:     hidden_remainder_y
      - .offset:         38
        .size:           2
        .value_kind:     hidden_remainder_z
      - .offset:         56
        .size:           8
        .value_kind:     hidden_global_offset_x
      - .offset:         64
        .size:           8
        .value_kind:     hidden_global_offset_y
      - .offset:         72
        .size:           8
        .value_kind:     hidden_global_offset_z
      - .offset:         80
        .size:           2
        .value_kind:     hidden_grid_dims
    .group_segment_fixed_size: 2048
    .kernarg_segment_align: 8
    .kernarg_segment_size: 272
    .language:       OpenCL C
    .language_version:
      - 2
      - 0
    .max_flat_workgroup_size: 64
    .name:           _Z16sort_keys_kernelI22helper_blocked_blockedxLj64ELj4ELj10EEvPKT0_PS1_
    .private_segment_fixed_size: 0
    .sgpr_count:     40
    .sgpr_spill_count: 0
    .symbol:         _Z16sort_keys_kernelI22helper_blocked_blockedxLj64ELj4ELj10EEvPKT0_PS1_.kd
    .uniform_work_group_size: 1
    .uses_dynamic_stack: false
    .vgpr_count:     37
    .vgpr_spill_count: 0
    .wavefront_size: 64
  - .args:
      - .address_space:  global
        .offset:         0
        .size:           8
        .value_kind:     global_buffer
      - .address_space:  global
        .offset:         8
        .size:           8
        .value_kind:     global_buffer
      - .offset:         16
        .size:           4
        .value_kind:     hidden_block_count_x
      - .offset:         20
        .size:           4
        .value_kind:     hidden_block_count_y
      - .offset:         24
        .size:           4
        .value_kind:     hidden_block_count_z
      - .offset:         28
        .size:           2
        .value_kind:     hidden_group_size_x
      - .offset:         30
        .size:           2
        .value_kind:     hidden_group_size_y
      - .offset:         32
        .size:           2
        .value_kind:     hidden_group_size_z
      - .offset:         34
        .size:           2
        .value_kind:     hidden_remainder_x
      - .offset:         36
        .size:           2
        .value_kind:     hidden_remainder_y
      - .offset:         38
        .size:           2
        .value_kind:     hidden_remainder_z
      - .offset:         56
        .size:           8
        .value_kind:     hidden_global_offset_x
      - .offset:         64
        .size:           8
        .value_kind:     hidden_global_offset_y
      - .offset:         72
        .size:           8
        .value_kind:     hidden_global_offset_z
      - .offset:         80
        .size:           2
        .value_kind:     hidden_grid_dims
    .group_segment_fixed_size: 2048
    .kernarg_segment_align: 8
    .kernarg_segment_size: 272
    .language:       OpenCL C
    .language_version:
      - 2
      - 0
    .max_flat_workgroup_size: 64
    .name:           _Z17sort_pairs_kernelI22helper_blocked_blockedxLj64ELj4ELj10EEvPKT0_PS1_
    .private_segment_fixed_size: 0
    .sgpr_count:     40
    .sgpr_spill_count: 0
    .symbol:         _Z17sort_pairs_kernelI22helper_blocked_blockedxLj64ELj4ELj10EEvPKT0_PS1_.kd
    .uniform_work_group_size: 1
    .uses_dynamic_stack: false
    .vgpr_count:     49
    .vgpr_spill_count: 0
    .wavefront_size: 64
  - .args:
      - .address_space:  global
        .offset:         0
        .size:           8
        .value_kind:     global_buffer
      - .address_space:  global
        .offset:         8
        .size:           8
        .value_kind:     global_buffer
      - .offset:         16
        .size:           4
        .value_kind:     hidden_block_count_x
      - .offset:         20
        .size:           4
        .value_kind:     hidden_block_count_y
      - .offset:         24
        .size:           4
        .value_kind:     hidden_block_count_z
      - .offset:         28
        .size:           2
        .value_kind:     hidden_group_size_x
      - .offset:         30
        .size:           2
        .value_kind:     hidden_group_size_y
      - .offset:         32
        .size:           2
        .value_kind:     hidden_group_size_z
      - .offset:         34
        .size:           2
        .value_kind:     hidden_remainder_x
      - .offset:         36
        .size:           2
        .value_kind:     hidden_remainder_y
      - .offset:         38
        .size:           2
        .value_kind:     hidden_remainder_z
      - .offset:         56
        .size:           8
        .value_kind:     hidden_global_offset_x
      - .offset:         64
        .size:           8
        .value_kind:     hidden_global_offset_y
      - .offset:         72
        .size:           8
        .value_kind:     hidden_global_offset_z
      - .offset:         80
        .size:           2
        .value_kind:     hidden_grid_dims
    .group_segment_fixed_size: 4096
    .kernarg_segment_align: 8
    .kernarg_segment_size: 272
    .language:       OpenCL C
    .language_version:
      - 2
      - 0
    .max_flat_workgroup_size: 64
    .name:           _Z16sort_keys_kernelI22helper_blocked_blockedxLj64ELj8ELj10EEvPKT0_PS1_
    .private_segment_fixed_size: 0
    .sgpr_count:     30
    .sgpr_spill_count: 0
    .symbol:         _Z16sort_keys_kernelI22helper_blocked_blockedxLj64ELj8ELj10EEvPKT0_PS1_.kd
    .uniform_work_group_size: 1
    .uses_dynamic_stack: false
    .vgpr_count:     55
    .vgpr_spill_count: 0
    .wavefront_size: 64
  - .args:
      - .address_space:  global
        .offset:         0
        .size:           8
        .value_kind:     global_buffer
      - .address_space:  global
        .offset:         8
        .size:           8
        .value_kind:     global_buffer
      - .offset:         16
        .size:           4
        .value_kind:     hidden_block_count_x
      - .offset:         20
        .size:           4
        .value_kind:     hidden_block_count_y
      - .offset:         24
        .size:           4
        .value_kind:     hidden_block_count_z
      - .offset:         28
        .size:           2
        .value_kind:     hidden_group_size_x
      - .offset:         30
        .size:           2
        .value_kind:     hidden_group_size_y
      - .offset:         32
        .size:           2
        .value_kind:     hidden_group_size_z
      - .offset:         34
        .size:           2
        .value_kind:     hidden_remainder_x
      - .offset:         36
        .size:           2
        .value_kind:     hidden_remainder_y
      - .offset:         38
        .size:           2
        .value_kind:     hidden_remainder_z
      - .offset:         56
        .size:           8
        .value_kind:     hidden_global_offset_x
      - .offset:         64
        .size:           8
        .value_kind:     hidden_global_offset_y
      - .offset:         72
        .size:           8
        .value_kind:     hidden_global_offset_z
      - .offset:         80
        .size:           2
        .value_kind:     hidden_grid_dims
    .group_segment_fixed_size: 4096
    .kernarg_segment_align: 8
    .kernarg_segment_size: 272
    .language:       OpenCL C
    .language_version:
      - 2
      - 0
    .max_flat_workgroup_size: 64
    .name:           _Z17sort_pairs_kernelI22helper_blocked_blockedxLj64ELj8ELj10EEvPKT0_PS1_
    .private_segment_fixed_size: 0
    .sgpr_count:     30
    .sgpr_spill_count: 0
    .symbol:         _Z17sort_pairs_kernelI22helper_blocked_blockedxLj64ELj8ELj10EEvPKT0_PS1_.kd
    .uniform_work_group_size: 1
    .uses_dynamic_stack: false
    .vgpr_count:     82
    .vgpr_spill_count: 0
    .wavefront_size: 64
  - .args:
      - .address_space:  global
        .offset:         0
        .size:           8
        .value_kind:     global_buffer
      - .address_space:  global
        .offset:         8
        .size:           8
        .value_kind:     global_buffer
      - .offset:         16
        .size:           4
        .value_kind:     hidden_block_count_x
      - .offset:         20
        .size:           4
        .value_kind:     hidden_block_count_y
      - .offset:         24
        .size:           4
        .value_kind:     hidden_block_count_z
      - .offset:         28
        .size:           2
        .value_kind:     hidden_group_size_x
      - .offset:         30
        .size:           2
        .value_kind:     hidden_group_size_y
      - .offset:         32
        .size:           2
        .value_kind:     hidden_group_size_z
      - .offset:         34
        .size:           2
        .value_kind:     hidden_remainder_x
      - .offset:         36
        .size:           2
        .value_kind:     hidden_remainder_y
      - .offset:         38
        .size:           2
        .value_kind:     hidden_remainder_z
      - .offset:         56
        .size:           8
        .value_kind:     hidden_global_offset_x
      - .offset:         64
        .size:           8
        .value_kind:     hidden_global_offset_y
      - .offset:         72
        .size:           8
        .value_kind:     hidden_global_offset_z
      - .offset:         80
        .size:           2
        .value_kind:     hidden_grid_dims
    .group_segment_fixed_size: 2064
    .kernarg_segment_align: 8
    .kernarg_segment_size: 272
    .language:       OpenCL C
    .language_version:
      - 2
      - 0
    .max_flat_workgroup_size: 128
    .name:           _Z16sort_keys_kernelI22helper_blocked_blockedxLj128ELj1ELj10EEvPKT0_PS1_
    .private_segment_fixed_size: 0
    .sgpr_count:     40
    .sgpr_spill_count: 0
    .symbol:         _Z16sort_keys_kernelI22helper_blocked_blockedxLj128ELj1ELj10EEvPKT0_PS1_.kd
    .uniform_work_group_size: 1
    .uses_dynamic_stack: false
    .vgpr_count:     26
    .vgpr_spill_count: 0
    .wavefront_size: 64
  - .args:
      - .address_space:  global
        .offset:         0
        .size:           8
        .value_kind:     global_buffer
      - .address_space:  global
        .offset:         8
        .size:           8
        .value_kind:     global_buffer
      - .offset:         16
        .size:           4
        .value_kind:     hidden_block_count_x
      - .offset:         20
        .size:           4
        .value_kind:     hidden_block_count_y
      - .offset:         24
        .size:           4
        .value_kind:     hidden_block_count_z
      - .offset:         28
        .size:           2
        .value_kind:     hidden_group_size_x
      - .offset:         30
        .size:           2
        .value_kind:     hidden_group_size_y
      - .offset:         32
        .size:           2
        .value_kind:     hidden_group_size_z
      - .offset:         34
        .size:           2
        .value_kind:     hidden_remainder_x
      - .offset:         36
        .size:           2
        .value_kind:     hidden_remainder_y
      - .offset:         38
        .size:           2
        .value_kind:     hidden_remainder_z
      - .offset:         56
        .size:           8
        .value_kind:     hidden_global_offset_x
      - .offset:         64
        .size:           8
        .value_kind:     hidden_global_offset_y
      - .offset:         72
        .size:           8
        .value_kind:     hidden_global_offset_z
      - .offset:         80
        .size:           2
        .value_kind:     hidden_grid_dims
    .group_segment_fixed_size: 2064
    .kernarg_segment_align: 8
    .kernarg_segment_size: 272
    .language:       OpenCL C
    .language_version:
      - 2
      - 0
    .max_flat_workgroup_size: 128
    .name:           _Z17sort_pairs_kernelI22helper_blocked_blockedxLj128ELj1ELj10EEvPKT0_PS1_
    .private_segment_fixed_size: 0
    .sgpr_count:     40
    .sgpr_spill_count: 0
    .symbol:         _Z17sort_pairs_kernelI22helper_blocked_blockedxLj128ELj1ELj10EEvPKT0_PS1_.kd
    .uniform_work_group_size: 1
    .uses_dynamic_stack: false
    .vgpr_count:     28
    .vgpr_spill_count: 0
    .wavefront_size: 64
  - .args:
      - .address_space:  global
        .offset:         0
        .size:           8
        .value_kind:     global_buffer
      - .address_space:  global
        .offset:         8
        .size:           8
        .value_kind:     global_buffer
      - .offset:         16
        .size:           4
        .value_kind:     hidden_block_count_x
      - .offset:         20
        .size:           4
        .value_kind:     hidden_block_count_y
      - .offset:         24
        .size:           4
        .value_kind:     hidden_block_count_z
      - .offset:         28
        .size:           2
        .value_kind:     hidden_group_size_x
      - .offset:         30
        .size:           2
        .value_kind:     hidden_group_size_y
      - .offset:         32
        .size:           2
        .value_kind:     hidden_group_size_z
      - .offset:         34
        .size:           2
        .value_kind:     hidden_remainder_x
      - .offset:         36
        .size:           2
        .value_kind:     hidden_remainder_y
      - .offset:         38
        .size:           2
        .value_kind:     hidden_remainder_z
      - .offset:         56
        .size:           8
        .value_kind:     hidden_global_offset_x
      - .offset:         64
        .size:           8
        .value_kind:     hidden_global_offset_y
      - .offset:         72
        .size:           8
        .value_kind:     hidden_global_offset_z
      - .offset:         80
        .size:           2
        .value_kind:     hidden_grid_dims
    .group_segment_fixed_size: 3072
    .kernarg_segment_align: 8
    .kernarg_segment_size: 272
    .language:       OpenCL C
    .language_version:
      - 2
      - 0
    .max_flat_workgroup_size: 128
    .name:           _Z16sort_keys_kernelI22helper_blocked_blockedxLj128ELj3ELj10EEvPKT0_PS1_
    .private_segment_fixed_size: 0
    .sgpr_count:     42
    .sgpr_spill_count: 0
    .symbol:         _Z16sort_keys_kernelI22helper_blocked_blockedxLj128ELj3ELj10EEvPKT0_PS1_.kd
    .uniform_work_group_size: 1
    .uses_dynamic_stack: false
    .vgpr_count:     34
    .vgpr_spill_count: 0
    .wavefront_size: 64
  - .args:
      - .address_space:  global
        .offset:         0
        .size:           8
        .value_kind:     global_buffer
      - .address_space:  global
        .offset:         8
        .size:           8
        .value_kind:     global_buffer
      - .offset:         16
        .size:           4
        .value_kind:     hidden_block_count_x
      - .offset:         20
        .size:           4
        .value_kind:     hidden_block_count_y
      - .offset:         24
        .size:           4
        .value_kind:     hidden_block_count_z
      - .offset:         28
        .size:           2
        .value_kind:     hidden_group_size_x
      - .offset:         30
        .size:           2
        .value_kind:     hidden_group_size_y
      - .offset:         32
        .size:           2
        .value_kind:     hidden_group_size_z
      - .offset:         34
        .size:           2
        .value_kind:     hidden_remainder_x
      - .offset:         36
        .size:           2
        .value_kind:     hidden_remainder_y
      - .offset:         38
        .size:           2
        .value_kind:     hidden_remainder_z
      - .offset:         56
        .size:           8
        .value_kind:     hidden_global_offset_x
      - .offset:         64
        .size:           8
        .value_kind:     hidden_global_offset_y
      - .offset:         72
        .size:           8
        .value_kind:     hidden_global_offset_z
      - .offset:         80
        .size:           2
        .value_kind:     hidden_grid_dims
    .group_segment_fixed_size: 3072
    .kernarg_segment_align: 8
    .kernarg_segment_size: 272
    .language:       OpenCL C
    .language_version:
      - 2
      - 0
    .max_flat_workgroup_size: 128
    .name:           _Z17sort_pairs_kernelI22helper_blocked_blockedxLj128ELj3ELj10EEvPKT0_PS1_
    .private_segment_fixed_size: 0
    .sgpr_count:     42
    .sgpr_spill_count: 0
    .symbol:         _Z17sort_pairs_kernelI22helper_blocked_blockedxLj128ELj3ELj10EEvPKT0_PS1_.kd
    .uniform_work_group_size: 1
    .uses_dynamic_stack: false
    .vgpr_count:     41
    .vgpr_spill_count: 0
    .wavefront_size: 64
  - .args:
      - .address_space:  global
        .offset:         0
        .size:           8
        .value_kind:     global_buffer
      - .address_space:  global
        .offset:         8
        .size:           8
        .value_kind:     global_buffer
      - .offset:         16
        .size:           4
        .value_kind:     hidden_block_count_x
      - .offset:         20
        .size:           4
        .value_kind:     hidden_block_count_y
      - .offset:         24
        .size:           4
        .value_kind:     hidden_block_count_z
      - .offset:         28
        .size:           2
        .value_kind:     hidden_group_size_x
      - .offset:         30
        .size:           2
        .value_kind:     hidden_group_size_y
      - .offset:         32
        .size:           2
        .value_kind:     hidden_group_size_z
      - .offset:         34
        .size:           2
        .value_kind:     hidden_remainder_x
      - .offset:         36
        .size:           2
        .value_kind:     hidden_remainder_y
      - .offset:         38
        .size:           2
        .value_kind:     hidden_remainder_z
      - .offset:         56
        .size:           8
        .value_kind:     hidden_global_offset_x
      - .offset:         64
        .size:           8
        .value_kind:     hidden_global_offset_y
      - .offset:         72
        .size:           8
        .value_kind:     hidden_global_offset_z
      - .offset:         80
        .size:           2
        .value_kind:     hidden_grid_dims
    .group_segment_fixed_size: 4096
    .kernarg_segment_align: 8
    .kernarg_segment_size: 272
    .language:       OpenCL C
    .language_version:
      - 2
      - 0
    .max_flat_workgroup_size: 128
    .name:           _Z16sort_keys_kernelI22helper_blocked_blockedxLj128ELj4ELj10EEvPKT0_PS1_
    .private_segment_fixed_size: 0
    .sgpr_count:     48
    .sgpr_spill_count: 0
    .symbol:         _Z16sort_keys_kernelI22helper_blocked_blockedxLj128ELj4ELj10EEvPKT0_PS1_.kd
    .uniform_work_group_size: 1
    .uses_dynamic_stack: false
    .vgpr_count:     45
    .vgpr_spill_count: 0
    .wavefront_size: 64
  - .args:
      - .address_space:  global
        .offset:         0
        .size:           8
        .value_kind:     global_buffer
      - .address_space:  global
        .offset:         8
        .size:           8
        .value_kind:     global_buffer
      - .offset:         16
        .size:           4
        .value_kind:     hidden_block_count_x
      - .offset:         20
        .size:           4
        .value_kind:     hidden_block_count_y
      - .offset:         24
        .size:           4
        .value_kind:     hidden_block_count_z
      - .offset:         28
        .size:           2
        .value_kind:     hidden_group_size_x
      - .offset:         30
        .size:           2
        .value_kind:     hidden_group_size_y
      - .offset:         32
        .size:           2
        .value_kind:     hidden_group_size_z
      - .offset:         34
        .size:           2
        .value_kind:     hidden_remainder_x
      - .offset:         36
        .size:           2
        .value_kind:     hidden_remainder_y
      - .offset:         38
        .size:           2
        .value_kind:     hidden_remainder_z
      - .offset:         56
        .size:           8
        .value_kind:     hidden_global_offset_x
      - .offset:         64
        .size:           8
        .value_kind:     hidden_global_offset_y
      - .offset:         72
        .size:           8
        .value_kind:     hidden_global_offset_z
      - .offset:         80
        .size:           2
        .value_kind:     hidden_grid_dims
    .group_segment_fixed_size: 4096
    .kernarg_segment_align: 8
    .kernarg_segment_size: 272
    .language:       OpenCL C
    .language_version:
      - 2
      - 0
    .max_flat_workgroup_size: 128
    .name:           _Z17sort_pairs_kernelI22helper_blocked_blockedxLj128ELj4ELj10EEvPKT0_PS1_
    .private_segment_fixed_size: 0
    .sgpr_count:     50
    .sgpr_spill_count: 0
    .symbol:         _Z17sort_pairs_kernelI22helper_blocked_blockedxLj128ELj4ELj10EEvPKT0_PS1_.kd
    .uniform_work_group_size: 1
    .uses_dynamic_stack: false
    .vgpr_count:     52
    .vgpr_spill_count: 0
    .wavefront_size: 64
  - .args:
      - .address_space:  global
        .offset:         0
        .size:           8
        .value_kind:     global_buffer
      - .address_space:  global
        .offset:         8
        .size:           8
        .value_kind:     global_buffer
      - .offset:         16
        .size:           4
        .value_kind:     hidden_block_count_x
      - .offset:         20
        .size:           4
        .value_kind:     hidden_block_count_y
      - .offset:         24
        .size:           4
        .value_kind:     hidden_block_count_z
      - .offset:         28
        .size:           2
        .value_kind:     hidden_group_size_x
      - .offset:         30
        .size:           2
        .value_kind:     hidden_group_size_y
      - .offset:         32
        .size:           2
        .value_kind:     hidden_group_size_z
      - .offset:         34
        .size:           2
        .value_kind:     hidden_remainder_x
      - .offset:         36
        .size:           2
        .value_kind:     hidden_remainder_y
      - .offset:         38
        .size:           2
        .value_kind:     hidden_remainder_z
      - .offset:         56
        .size:           8
        .value_kind:     hidden_global_offset_x
      - .offset:         64
        .size:           8
        .value_kind:     hidden_global_offset_y
      - .offset:         72
        .size:           8
        .value_kind:     hidden_global_offset_z
      - .offset:         80
        .size:           2
        .value_kind:     hidden_grid_dims
    .group_segment_fixed_size: 8192
    .kernarg_segment_align: 8
    .kernarg_segment_size: 272
    .language:       OpenCL C
    .language_version:
      - 2
      - 0
    .max_flat_workgroup_size: 128
    .name:           _Z16sort_keys_kernelI22helper_blocked_blockedxLj128ELj8ELj10EEvPKT0_PS1_
    .private_segment_fixed_size: 0
    .sgpr_count:     40
    .sgpr_spill_count: 0
    .symbol:         _Z16sort_keys_kernelI22helper_blocked_blockedxLj128ELj8ELj10EEvPKT0_PS1_.kd
    .uniform_work_group_size: 1
    .uses_dynamic_stack: false
    .vgpr_count:     62
    .vgpr_spill_count: 0
    .wavefront_size: 64
  - .args:
      - .address_space:  global
        .offset:         0
        .size:           8
        .value_kind:     global_buffer
      - .address_space:  global
        .offset:         8
        .size:           8
        .value_kind:     global_buffer
      - .offset:         16
        .size:           4
        .value_kind:     hidden_block_count_x
      - .offset:         20
        .size:           4
        .value_kind:     hidden_block_count_y
      - .offset:         24
        .size:           4
        .value_kind:     hidden_block_count_z
      - .offset:         28
        .size:           2
        .value_kind:     hidden_group_size_x
      - .offset:         30
        .size:           2
        .value_kind:     hidden_group_size_y
      - .offset:         32
        .size:           2
        .value_kind:     hidden_group_size_z
      - .offset:         34
        .size:           2
        .value_kind:     hidden_remainder_x
      - .offset:         36
        .size:           2
        .value_kind:     hidden_remainder_y
      - .offset:         38
        .size:           2
        .value_kind:     hidden_remainder_z
      - .offset:         56
        .size:           8
        .value_kind:     hidden_global_offset_x
      - .offset:         64
        .size:           8
        .value_kind:     hidden_global_offset_y
      - .offset:         72
        .size:           8
        .value_kind:     hidden_global_offset_z
      - .offset:         80
        .size:           2
        .value_kind:     hidden_grid_dims
    .group_segment_fixed_size: 8192
    .kernarg_segment_align: 8
    .kernarg_segment_size: 272
    .language:       OpenCL C
    .language_version:
      - 2
      - 0
    .max_flat_workgroup_size: 128
    .name:           _Z17sort_pairs_kernelI22helper_blocked_blockedxLj128ELj8ELj10EEvPKT0_PS1_
    .private_segment_fixed_size: 0
    .sgpr_count:     42
    .sgpr_spill_count: 0
    .symbol:         _Z17sort_pairs_kernelI22helper_blocked_blockedxLj128ELj8ELj10EEvPKT0_PS1_.kd
    .uniform_work_group_size: 1
    .uses_dynamic_stack: false
    .vgpr_count:     85
    .vgpr_spill_count: 0
    .wavefront_size: 64
  - .args:
      - .address_space:  global
        .offset:         0
        .size:           8
        .value_kind:     global_buffer
      - .address_space:  global
        .offset:         8
        .size:           8
        .value_kind:     global_buffer
      - .offset:         16
        .size:           4
        .value_kind:     hidden_block_count_x
      - .offset:         20
        .size:           4
        .value_kind:     hidden_block_count_y
      - .offset:         24
        .size:           4
        .value_kind:     hidden_block_count_z
      - .offset:         28
        .size:           2
        .value_kind:     hidden_group_size_x
      - .offset:         30
        .size:           2
        .value_kind:     hidden_group_size_y
      - .offset:         32
        .size:           2
        .value_kind:     hidden_group_size_z
      - .offset:         34
        .size:           2
        .value_kind:     hidden_remainder_x
      - .offset:         36
        .size:           2
        .value_kind:     hidden_remainder_y
      - .offset:         38
        .size:           2
        .value_kind:     hidden_remainder_z
      - .offset:         56
        .size:           8
        .value_kind:     hidden_global_offset_x
      - .offset:         64
        .size:           8
        .value_kind:     hidden_global_offset_y
      - .offset:         72
        .size:           8
        .value_kind:     hidden_global_offset_z
      - .offset:         80
        .size:           2
        .value_kind:     hidden_grid_dims
    .group_segment_fixed_size: 3088
    .kernarg_segment_align: 8
    .kernarg_segment_size: 272
    .language:       OpenCL C
    .language_version:
      - 2
      - 0
    .max_flat_workgroup_size: 192
    .name:           _Z16sort_keys_kernelI22helper_blocked_blockedxLj192ELj1ELj10EEvPKT0_PS1_
    .private_segment_fixed_size: 0
    .sgpr_count:     42
    .sgpr_spill_count: 0
    .symbol:         _Z16sort_keys_kernelI22helper_blocked_blockedxLj192ELj1ELj10EEvPKT0_PS1_.kd
    .uniform_work_group_size: 1
    .uses_dynamic_stack: false
    .vgpr_count:     23
    .vgpr_spill_count: 0
    .wavefront_size: 64
  - .args:
      - .address_space:  global
        .offset:         0
        .size:           8
        .value_kind:     global_buffer
      - .address_space:  global
        .offset:         8
        .size:           8
        .value_kind:     global_buffer
      - .offset:         16
        .size:           4
        .value_kind:     hidden_block_count_x
      - .offset:         20
        .size:           4
        .value_kind:     hidden_block_count_y
      - .offset:         24
        .size:           4
        .value_kind:     hidden_block_count_z
      - .offset:         28
        .size:           2
        .value_kind:     hidden_group_size_x
      - .offset:         30
        .size:           2
        .value_kind:     hidden_group_size_y
      - .offset:         32
        .size:           2
        .value_kind:     hidden_group_size_z
      - .offset:         34
        .size:           2
        .value_kind:     hidden_remainder_x
      - .offset:         36
        .size:           2
        .value_kind:     hidden_remainder_y
      - .offset:         38
        .size:           2
        .value_kind:     hidden_remainder_z
      - .offset:         56
        .size:           8
        .value_kind:     hidden_global_offset_x
      - .offset:         64
        .size:           8
        .value_kind:     hidden_global_offset_y
      - .offset:         72
        .size:           8
        .value_kind:     hidden_global_offset_z
      - .offset:         80
        .size:           2
        .value_kind:     hidden_grid_dims
    .group_segment_fixed_size: 3088
    .kernarg_segment_align: 8
    .kernarg_segment_size: 272
    .language:       OpenCL C
    .language_version:
      - 2
      - 0
    .max_flat_workgroup_size: 192
    .name:           _Z17sort_pairs_kernelI22helper_blocked_blockedxLj192ELj1ELj10EEvPKT0_PS1_
    .private_segment_fixed_size: 0
    .sgpr_count:     42
    .sgpr_spill_count: 0
    .symbol:         _Z17sort_pairs_kernelI22helper_blocked_blockedxLj192ELj1ELj10EEvPKT0_PS1_.kd
    .uniform_work_group_size: 1
    .uses_dynamic_stack: false
    .vgpr_count:     23
    .vgpr_spill_count: 0
    .wavefront_size: 64
  - .args:
      - .address_space:  global
        .offset:         0
        .size:           8
        .value_kind:     global_buffer
      - .address_space:  global
        .offset:         8
        .size:           8
        .value_kind:     global_buffer
      - .offset:         16
        .size:           4
        .value_kind:     hidden_block_count_x
      - .offset:         20
        .size:           4
        .value_kind:     hidden_block_count_y
      - .offset:         24
        .size:           4
        .value_kind:     hidden_block_count_z
      - .offset:         28
        .size:           2
        .value_kind:     hidden_group_size_x
      - .offset:         30
        .size:           2
        .value_kind:     hidden_group_size_y
      - .offset:         32
        .size:           2
        .value_kind:     hidden_group_size_z
      - .offset:         34
        .size:           2
        .value_kind:     hidden_remainder_x
      - .offset:         36
        .size:           2
        .value_kind:     hidden_remainder_y
      - .offset:         38
        .size:           2
        .value_kind:     hidden_remainder_z
      - .offset:         56
        .size:           8
        .value_kind:     hidden_global_offset_x
      - .offset:         64
        .size:           8
        .value_kind:     hidden_global_offset_y
      - .offset:         72
        .size:           8
        .value_kind:     hidden_global_offset_z
      - .offset:         80
        .size:           2
        .value_kind:     hidden_grid_dims
    .group_segment_fixed_size: 4608
    .kernarg_segment_align: 8
    .kernarg_segment_size: 272
    .language:       OpenCL C
    .language_version:
      - 2
      - 0
    .max_flat_workgroup_size: 192
    .name:           _Z16sort_keys_kernelI22helper_blocked_blockedxLj192ELj3ELj10EEvPKT0_PS1_
    .private_segment_fixed_size: 0
    .sgpr_count:     42
    .sgpr_spill_count: 0
    .symbol:         _Z16sort_keys_kernelI22helper_blocked_blockedxLj192ELj3ELj10EEvPKT0_PS1_.kd
    .uniform_work_group_size: 1
    .uses_dynamic_stack: false
    .vgpr_count:     35
    .vgpr_spill_count: 0
    .wavefront_size: 64
  - .args:
      - .address_space:  global
        .offset:         0
        .size:           8
        .value_kind:     global_buffer
      - .address_space:  global
        .offset:         8
        .size:           8
        .value_kind:     global_buffer
      - .offset:         16
        .size:           4
        .value_kind:     hidden_block_count_x
      - .offset:         20
        .size:           4
        .value_kind:     hidden_block_count_y
      - .offset:         24
        .size:           4
        .value_kind:     hidden_block_count_z
      - .offset:         28
        .size:           2
        .value_kind:     hidden_group_size_x
      - .offset:         30
        .size:           2
        .value_kind:     hidden_group_size_y
      - .offset:         32
        .size:           2
        .value_kind:     hidden_group_size_z
      - .offset:         34
        .size:           2
        .value_kind:     hidden_remainder_x
      - .offset:         36
        .size:           2
        .value_kind:     hidden_remainder_y
      - .offset:         38
        .size:           2
        .value_kind:     hidden_remainder_z
      - .offset:         56
        .size:           8
        .value_kind:     hidden_global_offset_x
      - .offset:         64
        .size:           8
        .value_kind:     hidden_global_offset_y
      - .offset:         72
        .size:           8
        .value_kind:     hidden_global_offset_z
      - .offset:         80
        .size:           2
        .value_kind:     hidden_grid_dims
    .group_segment_fixed_size: 4608
    .kernarg_segment_align: 8
    .kernarg_segment_size: 272
    .language:       OpenCL C
    .language_version:
      - 2
      - 0
    .max_flat_workgroup_size: 192
    .name:           _Z17sort_pairs_kernelI22helper_blocked_blockedxLj192ELj3ELj10EEvPKT0_PS1_
    .private_segment_fixed_size: 0
    .sgpr_count:     42
    .sgpr_spill_count: 0
    .symbol:         _Z17sort_pairs_kernelI22helper_blocked_blockedxLj192ELj3ELj10EEvPKT0_PS1_.kd
    .uniform_work_group_size: 1
    .uses_dynamic_stack: false
    .vgpr_count:     42
    .vgpr_spill_count: 0
    .wavefront_size: 64
  - .args:
      - .address_space:  global
        .offset:         0
        .size:           8
        .value_kind:     global_buffer
      - .address_space:  global
        .offset:         8
        .size:           8
        .value_kind:     global_buffer
      - .offset:         16
        .size:           4
        .value_kind:     hidden_block_count_x
      - .offset:         20
        .size:           4
        .value_kind:     hidden_block_count_y
      - .offset:         24
        .size:           4
        .value_kind:     hidden_block_count_z
      - .offset:         28
        .size:           2
        .value_kind:     hidden_group_size_x
      - .offset:         30
        .size:           2
        .value_kind:     hidden_group_size_y
      - .offset:         32
        .size:           2
        .value_kind:     hidden_group_size_z
      - .offset:         34
        .size:           2
        .value_kind:     hidden_remainder_x
      - .offset:         36
        .size:           2
        .value_kind:     hidden_remainder_y
      - .offset:         38
        .size:           2
        .value_kind:     hidden_remainder_z
      - .offset:         56
        .size:           8
        .value_kind:     hidden_global_offset_x
      - .offset:         64
        .size:           8
        .value_kind:     hidden_global_offset_y
      - .offset:         72
        .size:           8
        .value_kind:     hidden_global_offset_z
      - .offset:         80
        .size:           2
        .value_kind:     hidden_grid_dims
    .group_segment_fixed_size: 6336
    .kernarg_segment_align: 8
    .kernarg_segment_size: 272
    .language:       OpenCL C
    .language_version:
      - 2
      - 0
    .max_flat_workgroup_size: 192
    .name:           _Z16sort_keys_kernelI22helper_blocked_blockedxLj192ELj4ELj10EEvPKT0_PS1_
    .private_segment_fixed_size: 0
    .sgpr_count:     48
    .sgpr_spill_count: 0
    .symbol:         _Z16sort_keys_kernelI22helper_blocked_blockedxLj192ELj4ELj10EEvPKT0_PS1_.kd
    .uniform_work_group_size: 1
    .uses_dynamic_stack: false
    .vgpr_count:     45
    .vgpr_spill_count: 0
    .wavefront_size: 64
  - .args:
      - .address_space:  global
        .offset:         0
        .size:           8
        .value_kind:     global_buffer
      - .address_space:  global
        .offset:         8
        .size:           8
        .value_kind:     global_buffer
      - .offset:         16
        .size:           4
        .value_kind:     hidden_block_count_x
      - .offset:         20
        .size:           4
        .value_kind:     hidden_block_count_y
      - .offset:         24
        .size:           4
        .value_kind:     hidden_block_count_z
      - .offset:         28
        .size:           2
        .value_kind:     hidden_group_size_x
      - .offset:         30
        .size:           2
        .value_kind:     hidden_group_size_y
      - .offset:         32
        .size:           2
        .value_kind:     hidden_group_size_z
      - .offset:         34
        .size:           2
        .value_kind:     hidden_remainder_x
      - .offset:         36
        .size:           2
        .value_kind:     hidden_remainder_y
      - .offset:         38
        .size:           2
        .value_kind:     hidden_remainder_z
      - .offset:         56
        .size:           8
        .value_kind:     hidden_global_offset_x
      - .offset:         64
        .size:           8
        .value_kind:     hidden_global_offset_y
      - .offset:         72
        .size:           8
        .value_kind:     hidden_global_offset_z
      - .offset:         80
        .size:           2
        .value_kind:     hidden_grid_dims
    .group_segment_fixed_size: 6336
    .kernarg_segment_align: 8
    .kernarg_segment_size: 272
    .language:       OpenCL C
    .language_version:
      - 2
      - 0
    .max_flat_workgroup_size: 192
    .name:           _Z17sort_pairs_kernelI22helper_blocked_blockedxLj192ELj4ELj10EEvPKT0_PS1_
    .private_segment_fixed_size: 0
    .sgpr_count:     48
    .sgpr_spill_count: 0
    .symbol:         _Z17sort_pairs_kernelI22helper_blocked_blockedxLj192ELj4ELj10EEvPKT0_PS1_.kd
    .uniform_work_group_size: 1
    .uses_dynamic_stack: false
    .vgpr_count:     56
    .vgpr_spill_count: 0
    .wavefront_size: 64
  - .args:
      - .address_space:  global
        .offset:         0
        .size:           8
        .value_kind:     global_buffer
      - .address_space:  global
        .offset:         8
        .size:           8
        .value_kind:     global_buffer
      - .offset:         16
        .size:           4
        .value_kind:     hidden_block_count_x
      - .offset:         20
        .size:           4
        .value_kind:     hidden_block_count_y
      - .offset:         24
        .size:           4
        .value_kind:     hidden_block_count_z
      - .offset:         28
        .size:           2
        .value_kind:     hidden_group_size_x
      - .offset:         30
        .size:           2
        .value_kind:     hidden_group_size_y
      - .offset:         32
        .size:           2
        .value_kind:     hidden_group_size_z
      - .offset:         34
        .size:           2
        .value_kind:     hidden_remainder_x
      - .offset:         36
        .size:           2
        .value_kind:     hidden_remainder_y
      - .offset:         38
        .size:           2
        .value_kind:     hidden_remainder_z
      - .offset:         56
        .size:           8
        .value_kind:     hidden_global_offset_x
      - .offset:         64
        .size:           8
        .value_kind:     hidden_global_offset_y
      - .offset:         72
        .size:           8
        .value_kind:     hidden_global_offset_z
      - .offset:         80
        .size:           2
        .value_kind:     hidden_grid_dims
    .group_segment_fixed_size: 12672
    .kernarg_segment_align: 8
    .kernarg_segment_size: 272
    .language:       OpenCL C
    .language_version:
      - 2
      - 0
    .max_flat_workgroup_size: 192
    .name:           _Z16sort_keys_kernelI22helper_blocked_blockedxLj192ELj8ELj10EEvPKT0_PS1_
    .private_segment_fixed_size: 0
    .sgpr_count:     42
    .sgpr_spill_count: 0
    .symbol:         _Z16sort_keys_kernelI22helper_blocked_blockedxLj192ELj8ELj10EEvPKT0_PS1_.kd
    .uniform_work_group_size: 1
    .uses_dynamic_stack: false
    .vgpr_count:     67
    .vgpr_spill_count: 0
    .wavefront_size: 64
  - .args:
      - .address_space:  global
        .offset:         0
        .size:           8
        .value_kind:     global_buffer
      - .address_space:  global
        .offset:         8
        .size:           8
        .value_kind:     global_buffer
      - .offset:         16
        .size:           4
        .value_kind:     hidden_block_count_x
      - .offset:         20
        .size:           4
        .value_kind:     hidden_block_count_y
      - .offset:         24
        .size:           4
        .value_kind:     hidden_block_count_z
      - .offset:         28
        .size:           2
        .value_kind:     hidden_group_size_x
      - .offset:         30
        .size:           2
        .value_kind:     hidden_group_size_y
      - .offset:         32
        .size:           2
        .value_kind:     hidden_group_size_z
      - .offset:         34
        .size:           2
        .value_kind:     hidden_remainder_x
      - .offset:         36
        .size:           2
        .value_kind:     hidden_remainder_y
      - .offset:         38
        .size:           2
        .value_kind:     hidden_remainder_z
      - .offset:         56
        .size:           8
        .value_kind:     hidden_global_offset_x
      - .offset:         64
        .size:           8
        .value_kind:     hidden_global_offset_y
      - .offset:         72
        .size:           8
        .value_kind:     hidden_global_offset_z
      - .offset:         80
        .size:           2
        .value_kind:     hidden_grid_dims
    .group_segment_fixed_size: 12672
    .kernarg_segment_align: 8
    .kernarg_segment_size: 272
    .language:       OpenCL C
    .language_version:
      - 2
      - 0
    .max_flat_workgroup_size: 192
    .name:           _Z17sort_pairs_kernelI22helper_blocked_blockedxLj192ELj8ELj10EEvPKT0_PS1_
    .private_segment_fixed_size: 0
    .sgpr_count:     42
    .sgpr_spill_count: 0
    .symbol:         _Z17sort_pairs_kernelI22helper_blocked_blockedxLj192ELj8ELj10EEvPKT0_PS1_.kd
    .uniform_work_group_size: 1
    .uses_dynamic_stack: false
    .vgpr_count:     93
    .vgpr_spill_count: 0
    .wavefront_size: 64
  - .args:
      - .address_space:  global
        .offset:         0
        .size:           8
        .value_kind:     global_buffer
      - .address_space:  global
        .offset:         8
        .size:           8
        .value_kind:     global_buffer
      - .offset:         16
        .size:           4
        .value_kind:     hidden_block_count_x
      - .offset:         20
        .size:           4
        .value_kind:     hidden_block_count_y
      - .offset:         24
        .size:           4
        .value_kind:     hidden_block_count_z
      - .offset:         28
        .size:           2
        .value_kind:     hidden_group_size_x
      - .offset:         30
        .size:           2
        .value_kind:     hidden_group_size_y
      - .offset:         32
        .size:           2
        .value_kind:     hidden_group_size_z
      - .offset:         34
        .size:           2
        .value_kind:     hidden_remainder_x
      - .offset:         36
        .size:           2
        .value_kind:     hidden_remainder_y
      - .offset:         38
        .size:           2
        .value_kind:     hidden_remainder_z
      - .offset:         56
        .size:           8
        .value_kind:     hidden_global_offset_x
      - .offset:         64
        .size:           8
        .value_kind:     hidden_global_offset_y
      - .offset:         72
        .size:           8
        .value_kind:     hidden_global_offset_z
      - .offset:         80
        .size:           2
        .value_kind:     hidden_grid_dims
    .group_segment_fixed_size: 4112
    .kernarg_segment_align: 8
    .kernarg_segment_size: 272
    .language:       OpenCL C
    .language_version:
      - 2
      - 0
    .max_flat_workgroup_size: 256
    .name:           _Z16sort_keys_kernelI22helper_blocked_blockedxLj256ELj1ELj10EEvPKT0_PS1_
    .private_segment_fixed_size: 0
    .sgpr_count:     42
    .sgpr_spill_count: 0
    .symbol:         _Z16sort_keys_kernelI22helper_blocked_blockedxLj256ELj1ELj10EEvPKT0_PS1_.kd
    .uniform_work_group_size: 1
    .uses_dynamic_stack: false
    .vgpr_count:     26
    .vgpr_spill_count: 0
    .wavefront_size: 64
  - .args:
      - .address_space:  global
        .offset:         0
        .size:           8
        .value_kind:     global_buffer
      - .address_space:  global
        .offset:         8
        .size:           8
        .value_kind:     global_buffer
      - .offset:         16
        .size:           4
        .value_kind:     hidden_block_count_x
      - .offset:         20
        .size:           4
        .value_kind:     hidden_block_count_y
      - .offset:         24
        .size:           4
        .value_kind:     hidden_block_count_z
      - .offset:         28
        .size:           2
        .value_kind:     hidden_group_size_x
      - .offset:         30
        .size:           2
        .value_kind:     hidden_group_size_y
      - .offset:         32
        .size:           2
        .value_kind:     hidden_group_size_z
      - .offset:         34
        .size:           2
        .value_kind:     hidden_remainder_x
      - .offset:         36
        .size:           2
        .value_kind:     hidden_remainder_y
      - .offset:         38
        .size:           2
        .value_kind:     hidden_remainder_z
      - .offset:         56
        .size:           8
        .value_kind:     hidden_global_offset_x
      - .offset:         64
        .size:           8
        .value_kind:     hidden_global_offset_y
      - .offset:         72
        .size:           8
        .value_kind:     hidden_global_offset_z
      - .offset:         80
        .size:           2
        .value_kind:     hidden_grid_dims
    .group_segment_fixed_size: 4112
    .kernarg_segment_align: 8
    .kernarg_segment_size: 272
    .language:       OpenCL C
    .language_version:
      - 2
      - 0
    .max_flat_workgroup_size: 256
    .name:           _Z17sort_pairs_kernelI22helper_blocked_blockedxLj256ELj1ELj10EEvPKT0_PS1_
    .private_segment_fixed_size: 0
    .sgpr_count:     42
    .sgpr_spill_count: 0
    .symbol:         _Z17sort_pairs_kernelI22helper_blocked_blockedxLj256ELj1ELj10EEvPKT0_PS1_.kd
    .uniform_work_group_size: 1
    .uses_dynamic_stack: false
    .vgpr_count:     27
    .vgpr_spill_count: 0
    .wavefront_size: 64
  - .args:
      - .address_space:  global
        .offset:         0
        .size:           8
        .value_kind:     global_buffer
      - .address_space:  global
        .offset:         8
        .size:           8
        .value_kind:     global_buffer
      - .offset:         16
        .size:           4
        .value_kind:     hidden_block_count_x
      - .offset:         20
        .size:           4
        .value_kind:     hidden_block_count_y
      - .offset:         24
        .size:           4
        .value_kind:     hidden_block_count_z
      - .offset:         28
        .size:           2
        .value_kind:     hidden_group_size_x
      - .offset:         30
        .size:           2
        .value_kind:     hidden_group_size_y
      - .offset:         32
        .size:           2
        .value_kind:     hidden_group_size_z
      - .offset:         34
        .size:           2
        .value_kind:     hidden_remainder_x
      - .offset:         36
        .size:           2
        .value_kind:     hidden_remainder_y
      - .offset:         38
        .size:           2
        .value_kind:     hidden_remainder_z
      - .offset:         56
        .size:           8
        .value_kind:     hidden_global_offset_x
      - .offset:         64
        .size:           8
        .value_kind:     hidden_global_offset_y
      - .offset:         72
        .size:           8
        .value_kind:     hidden_global_offset_z
      - .offset:         80
        .size:           2
        .value_kind:     hidden_grid_dims
    .group_segment_fixed_size: 6144
    .kernarg_segment_align: 8
    .kernarg_segment_size: 272
    .language:       OpenCL C
    .language_version:
      - 2
      - 0
    .max_flat_workgroup_size: 256
    .name:           _Z16sort_keys_kernelI22helper_blocked_blockedxLj256ELj3ELj10EEvPKT0_PS1_
    .private_segment_fixed_size: 0
    .sgpr_count:     42
    .sgpr_spill_count: 0
    .symbol:         _Z16sort_keys_kernelI22helper_blocked_blockedxLj256ELj3ELj10EEvPKT0_PS1_.kd
    .uniform_work_group_size: 1
    .uses_dynamic_stack: false
    .vgpr_count:     38
    .vgpr_spill_count: 0
    .wavefront_size: 64
  - .args:
      - .address_space:  global
        .offset:         0
        .size:           8
        .value_kind:     global_buffer
      - .address_space:  global
        .offset:         8
        .size:           8
        .value_kind:     global_buffer
      - .offset:         16
        .size:           4
        .value_kind:     hidden_block_count_x
      - .offset:         20
        .size:           4
        .value_kind:     hidden_block_count_y
      - .offset:         24
        .size:           4
        .value_kind:     hidden_block_count_z
      - .offset:         28
        .size:           2
        .value_kind:     hidden_group_size_x
      - .offset:         30
        .size:           2
        .value_kind:     hidden_group_size_y
      - .offset:         32
        .size:           2
        .value_kind:     hidden_group_size_z
      - .offset:         34
        .size:           2
        .value_kind:     hidden_remainder_x
      - .offset:         36
        .size:           2
        .value_kind:     hidden_remainder_y
      - .offset:         38
        .size:           2
        .value_kind:     hidden_remainder_z
      - .offset:         56
        .size:           8
        .value_kind:     hidden_global_offset_x
      - .offset:         64
        .size:           8
        .value_kind:     hidden_global_offset_y
      - .offset:         72
        .size:           8
        .value_kind:     hidden_global_offset_z
      - .offset:         80
        .size:           2
        .value_kind:     hidden_grid_dims
    .group_segment_fixed_size: 6144
    .kernarg_segment_align: 8
    .kernarg_segment_size: 272
    .language:       OpenCL C
    .language_version:
      - 2
      - 0
    .max_flat_workgroup_size: 256
    .name:           _Z17sort_pairs_kernelI22helper_blocked_blockedxLj256ELj3ELj10EEvPKT0_PS1_
    .private_segment_fixed_size: 0
    .sgpr_count:     42
    .sgpr_spill_count: 0
    .symbol:         _Z17sort_pairs_kernelI22helper_blocked_blockedxLj256ELj3ELj10EEvPKT0_PS1_.kd
    .uniform_work_group_size: 1
    .uses_dynamic_stack: false
    .vgpr_count:     45
    .vgpr_spill_count: 0
    .wavefront_size: 64
  - .args:
      - .address_space:  global
        .offset:         0
        .size:           8
        .value_kind:     global_buffer
      - .address_space:  global
        .offset:         8
        .size:           8
        .value_kind:     global_buffer
      - .offset:         16
        .size:           4
        .value_kind:     hidden_block_count_x
      - .offset:         20
        .size:           4
        .value_kind:     hidden_block_count_y
      - .offset:         24
        .size:           4
        .value_kind:     hidden_block_count_z
      - .offset:         28
        .size:           2
        .value_kind:     hidden_group_size_x
      - .offset:         30
        .size:           2
        .value_kind:     hidden_group_size_y
      - .offset:         32
        .size:           2
        .value_kind:     hidden_group_size_z
      - .offset:         34
        .size:           2
        .value_kind:     hidden_remainder_x
      - .offset:         36
        .size:           2
        .value_kind:     hidden_remainder_y
      - .offset:         38
        .size:           2
        .value_kind:     hidden_remainder_z
      - .offset:         56
        .size:           8
        .value_kind:     hidden_global_offset_x
      - .offset:         64
        .size:           8
        .value_kind:     hidden_global_offset_y
      - .offset:         72
        .size:           8
        .value_kind:     hidden_global_offset_z
      - .offset:         80
        .size:           2
        .value_kind:     hidden_grid_dims
    .group_segment_fixed_size: 8192
    .kernarg_segment_align: 8
    .kernarg_segment_size: 272
    .language:       OpenCL C
    .language_version:
      - 2
      - 0
    .max_flat_workgroup_size: 256
    .name:           _Z16sort_keys_kernelI22helper_blocked_blockedxLj256ELj4ELj10EEvPKT0_PS1_
    .private_segment_fixed_size: 0
    .sgpr_count:     48
    .sgpr_spill_count: 0
    .symbol:         _Z16sort_keys_kernelI22helper_blocked_blockedxLj256ELj4ELj10EEvPKT0_PS1_.kd
    .uniform_work_group_size: 1
    .uses_dynamic_stack: false
    .vgpr_count:     45
    .vgpr_spill_count: 0
    .wavefront_size: 64
  - .args:
      - .address_space:  global
        .offset:         0
        .size:           8
        .value_kind:     global_buffer
      - .address_space:  global
        .offset:         8
        .size:           8
        .value_kind:     global_buffer
      - .offset:         16
        .size:           4
        .value_kind:     hidden_block_count_x
      - .offset:         20
        .size:           4
        .value_kind:     hidden_block_count_y
      - .offset:         24
        .size:           4
        .value_kind:     hidden_block_count_z
      - .offset:         28
        .size:           2
        .value_kind:     hidden_group_size_x
      - .offset:         30
        .size:           2
        .value_kind:     hidden_group_size_y
      - .offset:         32
        .size:           2
        .value_kind:     hidden_group_size_z
      - .offset:         34
        .size:           2
        .value_kind:     hidden_remainder_x
      - .offset:         36
        .size:           2
        .value_kind:     hidden_remainder_y
      - .offset:         38
        .size:           2
        .value_kind:     hidden_remainder_z
      - .offset:         56
        .size:           8
        .value_kind:     hidden_global_offset_x
      - .offset:         64
        .size:           8
        .value_kind:     hidden_global_offset_y
      - .offset:         72
        .size:           8
        .value_kind:     hidden_global_offset_z
      - .offset:         80
        .size:           2
        .value_kind:     hidden_grid_dims
    .group_segment_fixed_size: 8192
    .kernarg_segment_align: 8
    .kernarg_segment_size: 272
    .language:       OpenCL C
    .language_version:
      - 2
      - 0
    .max_flat_workgroup_size: 256
    .name:           _Z17sort_pairs_kernelI22helper_blocked_blockedxLj256ELj4ELj10EEvPKT0_PS1_
    .private_segment_fixed_size: 0
    .sgpr_count:     48
    .sgpr_spill_count: 0
    .symbol:         _Z17sort_pairs_kernelI22helper_blocked_blockedxLj256ELj4ELj10EEvPKT0_PS1_.kd
    .uniform_work_group_size: 1
    .uses_dynamic_stack: false
    .vgpr_count:     56
    .vgpr_spill_count: 0
    .wavefront_size: 64
  - .args:
      - .address_space:  global
        .offset:         0
        .size:           8
        .value_kind:     global_buffer
      - .address_space:  global
        .offset:         8
        .size:           8
        .value_kind:     global_buffer
      - .offset:         16
        .size:           4
        .value_kind:     hidden_block_count_x
      - .offset:         20
        .size:           4
        .value_kind:     hidden_block_count_y
      - .offset:         24
        .size:           4
        .value_kind:     hidden_block_count_z
      - .offset:         28
        .size:           2
        .value_kind:     hidden_group_size_x
      - .offset:         30
        .size:           2
        .value_kind:     hidden_group_size_y
      - .offset:         32
        .size:           2
        .value_kind:     hidden_group_size_z
      - .offset:         34
        .size:           2
        .value_kind:     hidden_remainder_x
      - .offset:         36
        .size:           2
        .value_kind:     hidden_remainder_y
      - .offset:         38
        .size:           2
        .value_kind:     hidden_remainder_z
      - .offset:         56
        .size:           8
        .value_kind:     hidden_global_offset_x
      - .offset:         64
        .size:           8
        .value_kind:     hidden_global_offset_y
      - .offset:         72
        .size:           8
        .value_kind:     hidden_global_offset_z
      - .offset:         80
        .size:           2
        .value_kind:     hidden_grid_dims
    .group_segment_fixed_size: 16384
    .kernarg_segment_align: 8
    .kernarg_segment_size: 272
    .language:       OpenCL C
    .language_version:
      - 2
      - 0
    .max_flat_workgroup_size: 256
    .name:           _Z16sort_keys_kernelI22helper_blocked_blockedxLj256ELj8ELj10EEvPKT0_PS1_
    .private_segment_fixed_size: 0
    .sgpr_count:     42
    .sgpr_spill_count: 0
    .symbol:         _Z16sort_keys_kernelI22helper_blocked_blockedxLj256ELj8ELj10EEvPKT0_PS1_.kd
    .uniform_work_group_size: 1
    .uses_dynamic_stack: false
    .vgpr_count:     62
    .vgpr_spill_count: 0
    .wavefront_size: 64
  - .args:
      - .address_space:  global
        .offset:         0
        .size:           8
        .value_kind:     global_buffer
      - .address_space:  global
        .offset:         8
        .size:           8
        .value_kind:     global_buffer
      - .offset:         16
        .size:           4
        .value_kind:     hidden_block_count_x
      - .offset:         20
        .size:           4
        .value_kind:     hidden_block_count_y
      - .offset:         24
        .size:           4
        .value_kind:     hidden_block_count_z
      - .offset:         28
        .size:           2
        .value_kind:     hidden_group_size_x
      - .offset:         30
        .size:           2
        .value_kind:     hidden_group_size_y
      - .offset:         32
        .size:           2
        .value_kind:     hidden_group_size_z
      - .offset:         34
        .size:           2
        .value_kind:     hidden_remainder_x
      - .offset:         36
        .size:           2
        .value_kind:     hidden_remainder_y
      - .offset:         38
        .size:           2
        .value_kind:     hidden_remainder_z
      - .offset:         56
        .size:           8
        .value_kind:     hidden_global_offset_x
      - .offset:         64
        .size:           8
        .value_kind:     hidden_global_offset_y
      - .offset:         72
        .size:           8
        .value_kind:     hidden_global_offset_z
      - .offset:         80
        .size:           2
        .value_kind:     hidden_grid_dims
    .group_segment_fixed_size: 16384
    .kernarg_segment_align: 8
    .kernarg_segment_size: 272
    .language:       OpenCL C
    .language_version:
      - 2
      - 0
    .max_flat_workgroup_size: 256
    .name:           _Z17sort_pairs_kernelI22helper_blocked_blockedxLj256ELj8ELj10EEvPKT0_PS1_
    .private_segment_fixed_size: 0
    .sgpr_count:     42
    .sgpr_spill_count: 0
    .symbol:         _Z17sort_pairs_kernelI22helper_blocked_blockedxLj256ELj8ELj10EEvPKT0_PS1_.kd
    .uniform_work_group_size: 1
    .uses_dynamic_stack: false
    .vgpr_count:     89
    .vgpr_spill_count: 0
    .wavefront_size: 64
  - .args:
      - .address_space:  global
        .offset:         0
        .size:           8
        .value_kind:     global_buffer
      - .address_space:  global
        .offset:         8
        .size:           8
        .value_kind:     global_buffer
      - .offset:         16
        .size:           4
        .value_kind:     hidden_block_count_x
      - .offset:         20
        .size:           4
        .value_kind:     hidden_block_count_y
      - .offset:         24
        .size:           4
        .value_kind:     hidden_block_count_z
      - .offset:         28
        .size:           2
        .value_kind:     hidden_group_size_x
      - .offset:         30
        .size:           2
        .value_kind:     hidden_group_size_y
      - .offset:         32
        .size:           2
        .value_kind:     hidden_group_size_z
      - .offset:         34
        .size:           2
        .value_kind:     hidden_remainder_x
      - .offset:         36
        .size:           2
        .value_kind:     hidden_remainder_y
      - .offset:         38
        .size:           2
        .value_kind:     hidden_remainder_z
      - .offset:         56
        .size:           8
        .value_kind:     hidden_global_offset_x
      - .offset:         64
        .size:           8
        .value_kind:     hidden_global_offset_y
      - .offset:         72
        .size:           8
        .value_kind:     hidden_global_offset_z
      - .offset:         80
        .size:           2
        .value_kind:     hidden_grid_dims
    .group_segment_fixed_size: 5152
    .kernarg_segment_align: 8
    .kernarg_segment_size: 272
    .language:       OpenCL C
    .language_version:
      - 2
      - 0
    .max_flat_workgroup_size: 320
    .name:           _Z16sort_keys_kernelI22helper_blocked_blockedxLj320ELj1ELj10EEvPKT0_PS1_
    .private_segment_fixed_size: 0
    .sgpr_count:     44
    .sgpr_spill_count: 0
    .symbol:         _Z16sort_keys_kernelI22helper_blocked_blockedxLj320ELj1ELj10EEvPKT0_PS1_.kd
    .uniform_work_group_size: 1
    .uses_dynamic_stack: false
    .vgpr_count:     23
    .vgpr_spill_count: 0
    .wavefront_size: 64
  - .args:
      - .address_space:  global
        .offset:         0
        .size:           8
        .value_kind:     global_buffer
      - .address_space:  global
        .offset:         8
        .size:           8
        .value_kind:     global_buffer
      - .offset:         16
        .size:           4
        .value_kind:     hidden_block_count_x
      - .offset:         20
        .size:           4
        .value_kind:     hidden_block_count_y
      - .offset:         24
        .size:           4
        .value_kind:     hidden_block_count_z
      - .offset:         28
        .size:           2
        .value_kind:     hidden_group_size_x
      - .offset:         30
        .size:           2
        .value_kind:     hidden_group_size_y
      - .offset:         32
        .size:           2
        .value_kind:     hidden_group_size_z
      - .offset:         34
        .size:           2
        .value_kind:     hidden_remainder_x
      - .offset:         36
        .size:           2
        .value_kind:     hidden_remainder_y
      - .offset:         38
        .size:           2
        .value_kind:     hidden_remainder_z
      - .offset:         56
        .size:           8
        .value_kind:     hidden_global_offset_x
      - .offset:         64
        .size:           8
        .value_kind:     hidden_global_offset_y
      - .offset:         72
        .size:           8
        .value_kind:     hidden_global_offset_z
      - .offset:         80
        .size:           2
        .value_kind:     hidden_grid_dims
    .group_segment_fixed_size: 5152
    .kernarg_segment_align: 8
    .kernarg_segment_size: 272
    .language:       OpenCL C
    .language_version:
      - 2
      - 0
    .max_flat_workgroup_size: 320
    .name:           _Z17sort_pairs_kernelI22helper_blocked_blockedxLj320ELj1ELj10EEvPKT0_PS1_
    .private_segment_fixed_size: 0
    .sgpr_count:     44
    .sgpr_spill_count: 0
    .symbol:         _Z17sort_pairs_kernelI22helper_blocked_blockedxLj320ELj1ELj10EEvPKT0_PS1_.kd
    .uniform_work_group_size: 1
    .uses_dynamic_stack: false
    .vgpr_count:     23
    .vgpr_spill_count: 0
    .wavefront_size: 64
  - .args:
      - .address_space:  global
        .offset:         0
        .size:           8
        .value_kind:     global_buffer
      - .address_space:  global
        .offset:         8
        .size:           8
        .value_kind:     global_buffer
      - .offset:         16
        .size:           4
        .value_kind:     hidden_block_count_x
      - .offset:         20
        .size:           4
        .value_kind:     hidden_block_count_y
      - .offset:         24
        .size:           4
        .value_kind:     hidden_block_count_z
      - .offset:         28
        .size:           2
        .value_kind:     hidden_group_size_x
      - .offset:         30
        .size:           2
        .value_kind:     hidden_group_size_y
      - .offset:         32
        .size:           2
        .value_kind:     hidden_group_size_z
      - .offset:         34
        .size:           2
        .value_kind:     hidden_remainder_x
      - .offset:         36
        .size:           2
        .value_kind:     hidden_remainder_y
      - .offset:         38
        .size:           2
        .value_kind:     hidden_remainder_z
      - .offset:         56
        .size:           8
        .value_kind:     hidden_global_offset_x
      - .offset:         64
        .size:           8
        .value_kind:     hidden_global_offset_y
      - .offset:         72
        .size:           8
        .value_kind:     hidden_global_offset_z
      - .offset:         80
        .size:           2
        .value_kind:     hidden_grid_dims
    .group_segment_fixed_size: 7680
    .kernarg_segment_align: 8
    .kernarg_segment_size: 272
    .language:       OpenCL C
    .language_version:
      - 2
      - 0
    .max_flat_workgroup_size: 320
    .name:           _Z16sort_keys_kernelI22helper_blocked_blockedxLj320ELj3ELj10EEvPKT0_PS1_
    .private_segment_fixed_size: 0
    .sgpr_count:     44
    .sgpr_spill_count: 0
    .symbol:         _Z16sort_keys_kernelI22helper_blocked_blockedxLj320ELj3ELj10EEvPKT0_PS1_.kd
    .uniform_work_group_size: 1
    .uses_dynamic_stack: false
    .vgpr_count:     35
    .vgpr_spill_count: 0
    .wavefront_size: 64
  - .args:
      - .address_space:  global
        .offset:         0
        .size:           8
        .value_kind:     global_buffer
      - .address_space:  global
        .offset:         8
        .size:           8
        .value_kind:     global_buffer
      - .offset:         16
        .size:           4
        .value_kind:     hidden_block_count_x
      - .offset:         20
        .size:           4
        .value_kind:     hidden_block_count_y
      - .offset:         24
        .size:           4
        .value_kind:     hidden_block_count_z
      - .offset:         28
        .size:           2
        .value_kind:     hidden_group_size_x
      - .offset:         30
        .size:           2
        .value_kind:     hidden_group_size_y
      - .offset:         32
        .size:           2
        .value_kind:     hidden_group_size_z
      - .offset:         34
        .size:           2
        .value_kind:     hidden_remainder_x
      - .offset:         36
        .size:           2
        .value_kind:     hidden_remainder_y
      - .offset:         38
        .size:           2
        .value_kind:     hidden_remainder_z
      - .offset:         56
        .size:           8
        .value_kind:     hidden_global_offset_x
      - .offset:         64
        .size:           8
        .value_kind:     hidden_global_offset_y
      - .offset:         72
        .size:           8
        .value_kind:     hidden_global_offset_z
      - .offset:         80
        .size:           2
        .value_kind:     hidden_grid_dims
    .group_segment_fixed_size: 7680
    .kernarg_segment_align: 8
    .kernarg_segment_size: 272
    .language:       OpenCL C
    .language_version:
      - 2
      - 0
    .max_flat_workgroup_size: 320
    .name:           _Z17sort_pairs_kernelI22helper_blocked_blockedxLj320ELj3ELj10EEvPKT0_PS1_
    .private_segment_fixed_size: 0
    .sgpr_count:     44
    .sgpr_spill_count: 0
    .symbol:         _Z17sort_pairs_kernelI22helper_blocked_blockedxLj320ELj3ELj10EEvPKT0_PS1_.kd
    .uniform_work_group_size: 1
    .uses_dynamic_stack: false
    .vgpr_count:     42
    .vgpr_spill_count: 0
    .wavefront_size: 64
  - .args:
      - .address_space:  global
        .offset:         0
        .size:           8
        .value_kind:     global_buffer
      - .address_space:  global
        .offset:         8
        .size:           8
        .value_kind:     global_buffer
      - .offset:         16
        .size:           4
        .value_kind:     hidden_block_count_x
      - .offset:         20
        .size:           4
        .value_kind:     hidden_block_count_y
      - .offset:         24
        .size:           4
        .value_kind:     hidden_block_count_z
      - .offset:         28
        .size:           2
        .value_kind:     hidden_group_size_x
      - .offset:         30
        .size:           2
        .value_kind:     hidden_group_size_y
      - .offset:         32
        .size:           2
        .value_kind:     hidden_group_size_z
      - .offset:         34
        .size:           2
        .value_kind:     hidden_remainder_x
      - .offset:         36
        .size:           2
        .value_kind:     hidden_remainder_y
      - .offset:         38
        .size:           2
        .value_kind:     hidden_remainder_z
      - .offset:         56
        .size:           8
        .value_kind:     hidden_global_offset_x
      - .offset:         64
        .size:           8
        .value_kind:     hidden_global_offset_y
      - .offset:         72
        .size:           8
        .value_kind:     hidden_global_offset_z
      - .offset:         80
        .size:           2
        .value_kind:     hidden_grid_dims
    .group_segment_fixed_size: 10560
    .kernarg_segment_align: 8
    .kernarg_segment_size: 272
    .language:       OpenCL C
    .language_version:
      - 2
      - 0
    .max_flat_workgroup_size: 320
    .name:           _Z16sort_keys_kernelI22helper_blocked_blockedxLj320ELj4ELj10EEvPKT0_PS1_
    .private_segment_fixed_size: 0
    .sgpr_count:     52
    .sgpr_spill_count: 0
    .symbol:         _Z16sort_keys_kernelI22helper_blocked_blockedxLj320ELj4ELj10EEvPKT0_PS1_.kd
    .uniform_work_group_size: 1
    .uses_dynamic_stack: false
    .vgpr_count:     45
    .vgpr_spill_count: 0
    .wavefront_size: 64
  - .args:
      - .address_space:  global
        .offset:         0
        .size:           8
        .value_kind:     global_buffer
      - .address_space:  global
        .offset:         8
        .size:           8
        .value_kind:     global_buffer
      - .offset:         16
        .size:           4
        .value_kind:     hidden_block_count_x
      - .offset:         20
        .size:           4
        .value_kind:     hidden_block_count_y
      - .offset:         24
        .size:           4
        .value_kind:     hidden_block_count_z
      - .offset:         28
        .size:           2
        .value_kind:     hidden_group_size_x
      - .offset:         30
        .size:           2
        .value_kind:     hidden_group_size_y
      - .offset:         32
        .size:           2
        .value_kind:     hidden_group_size_z
      - .offset:         34
        .size:           2
        .value_kind:     hidden_remainder_x
      - .offset:         36
        .size:           2
        .value_kind:     hidden_remainder_y
      - .offset:         38
        .size:           2
        .value_kind:     hidden_remainder_z
      - .offset:         56
        .size:           8
        .value_kind:     hidden_global_offset_x
      - .offset:         64
        .size:           8
        .value_kind:     hidden_global_offset_y
      - .offset:         72
        .size:           8
        .value_kind:     hidden_global_offset_z
      - .offset:         80
        .size:           2
        .value_kind:     hidden_grid_dims
    .group_segment_fixed_size: 10560
    .kernarg_segment_align: 8
    .kernarg_segment_size: 272
    .language:       OpenCL C
    .language_version:
      - 2
      - 0
    .max_flat_workgroup_size: 320
    .name:           _Z17sort_pairs_kernelI22helper_blocked_blockedxLj320ELj4ELj10EEvPKT0_PS1_
    .private_segment_fixed_size: 0
    .sgpr_count:     52
    .sgpr_spill_count: 0
    .symbol:         _Z17sort_pairs_kernelI22helper_blocked_blockedxLj320ELj4ELj10EEvPKT0_PS1_.kd
    .uniform_work_group_size: 1
    .uses_dynamic_stack: false
    .vgpr_count:     56
    .vgpr_spill_count: 0
    .wavefront_size: 64
  - .args:
      - .address_space:  global
        .offset:         0
        .size:           8
        .value_kind:     global_buffer
      - .address_space:  global
        .offset:         8
        .size:           8
        .value_kind:     global_buffer
      - .offset:         16
        .size:           4
        .value_kind:     hidden_block_count_x
      - .offset:         20
        .size:           4
        .value_kind:     hidden_block_count_y
      - .offset:         24
        .size:           4
        .value_kind:     hidden_block_count_z
      - .offset:         28
        .size:           2
        .value_kind:     hidden_group_size_x
      - .offset:         30
        .size:           2
        .value_kind:     hidden_group_size_y
      - .offset:         32
        .size:           2
        .value_kind:     hidden_group_size_z
      - .offset:         34
        .size:           2
        .value_kind:     hidden_remainder_x
      - .offset:         36
        .size:           2
        .value_kind:     hidden_remainder_y
      - .offset:         38
        .size:           2
        .value_kind:     hidden_remainder_z
      - .offset:         56
        .size:           8
        .value_kind:     hidden_global_offset_x
      - .offset:         64
        .size:           8
        .value_kind:     hidden_global_offset_y
      - .offset:         72
        .size:           8
        .value_kind:     hidden_global_offset_z
      - .offset:         80
        .size:           2
        .value_kind:     hidden_grid_dims
    .group_segment_fixed_size: 21120
    .kernarg_segment_align: 8
    .kernarg_segment_size: 272
    .language:       OpenCL C
    .language_version:
      - 2
      - 0
    .max_flat_workgroup_size: 320
    .name:           _Z16sort_keys_kernelI22helper_blocked_blockedxLj320ELj8ELj10EEvPKT0_PS1_
    .private_segment_fixed_size: 0
    .sgpr_count:     44
    .sgpr_spill_count: 0
    .symbol:         _Z16sort_keys_kernelI22helper_blocked_blockedxLj320ELj8ELj10EEvPKT0_PS1_.kd
    .uniform_work_group_size: 1
    .uses_dynamic_stack: false
    .vgpr_count:     67
    .vgpr_spill_count: 0
    .wavefront_size: 64
  - .args:
      - .address_space:  global
        .offset:         0
        .size:           8
        .value_kind:     global_buffer
      - .address_space:  global
        .offset:         8
        .size:           8
        .value_kind:     global_buffer
      - .offset:         16
        .size:           4
        .value_kind:     hidden_block_count_x
      - .offset:         20
        .size:           4
        .value_kind:     hidden_block_count_y
      - .offset:         24
        .size:           4
        .value_kind:     hidden_block_count_z
      - .offset:         28
        .size:           2
        .value_kind:     hidden_group_size_x
      - .offset:         30
        .size:           2
        .value_kind:     hidden_group_size_y
      - .offset:         32
        .size:           2
        .value_kind:     hidden_group_size_z
      - .offset:         34
        .size:           2
        .value_kind:     hidden_remainder_x
      - .offset:         36
        .size:           2
        .value_kind:     hidden_remainder_y
      - .offset:         38
        .size:           2
        .value_kind:     hidden_remainder_z
      - .offset:         56
        .size:           8
        .value_kind:     hidden_global_offset_x
      - .offset:         64
        .size:           8
        .value_kind:     hidden_global_offset_y
      - .offset:         72
        .size:           8
        .value_kind:     hidden_global_offset_z
      - .offset:         80
        .size:           2
        .value_kind:     hidden_grid_dims
    .group_segment_fixed_size: 21120
    .kernarg_segment_align: 8
    .kernarg_segment_size: 272
    .language:       OpenCL C
    .language_version:
      - 2
      - 0
    .max_flat_workgroup_size: 320
    .name:           _Z17sort_pairs_kernelI22helper_blocked_blockedxLj320ELj8ELj10EEvPKT0_PS1_
    .private_segment_fixed_size: 0
    .sgpr_count:     44
    .sgpr_spill_count: 0
    .symbol:         _Z17sort_pairs_kernelI22helper_blocked_blockedxLj320ELj8ELj10EEvPKT0_PS1_.kd
    .uniform_work_group_size: 1
    .uses_dynamic_stack: false
    .vgpr_count:     93
    .vgpr_spill_count: 0
    .wavefront_size: 64
  - .args:
      - .address_space:  global
        .offset:         0
        .size:           8
        .value_kind:     global_buffer
      - .address_space:  global
        .offset:         8
        .size:           8
        .value_kind:     global_buffer
      - .offset:         16
        .size:           4
        .value_kind:     hidden_block_count_x
      - .offset:         20
        .size:           4
        .value_kind:     hidden_block_count_y
      - .offset:         24
        .size:           4
        .value_kind:     hidden_block_count_z
      - .offset:         28
        .size:           2
        .value_kind:     hidden_group_size_x
      - .offset:         30
        .size:           2
        .value_kind:     hidden_group_size_y
      - .offset:         32
        .size:           2
        .value_kind:     hidden_group_size_z
      - .offset:         34
        .size:           2
        .value_kind:     hidden_remainder_x
      - .offset:         36
        .size:           2
        .value_kind:     hidden_remainder_y
      - .offset:         38
        .size:           2
        .value_kind:     hidden_remainder_z
      - .offset:         56
        .size:           8
        .value_kind:     hidden_global_offset_x
      - .offset:         64
        .size:           8
        .value_kind:     hidden_global_offset_y
      - .offset:         72
        .size:           8
        .value_kind:     hidden_global_offset_z
      - .offset:         80
        .size:           2
        .value_kind:     hidden_grid_dims
    .group_segment_fixed_size: 8224
    .kernarg_segment_align: 8
    .kernarg_segment_size: 272
    .language:       OpenCL C
    .language_version:
      - 2
      - 0
    .max_flat_workgroup_size: 512
    .name:           _Z16sort_keys_kernelI22helper_blocked_blockedxLj512ELj1ELj10EEvPKT0_PS1_
    .private_segment_fixed_size: 0
    .sgpr_count:     44
    .sgpr_spill_count: 0
    .symbol:         _Z16sort_keys_kernelI22helper_blocked_blockedxLj512ELj1ELj10EEvPKT0_PS1_.kd
    .uniform_work_group_size: 1
    .uses_dynamic_stack: false
    .vgpr_count:     26
    .vgpr_spill_count: 0
    .wavefront_size: 64
  - .args:
      - .address_space:  global
        .offset:         0
        .size:           8
        .value_kind:     global_buffer
      - .address_space:  global
        .offset:         8
        .size:           8
        .value_kind:     global_buffer
      - .offset:         16
        .size:           4
        .value_kind:     hidden_block_count_x
      - .offset:         20
        .size:           4
        .value_kind:     hidden_block_count_y
      - .offset:         24
        .size:           4
        .value_kind:     hidden_block_count_z
      - .offset:         28
        .size:           2
        .value_kind:     hidden_group_size_x
      - .offset:         30
        .size:           2
        .value_kind:     hidden_group_size_y
      - .offset:         32
        .size:           2
        .value_kind:     hidden_group_size_z
      - .offset:         34
        .size:           2
        .value_kind:     hidden_remainder_x
      - .offset:         36
        .size:           2
        .value_kind:     hidden_remainder_y
      - .offset:         38
        .size:           2
        .value_kind:     hidden_remainder_z
      - .offset:         56
        .size:           8
        .value_kind:     hidden_global_offset_x
      - .offset:         64
        .size:           8
        .value_kind:     hidden_global_offset_y
      - .offset:         72
        .size:           8
        .value_kind:     hidden_global_offset_z
      - .offset:         80
        .size:           2
        .value_kind:     hidden_grid_dims
    .group_segment_fixed_size: 8224
    .kernarg_segment_align: 8
    .kernarg_segment_size: 272
    .language:       OpenCL C
    .language_version:
      - 2
      - 0
    .max_flat_workgroup_size: 512
    .name:           _Z17sort_pairs_kernelI22helper_blocked_blockedxLj512ELj1ELj10EEvPKT0_PS1_
    .private_segment_fixed_size: 0
    .sgpr_count:     44
    .sgpr_spill_count: 0
    .symbol:         _Z17sort_pairs_kernelI22helper_blocked_blockedxLj512ELj1ELj10EEvPKT0_PS1_.kd
    .uniform_work_group_size: 1
    .uses_dynamic_stack: false
    .vgpr_count:     27
    .vgpr_spill_count: 0
    .wavefront_size: 64
  - .args:
      - .address_space:  global
        .offset:         0
        .size:           8
        .value_kind:     global_buffer
      - .address_space:  global
        .offset:         8
        .size:           8
        .value_kind:     global_buffer
      - .offset:         16
        .size:           4
        .value_kind:     hidden_block_count_x
      - .offset:         20
        .size:           4
        .value_kind:     hidden_block_count_y
      - .offset:         24
        .size:           4
        .value_kind:     hidden_block_count_z
      - .offset:         28
        .size:           2
        .value_kind:     hidden_group_size_x
      - .offset:         30
        .size:           2
        .value_kind:     hidden_group_size_y
      - .offset:         32
        .size:           2
        .value_kind:     hidden_group_size_z
      - .offset:         34
        .size:           2
        .value_kind:     hidden_remainder_x
      - .offset:         36
        .size:           2
        .value_kind:     hidden_remainder_y
      - .offset:         38
        .size:           2
        .value_kind:     hidden_remainder_z
      - .offset:         56
        .size:           8
        .value_kind:     hidden_global_offset_x
      - .offset:         64
        .size:           8
        .value_kind:     hidden_global_offset_y
      - .offset:         72
        .size:           8
        .value_kind:     hidden_global_offset_z
      - .offset:         80
        .size:           2
        .value_kind:     hidden_grid_dims
    .group_segment_fixed_size: 12288
    .kernarg_segment_align: 8
    .kernarg_segment_size: 272
    .language:       OpenCL C
    .language_version:
      - 2
      - 0
    .max_flat_workgroup_size: 512
    .name:           _Z16sort_keys_kernelI22helper_blocked_blockedxLj512ELj3ELj10EEvPKT0_PS1_
    .private_segment_fixed_size: 0
    .sgpr_count:     44
    .sgpr_spill_count: 0
    .symbol:         _Z16sort_keys_kernelI22helper_blocked_blockedxLj512ELj3ELj10EEvPKT0_PS1_.kd
    .uniform_work_group_size: 1
    .uses_dynamic_stack: false
    .vgpr_count:     38
    .vgpr_spill_count: 0
    .wavefront_size: 64
  - .args:
      - .address_space:  global
        .offset:         0
        .size:           8
        .value_kind:     global_buffer
      - .address_space:  global
        .offset:         8
        .size:           8
        .value_kind:     global_buffer
      - .offset:         16
        .size:           4
        .value_kind:     hidden_block_count_x
      - .offset:         20
        .size:           4
        .value_kind:     hidden_block_count_y
      - .offset:         24
        .size:           4
        .value_kind:     hidden_block_count_z
      - .offset:         28
        .size:           2
        .value_kind:     hidden_group_size_x
      - .offset:         30
        .size:           2
        .value_kind:     hidden_group_size_y
      - .offset:         32
        .size:           2
        .value_kind:     hidden_group_size_z
      - .offset:         34
        .size:           2
        .value_kind:     hidden_remainder_x
      - .offset:         36
        .size:           2
        .value_kind:     hidden_remainder_y
      - .offset:         38
        .size:           2
        .value_kind:     hidden_remainder_z
      - .offset:         56
        .size:           8
        .value_kind:     hidden_global_offset_x
      - .offset:         64
        .size:           8
        .value_kind:     hidden_global_offset_y
      - .offset:         72
        .size:           8
        .value_kind:     hidden_global_offset_z
      - .offset:         80
        .size:           2
        .value_kind:     hidden_grid_dims
    .group_segment_fixed_size: 12288
    .kernarg_segment_align: 8
    .kernarg_segment_size: 272
    .language:       OpenCL C
    .language_version:
      - 2
      - 0
    .max_flat_workgroup_size: 512
    .name:           _Z17sort_pairs_kernelI22helper_blocked_blockedxLj512ELj3ELj10EEvPKT0_PS1_
    .private_segment_fixed_size: 0
    .sgpr_count:     44
    .sgpr_spill_count: 0
    .symbol:         _Z17sort_pairs_kernelI22helper_blocked_blockedxLj512ELj3ELj10EEvPKT0_PS1_.kd
    .uniform_work_group_size: 1
    .uses_dynamic_stack: false
    .vgpr_count:     45
    .vgpr_spill_count: 0
    .wavefront_size: 64
  - .args:
      - .address_space:  global
        .offset:         0
        .size:           8
        .value_kind:     global_buffer
      - .address_space:  global
        .offset:         8
        .size:           8
        .value_kind:     global_buffer
      - .offset:         16
        .size:           4
        .value_kind:     hidden_block_count_x
      - .offset:         20
        .size:           4
        .value_kind:     hidden_block_count_y
      - .offset:         24
        .size:           4
        .value_kind:     hidden_block_count_z
      - .offset:         28
        .size:           2
        .value_kind:     hidden_group_size_x
      - .offset:         30
        .size:           2
        .value_kind:     hidden_group_size_y
      - .offset:         32
        .size:           2
        .value_kind:     hidden_group_size_z
      - .offset:         34
        .size:           2
        .value_kind:     hidden_remainder_x
      - .offset:         36
        .size:           2
        .value_kind:     hidden_remainder_y
      - .offset:         38
        .size:           2
        .value_kind:     hidden_remainder_z
      - .offset:         56
        .size:           8
        .value_kind:     hidden_global_offset_x
      - .offset:         64
        .size:           8
        .value_kind:     hidden_global_offset_y
      - .offset:         72
        .size:           8
        .value_kind:     hidden_global_offset_z
      - .offset:         80
        .size:           2
        .value_kind:     hidden_grid_dims
    .group_segment_fixed_size: 16384
    .kernarg_segment_align: 8
    .kernarg_segment_size: 272
    .language:       OpenCL C
    .language_version:
      - 2
      - 0
    .max_flat_workgroup_size: 512
    .name:           _Z16sort_keys_kernelI22helper_blocked_blockedxLj512ELj4ELj10EEvPKT0_PS1_
    .private_segment_fixed_size: 0
    .sgpr_count:     52
    .sgpr_spill_count: 0
    .symbol:         _Z16sort_keys_kernelI22helper_blocked_blockedxLj512ELj4ELj10EEvPKT0_PS1_.kd
    .uniform_work_group_size: 1
    .uses_dynamic_stack: false
    .vgpr_count:     45
    .vgpr_spill_count: 0
    .wavefront_size: 64
  - .args:
      - .address_space:  global
        .offset:         0
        .size:           8
        .value_kind:     global_buffer
      - .address_space:  global
        .offset:         8
        .size:           8
        .value_kind:     global_buffer
      - .offset:         16
        .size:           4
        .value_kind:     hidden_block_count_x
      - .offset:         20
        .size:           4
        .value_kind:     hidden_block_count_y
      - .offset:         24
        .size:           4
        .value_kind:     hidden_block_count_z
      - .offset:         28
        .size:           2
        .value_kind:     hidden_group_size_x
      - .offset:         30
        .size:           2
        .value_kind:     hidden_group_size_y
      - .offset:         32
        .size:           2
        .value_kind:     hidden_group_size_z
      - .offset:         34
        .size:           2
        .value_kind:     hidden_remainder_x
      - .offset:         36
        .size:           2
        .value_kind:     hidden_remainder_y
      - .offset:         38
        .size:           2
        .value_kind:     hidden_remainder_z
      - .offset:         56
        .size:           8
        .value_kind:     hidden_global_offset_x
      - .offset:         64
        .size:           8
        .value_kind:     hidden_global_offset_y
      - .offset:         72
        .size:           8
        .value_kind:     hidden_global_offset_z
      - .offset:         80
        .size:           2
        .value_kind:     hidden_grid_dims
    .group_segment_fixed_size: 16384
    .kernarg_segment_align: 8
    .kernarg_segment_size: 272
    .language:       OpenCL C
    .language_version:
      - 2
      - 0
    .max_flat_workgroup_size: 512
    .name:           _Z17sort_pairs_kernelI22helper_blocked_blockedxLj512ELj4ELj10EEvPKT0_PS1_
    .private_segment_fixed_size: 0
    .sgpr_count:     52
    .sgpr_spill_count: 0
    .symbol:         _Z17sort_pairs_kernelI22helper_blocked_blockedxLj512ELj4ELj10EEvPKT0_PS1_.kd
    .uniform_work_group_size: 1
    .uses_dynamic_stack: false
    .vgpr_count:     56
    .vgpr_spill_count: 0
    .wavefront_size: 64
  - .args:
      - .address_space:  global
        .offset:         0
        .size:           8
        .value_kind:     global_buffer
      - .address_space:  global
        .offset:         8
        .size:           8
        .value_kind:     global_buffer
      - .offset:         16
        .size:           4
        .value_kind:     hidden_block_count_x
      - .offset:         20
        .size:           4
        .value_kind:     hidden_block_count_y
      - .offset:         24
        .size:           4
        .value_kind:     hidden_block_count_z
      - .offset:         28
        .size:           2
        .value_kind:     hidden_group_size_x
      - .offset:         30
        .size:           2
        .value_kind:     hidden_group_size_y
      - .offset:         32
        .size:           2
        .value_kind:     hidden_group_size_z
      - .offset:         34
        .size:           2
        .value_kind:     hidden_remainder_x
      - .offset:         36
        .size:           2
        .value_kind:     hidden_remainder_y
      - .offset:         38
        .size:           2
        .value_kind:     hidden_remainder_z
      - .offset:         56
        .size:           8
        .value_kind:     hidden_global_offset_x
      - .offset:         64
        .size:           8
        .value_kind:     hidden_global_offset_y
      - .offset:         72
        .size:           8
        .value_kind:     hidden_global_offset_z
      - .offset:         80
        .size:           2
        .value_kind:     hidden_grid_dims
    .group_segment_fixed_size: 32768
    .kernarg_segment_align: 8
    .kernarg_segment_size: 272
    .language:       OpenCL C
    .language_version:
      - 2
      - 0
    .max_flat_workgroup_size: 512
    .name:           _Z16sort_keys_kernelI22helper_blocked_blockedxLj512ELj8ELj10EEvPKT0_PS1_
    .private_segment_fixed_size: 0
    .sgpr_count:     44
    .sgpr_spill_count: 0
    .symbol:         _Z16sort_keys_kernelI22helper_blocked_blockedxLj512ELj8ELj10EEvPKT0_PS1_.kd
    .uniform_work_group_size: 1
    .uses_dynamic_stack: false
    .vgpr_count:     62
    .vgpr_spill_count: 0
    .wavefront_size: 64
  - .args:
      - .address_space:  global
        .offset:         0
        .size:           8
        .value_kind:     global_buffer
      - .address_space:  global
        .offset:         8
        .size:           8
        .value_kind:     global_buffer
      - .offset:         16
        .size:           4
        .value_kind:     hidden_block_count_x
      - .offset:         20
        .size:           4
        .value_kind:     hidden_block_count_y
      - .offset:         24
        .size:           4
        .value_kind:     hidden_block_count_z
      - .offset:         28
        .size:           2
        .value_kind:     hidden_group_size_x
      - .offset:         30
        .size:           2
        .value_kind:     hidden_group_size_y
      - .offset:         32
        .size:           2
        .value_kind:     hidden_group_size_z
      - .offset:         34
        .size:           2
        .value_kind:     hidden_remainder_x
      - .offset:         36
        .size:           2
        .value_kind:     hidden_remainder_y
      - .offset:         38
        .size:           2
        .value_kind:     hidden_remainder_z
      - .offset:         56
        .size:           8
        .value_kind:     hidden_global_offset_x
      - .offset:         64
        .size:           8
        .value_kind:     hidden_global_offset_y
      - .offset:         72
        .size:           8
        .value_kind:     hidden_global_offset_z
      - .offset:         80
        .size:           2
        .value_kind:     hidden_grid_dims
    .group_segment_fixed_size: 32768
    .kernarg_segment_align: 8
    .kernarg_segment_size: 272
    .language:       OpenCL C
    .language_version:
      - 2
      - 0
    .max_flat_workgroup_size: 512
    .name:           _Z17sort_pairs_kernelI22helper_blocked_blockedxLj512ELj8ELj10EEvPKT0_PS1_
    .private_segment_fixed_size: 0
    .sgpr_count:     46
    .sgpr_spill_count: 0
    .symbol:         _Z17sort_pairs_kernelI22helper_blocked_blockedxLj512ELj8ELj10EEvPKT0_PS1_.kd
    .uniform_work_group_size: 1
    .uses_dynamic_stack: false
    .vgpr_count:     85
    .vgpr_spill_count: 0
    .wavefront_size: 64
  - .args:
      - .address_space:  global
        .offset:         0
        .size:           8
        .value_kind:     global_buffer
      - .address_space:  global
        .offset:         8
        .size:           8
        .value_kind:     global_buffer
      - .offset:         16
        .size:           4
        .value_kind:     hidden_block_count_x
      - .offset:         20
        .size:           4
        .value_kind:     hidden_block_count_y
      - .offset:         24
        .size:           4
        .value_kind:     hidden_block_count_z
      - .offset:         28
        .size:           2
        .value_kind:     hidden_group_size_x
      - .offset:         30
        .size:           2
        .value_kind:     hidden_group_size_y
      - .offset:         32
        .size:           2
        .value_kind:     hidden_group_size_z
      - .offset:         34
        .size:           2
        .value_kind:     hidden_remainder_x
      - .offset:         36
        .size:           2
        .value_kind:     hidden_remainder_y
      - .offset:         38
        .size:           2
        .value_kind:     hidden_remainder_z
      - .offset:         56
        .size:           8
        .value_kind:     hidden_global_offset_x
      - .offset:         64
        .size:           8
        .value_kind:     hidden_global_offset_y
      - .offset:         72
        .size:           8
        .value_kind:     hidden_global_offset_z
      - .offset:         80
        .size:           2
        .value_kind:     hidden_grid_dims
    .group_segment_fixed_size: 1040
    .kernarg_segment_align: 8
    .kernarg_segment_size: 272
    .language:       OpenCL C
    .language_version:
      - 2
      - 0
    .max_flat_workgroup_size: 64
    .name:           _Z16sort_keys_kernelI22helper_blocked_blockedN15benchmark_utils11custom_typeIiiEELj64ELj1ELj10EEvPKT0_PS4_
    .private_segment_fixed_size: 0
    .sgpr_count:     30
    .sgpr_spill_count: 0
    .symbol:         _Z16sort_keys_kernelI22helper_blocked_blockedN15benchmark_utils11custom_typeIiiEELj64ELj1ELj10EEvPKT0_PS4_.kd
    .uniform_work_group_size: 1
    .uses_dynamic_stack: false
    .vgpr_count:     24
    .vgpr_spill_count: 0
    .wavefront_size: 64
  - .args:
      - .address_space:  global
        .offset:         0
        .size:           8
        .value_kind:     global_buffer
      - .address_space:  global
        .offset:         8
        .size:           8
        .value_kind:     global_buffer
      - .offset:         16
        .size:           4
        .value_kind:     hidden_block_count_x
      - .offset:         20
        .size:           4
        .value_kind:     hidden_block_count_y
      - .offset:         24
        .size:           4
        .value_kind:     hidden_block_count_z
      - .offset:         28
        .size:           2
        .value_kind:     hidden_group_size_x
      - .offset:         30
        .size:           2
        .value_kind:     hidden_group_size_y
      - .offset:         32
        .size:           2
        .value_kind:     hidden_group_size_z
      - .offset:         34
        .size:           2
        .value_kind:     hidden_remainder_x
      - .offset:         36
        .size:           2
        .value_kind:     hidden_remainder_y
      - .offset:         38
        .size:           2
        .value_kind:     hidden_remainder_z
      - .offset:         56
        .size:           8
        .value_kind:     hidden_global_offset_x
      - .offset:         64
        .size:           8
        .value_kind:     hidden_global_offset_y
      - .offset:         72
        .size:           8
        .value_kind:     hidden_global_offset_z
      - .offset:         80
        .size:           2
        .value_kind:     hidden_grid_dims
    .group_segment_fixed_size: 1040
    .kernarg_segment_align: 8
    .kernarg_segment_size: 272
    .language:       OpenCL C
    .language_version:
      - 2
      - 0
    .max_flat_workgroup_size: 64
    .name:           _Z17sort_pairs_kernelI22helper_blocked_blockedN15benchmark_utils11custom_typeIiiEELj64ELj1ELj10EEvPKT0_PS4_
    .private_segment_fixed_size: 0
    .sgpr_count:     30
    .sgpr_spill_count: 0
    .symbol:         _Z17sort_pairs_kernelI22helper_blocked_blockedN15benchmark_utils11custom_typeIiiEELj64ELj1ELj10EEvPKT0_PS4_.kd
    .uniform_work_group_size: 1
    .uses_dynamic_stack: false
    .vgpr_count:     26
    .vgpr_spill_count: 0
    .wavefront_size: 64
  - .args:
      - .address_space:  global
        .offset:         0
        .size:           8
        .value_kind:     global_buffer
      - .address_space:  global
        .offset:         8
        .size:           8
        .value_kind:     global_buffer
      - .offset:         16
        .size:           4
        .value_kind:     hidden_block_count_x
      - .offset:         20
        .size:           4
        .value_kind:     hidden_block_count_y
      - .offset:         24
        .size:           4
        .value_kind:     hidden_block_count_z
      - .offset:         28
        .size:           2
        .value_kind:     hidden_group_size_x
      - .offset:         30
        .size:           2
        .value_kind:     hidden_group_size_y
      - .offset:         32
        .size:           2
        .value_kind:     hidden_group_size_z
      - .offset:         34
        .size:           2
        .value_kind:     hidden_remainder_x
      - .offset:         36
        .size:           2
        .value_kind:     hidden_remainder_y
      - .offset:         38
        .size:           2
        .value_kind:     hidden_remainder_z
      - .offset:         56
        .size:           8
        .value_kind:     hidden_global_offset_x
      - .offset:         64
        .size:           8
        .value_kind:     hidden_global_offset_y
      - .offset:         72
        .size:           8
        .value_kind:     hidden_global_offset_z
      - .offset:         80
        .size:           2
        .value_kind:     hidden_grid_dims
    .group_segment_fixed_size: 1536
    .kernarg_segment_align: 8
    .kernarg_segment_size: 272
    .language:       OpenCL C
    .language_version:
      - 2
      - 0
    .max_flat_workgroup_size: 64
    .name:           _Z16sort_keys_kernelI22helper_blocked_blockedN15benchmark_utils11custom_typeIiiEELj64ELj3ELj10EEvPKT0_PS4_
    .private_segment_fixed_size: 0
    .sgpr_count:     39
    .sgpr_spill_count: 0
    .symbol:         _Z16sort_keys_kernelI22helper_blocked_blockedN15benchmark_utils11custom_typeIiiEELj64ELj3ELj10EEvPKT0_PS4_.kd
    .uniform_work_group_size: 1
    .uses_dynamic_stack: false
    .vgpr_count:     27
    .vgpr_spill_count: 0
    .wavefront_size: 64
  - .args:
      - .address_space:  global
        .offset:         0
        .size:           8
        .value_kind:     global_buffer
      - .address_space:  global
        .offset:         8
        .size:           8
        .value_kind:     global_buffer
      - .offset:         16
        .size:           4
        .value_kind:     hidden_block_count_x
      - .offset:         20
        .size:           4
        .value_kind:     hidden_block_count_y
      - .offset:         24
        .size:           4
        .value_kind:     hidden_block_count_z
      - .offset:         28
        .size:           2
        .value_kind:     hidden_group_size_x
      - .offset:         30
        .size:           2
        .value_kind:     hidden_group_size_y
      - .offset:         32
        .size:           2
        .value_kind:     hidden_group_size_z
      - .offset:         34
        .size:           2
        .value_kind:     hidden_remainder_x
      - .offset:         36
        .size:           2
        .value_kind:     hidden_remainder_y
      - .offset:         38
        .size:           2
        .value_kind:     hidden_remainder_z
      - .offset:         56
        .size:           8
        .value_kind:     hidden_global_offset_x
      - .offset:         64
        .size:           8
        .value_kind:     hidden_global_offset_y
      - .offset:         72
        .size:           8
        .value_kind:     hidden_global_offset_z
      - .offset:         80
        .size:           2
        .value_kind:     hidden_grid_dims
    .group_segment_fixed_size: 1536
    .kernarg_segment_align: 8
    .kernarg_segment_size: 272
    .language:       OpenCL C
    .language_version:
      - 2
      - 0
    .max_flat_workgroup_size: 64
    .name:           _Z17sort_pairs_kernelI22helper_blocked_blockedN15benchmark_utils11custom_typeIiiEELj64ELj3ELj10EEvPKT0_PS4_
    .private_segment_fixed_size: 0
    .sgpr_count:     39
    .sgpr_spill_count: 0
    .symbol:         _Z17sort_pairs_kernelI22helper_blocked_blockedN15benchmark_utils11custom_typeIiiEELj64ELj3ELj10EEvPKT0_PS4_.kd
    .uniform_work_group_size: 1
    .uses_dynamic_stack: false
    .vgpr_count:     35
    .vgpr_spill_count: 0
    .wavefront_size: 64
  - .args:
      - .address_space:  global
        .offset:         0
        .size:           8
        .value_kind:     global_buffer
      - .address_space:  global
        .offset:         8
        .size:           8
        .value_kind:     global_buffer
      - .offset:         16
        .size:           4
        .value_kind:     hidden_block_count_x
      - .offset:         20
        .size:           4
        .value_kind:     hidden_block_count_y
      - .offset:         24
        .size:           4
        .value_kind:     hidden_block_count_z
      - .offset:         28
        .size:           2
        .value_kind:     hidden_group_size_x
      - .offset:         30
        .size:           2
        .value_kind:     hidden_group_size_y
      - .offset:         32
        .size:           2
        .value_kind:     hidden_group_size_z
      - .offset:         34
        .size:           2
        .value_kind:     hidden_remainder_x
      - .offset:         36
        .size:           2
        .value_kind:     hidden_remainder_y
      - .offset:         38
        .size:           2
        .value_kind:     hidden_remainder_z
      - .offset:         56
        .size:           8
        .value_kind:     hidden_global_offset_x
      - .offset:         64
        .size:           8
        .value_kind:     hidden_global_offset_y
      - .offset:         72
        .size:           8
        .value_kind:     hidden_global_offset_z
      - .offset:         80
        .size:           2
        .value_kind:     hidden_grid_dims
    .group_segment_fixed_size: 2048
    .kernarg_segment_align: 8
    .kernarg_segment_size: 272
    .language:       OpenCL C
    .language_version:
      - 2
      - 0
    .max_flat_workgroup_size: 64
    .name:           _Z16sort_keys_kernelI22helper_blocked_blockedN15benchmark_utils11custom_typeIiiEELj64ELj4ELj10EEvPKT0_PS4_
    .private_segment_fixed_size: 0
    .sgpr_count:     47
    .sgpr_spill_count: 0
    .symbol:         _Z16sort_keys_kernelI22helper_blocked_blockedN15benchmark_utils11custom_typeIiiEELj64ELj4ELj10EEvPKT0_PS4_.kd
    .uniform_work_group_size: 1
    .uses_dynamic_stack: false
    .vgpr_count:     35
    .vgpr_spill_count: 0
    .wavefront_size: 64
  - .args:
      - .address_space:  global
        .offset:         0
        .size:           8
        .value_kind:     global_buffer
      - .address_space:  global
        .offset:         8
        .size:           8
        .value_kind:     global_buffer
      - .offset:         16
        .size:           4
        .value_kind:     hidden_block_count_x
      - .offset:         20
        .size:           4
        .value_kind:     hidden_block_count_y
      - .offset:         24
        .size:           4
        .value_kind:     hidden_block_count_z
      - .offset:         28
        .size:           2
        .value_kind:     hidden_group_size_x
      - .offset:         30
        .size:           2
        .value_kind:     hidden_group_size_y
      - .offset:         32
        .size:           2
        .value_kind:     hidden_group_size_z
      - .offset:         34
        .size:           2
        .value_kind:     hidden_remainder_x
      - .offset:         36
        .size:           2
        .value_kind:     hidden_remainder_y
      - .offset:         38
        .size:           2
        .value_kind:     hidden_remainder_z
      - .offset:         56
        .size:           8
        .value_kind:     hidden_global_offset_x
      - .offset:         64
        .size:           8
        .value_kind:     hidden_global_offset_y
      - .offset:         72
        .size:           8
        .value_kind:     hidden_global_offset_z
      - .offset:         80
        .size:           2
        .value_kind:     hidden_grid_dims
    .group_segment_fixed_size: 2048
    .kernarg_segment_align: 8
    .kernarg_segment_size: 272
    .language:       OpenCL C
    .language_version:
      - 2
      - 0
    .max_flat_workgroup_size: 64
    .name:           _Z17sort_pairs_kernelI22helper_blocked_blockedN15benchmark_utils11custom_typeIiiEELj64ELj4ELj10EEvPKT0_PS4_
    .private_segment_fixed_size: 0
    .sgpr_count:     47
    .sgpr_spill_count: 0
    .symbol:         _Z17sort_pairs_kernelI22helper_blocked_blockedN15benchmark_utils11custom_typeIiiEELj64ELj4ELj10EEvPKT0_PS4_.kd
    .uniform_work_group_size: 1
    .uses_dynamic_stack: false
    .vgpr_count:     61
    .vgpr_spill_count: 0
    .wavefront_size: 64
  - .args:
      - .address_space:  global
        .offset:         0
        .size:           8
        .value_kind:     global_buffer
      - .address_space:  global
        .offset:         8
        .size:           8
        .value_kind:     global_buffer
      - .offset:         16
        .size:           4
        .value_kind:     hidden_block_count_x
      - .offset:         20
        .size:           4
        .value_kind:     hidden_block_count_y
      - .offset:         24
        .size:           4
        .value_kind:     hidden_block_count_z
      - .offset:         28
        .size:           2
        .value_kind:     hidden_group_size_x
      - .offset:         30
        .size:           2
        .value_kind:     hidden_group_size_y
      - .offset:         32
        .size:           2
        .value_kind:     hidden_group_size_z
      - .offset:         34
        .size:           2
        .value_kind:     hidden_remainder_x
      - .offset:         36
        .size:           2
        .value_kind:     hidden_remainder_y
      - .offset:         38
        .size:           2
        .value_kind:     hidden_remainder_z
      - .offset:         56
        .size:           8
        .value_kind:     hidden_global_offset_x
      - .offset:         64
        .size:           8
        .value_kind:     hidden_global_offset_y
      - .offset:         72
        .size:           8
        .value_kind:     hidden_global_offset_z
      - .offset:         80
        .size:           2
        .value_kind:     hidden_grid_dims
    .group_segment_fixed_size: 4096
    .kernarg_segment_align: 8
    .kernarg_segment_size: 272
    .language:       OpenCL C
    .language_version:
      - 2
      - 0
    .max_flat_workgroup_size: 64
    .name:           _Z16sort_keys_kernelI22helper_blocked_blockedN15benchmark_utils11custom_typeIiiEELj64ELj8ELj10EEvPKT0_PS4_
    .private_segment_fixed_size: 0
    .sgpr_count:     39
    .sgpr_spill_count: 0
    .symbol:         _Z16sort_keys_kernelI22helper_blocked_blockedN15benchmark_utils11custom_typeIiiEELj64ELj8ELj10EEvPKT0_PS4_.kd
    .uniform_work_group_size: 1
    .uses_dynamic_stack: false
    .vgpr_count:     52
    .vgpr_spill_count: 0
    .wavefront_size: 64
  - .args:
      - .address_space:  global
        .offset:         0
        .size:           8
        .value_kind:     global_buffer
      - .address_space:  global
        .offset:         8
        .size:           8
        .value_kind:     global_buffer
      - .offset:         16
        .size:           4
        .value_kind:     hidden_block_count_x
      - .offset:         20
        .size:           4
        .value_kind:     hidden_block_count_y
      - .offset:         24
        .size:           4
        .value_kind:     hidden_block_count_z
      - .offset:         28
        .size:           2
        .value_kind:     hidden_group_size_x
      - .offset:         30
        .size:           2
        .value_kind:     hidden_group_size_y
      - .offset:         32
        .size:           2
        .value_kind:     hidden_group_size_z
      - .offset:         34
        .size:           2
        .value_kind:     hidden_remainder_x
      - .offset:         36
        .size:           2
        .value_kind:     hidden_remainder_y
      - .offset:         38
        .size:           2
        .value_kind:     hidden_remainder_z
      - .offset:         56
        .size:           8
        .value_kind:     hidden_global_offset_x
      - .offset:         64
        .size:           8
        .value_kind:     hidden_global_offset_y
      - .offset:         72
        .size:           8
        .value_kind:     hidden_global_offset_z
      - .offset:         80
        .size:           2
        .value_kind:     hidden_grid_dims
    .group_segment_fixed_size: 4096
    .kernarg_segment_align: 8
    .kernarg_segment_size: 272
    .language:       OpenCL C
    .language_version:
      - 2
      - 0
    .max_flat_workgroup_size: 64
    .name:           _Z17sort_pairs_kernelI22helper_blocked_blockedN15benchmark_utils11custom_typeIiiEELj64ELj8ELj10EEvPKT0_PS4_
    .private_segment_fixed_size: 0
    .sgpr_count:     39
    .sgpr_spill_count: 0
    .symbol:         _Z17sort_pairs_kernelI22helper_blocked_blockedN15benchmark_utils11custom_typeIiiEELj64ELj8ELj10EEvPKT0_PS4_.kd
    .uniform_work_group_size: 1
    .uses_dynamic_stack: false
    .vgpr_count:     80
    .vgpr_spill_count: 0
    .wavefront_size: 64
  - .args:
      - .address_space:  global
        .offset:         0
        .size:           8
        .value_kind:     global_buffer
      - .address_space:  global
        .offset:         8
        .size:           8
        .value_kind:     global_buffer
      - .offset:         16
        .size:           4
        .value_kind:     hidden_block_count_x
      - .offset:         20
        .size:           4
        .value_kind:     hidden_block_count_y
      - .offset:         24
        .size:           4
        .value_kind:     hidden_block_count_z
      - .offset:         28
        .size:           2
        .value_kind:     hidden_group_size_x
      - .offset:         30
        .size:           2
        .value_kind:     hidden_group_size_y
      - .offset:         32
        .size:           2
        .value_kind:     hidden_group_size_z
      - .offset:         34
        .size:           2
        .value_kind:     hidden_remainder_x
      - .offset:         36
        .size:           2
        .value_kind:     hidden_remainder_y
      - .offset:         38
        .size:           2
        .value_kind:     hidden_remainder_z
      - .offset:         56
        .size:           8
        .value_kind:     hidden_global_offset_x
      - .offset:         64
        .size:           8
        .value_kind:     hidden_global_offset_y
      - .offset:         72
        .size:           8
        .value_kind:     hidden_global_offset_z
      - .offset:         80
        .size:           2
        .value_kind:     hidden_grid_dims
    .group_segment_fixed_size: 2064
    .kernarg_segment_align: 8
    .kernarg_segment_size: 272
    .language:       OpenCL C
    .language_version:
      - 2
      - 0
    .max_flat_workgroup_size: 128
    .name:           _Z16sort_keys_kernelI22helper_blocked_blockedN15benchmark_utils11custom_typeIiiEELj128ELj1ELj10EEvPKT0_PS4_
    .private_segment_fixed_size: 0
    .sgpr_count:     41
    .sgpr_spill_count: 0
    .symbol:         _Z16sort_keys_kernelI22helper_blocked_blockedN15benchmark_utils11custom_typeIiiEELj128ELj1ELj10EEvPKT0_PS4_.kd
    .uniform_work_group_size: 1
    .uses_dynamic_stack: false
    .vgpr_count:     33
    .vgpr_spill_count: 0
    .wavefront_size: 64
  - .args:
      - .address_space:  global
        .offset:         0
        .size:           8
        .value_kind:     global_buffer
      - .address_space:  global
        .offset:         8
        .size:           8
        .value_kind:     global_buffer
      - .offset:         16
        .size:           4
        .value_kind:     hidden_block_count_x
      - .offset:         20
        .size:           4
        .value_kind:     hidden_block_count_y
      - .offset:         24
        .size:           4
        .value_kind:     hidden_block_count_z
      - .offset:         28
        .size:           2
        .value_kind:     hidden_group_size_x
      - .offset:         30
        .size:           2
        .value_kind:     hidden_group_size_y
      - .offset:         32
        .size:           2
        .value_kind:     hidden_group_size_z
      - .offset:         34
        .size:           2
        .value_kind:     hidden_remainder_x
      - .offset:         36
        .size:           2
        .value_kind:     hidden_remainder_y
      - .offset:         38
        .size:           2
        .value_kind:     hidden_remainder_z
      - .offset:         56
        .size:           8
        .value_kind:     hidden_global_offset_x
      - .offset:         64
        .size:           8
        .value_kind:     hidden_global_offset_y
      - .offset:         72
        .size:           8
        .value_kind:     hidden_global_offset_z
      - .offset:         80
        .size:           2
        .value_kind:     hidden_grid_dims
    .group_segment_fixed_size: 2064
    .kernarg_segment_align: 8
    .kernarg_segment_size: 272
    .language:       OpenCL C
    .language_version:
      - 2
      - 0
    .max_flat_workgroup_size: 128
    .name:           _Z17sort_pairs_kernelI22helper_blocked_blockedN15benchmark_utils11custom_typeIiiEELj128ELj1ELj10EEvPKT0_PS4_
    .private_segment_fixed_size: 0
    .sgpr_count:     47
    .sgpr_spill_count: 0
    .symbol:         _Z17sort_pairs_kernelI22helper_blocked_blockedN15benchmark_utils11custom_typeIiiEELj128ELj1ELj10EEvPKT0_PS4_.kd
    .uniform_work_group_size: 1
    .uses_dynamic_stack: false
    .vgpr_count:     31
    .vgpr_spill_count: 0
    .wavefront_size: 64
  - .args:
      - .address_space:  global
        .offset:         0
        .size:           8
        .value_kind:     global_buffer
      - .address_space:  global
        .offset:         8
        .size:           8
        .value_kind:     global_buffer
      - .offset:         16
        .size:           4
        .value_kind:     hidden_block_count_x
      - .offset:         20
        .size:           4
        .value_kind:     hidden_block_count_y
      - .offset:         24
        .size:           4
        .value_kind:     hidden_block_count_z
      - .offset:         28
        .size:           2
        .value_kind:     hidden_group_size_x
      - .offset:         30
        .size:           2
        .value_kind:     hidden_group_size_y
      - .offset:         32
        .size:           2
        .value_kind:     hidden_group_size_z
      - .offset:         34
        .size:           2
        .value_kind:     hidden_remainder_x
      - .offset:         36
        .size:           2
        .value_kind:     hidden_remainder_y
      - .offset:         38
        .size:           2
        .value_kind:     hidden_remainder_z
      - .offset:         56
        .size:           8
        .value_kind:     hidden_global_offset_x
      - .offset:         64
        .size:           8
        .value_kind:     hidden_global_offset_y
      - .offset:         72
        .size:           8
        .value_kind:     hidden_global_offset_z
      - .offset:         80
        .size:           2
        .value_kind:     hidden_grid_dims
    .group_segment_fixed_size: 3072
    .kernarg_segment_align: 8
    .kernarg_segment_size: 272
    .language:       OpenCL C
    .language_version:
      - 2
      - 0
    .max_flat_workgroup_size: 128
    .name:           _Z16sort_keys_kernelI22helper_blocked_blockedN15benchmark_utils11custom_typeIiiEELj128ELj3ELj10EEvPKT0_PS4_
    .private_segment_fixed_size: 0
    .sgpr_count:     51
    .sgpr_spill_count: 0
    .symbol:         _Z16sort_keys_kernelI22helper_blocked_blockedN15benchmark_utils11custom_typeIiiEELj128ELj3ELj10EEvPKT0_PS4_.kd
    .uniform_work_group_size: 1
    .uses_dynamic_stack: false
    .vgpr_count:     31
    .vgpr_spill_count: 0
    .wavefront_size: 64
  - .args:
      - .address_space:  global
        .offset:         0
        .size:           8
        .value_kind:     global_buffer
      - .address_space:  global
        .offset:         8
        .size:           8
        .value_kind:     global_buffer
      - .offset:         16
        .size:           4
        .value_kind:     hidden_block_count_x
      - .offset:         20
        .size:           4
        .value_kind:     hidden_block_count_y
      - .offset:         24
        .size:           4
        .value_kind:     hidden_block_count_z
      - .offset:         28
        .size:           2
        .value_kind:     hidden_group_size_x
      - .offset:         30
        .size:           2
        .value_kind:     hidden_group_size_y
      - .offset:         32
        .size:           2
        .value_kind:     hidden_group_size_z
      - .offset:         34
        .size:           2
        .value_kind:     hidden_remainder_x
      - .offset:         36
        .size:           2
        .value_kind:     hidden_remainder_y
      - .offset:         38
        .size:           2
        .value_kind:     hidden_remainder_z
      - .offset:         56
        .size:           8
        .value_kind:     hidden_global_offset_x
      - .offset:         64
        .size:           8
        .value_kind:     hidden_global_offset_y
      - .offset:         72
        .size:           8
        .value_kind:     hidden_global_offset_z
      - .offset:         80
        .size:           2
        .value_kind:     hidden_grid_dims
    .group_segment_fixed_size: 3072
    .kernarg_segment_align: 8
    .kernarg_segment_size: 272
    .language:       OpenCL C
    .language_version:
      - 2
      - 0
    .max_flat_workgroup_size: 128
    .name:           _Z17sort_pairs_kernelI22helper_blocked_blockedN15benchmark_utils11custom_typeIiiEELj128ELj3ELj10EEvPKT0_PS4_
    .private_segment_fixed_size: 0
    .sgpr_count:     51
    .sgpr_spill_count: 0
    .symbol:         _Z17sort_pairs_kernelI22helper_blocked_blockedN15benchmark_utils11custom_typeIiiEELj128ELj3ELj10EEvPKT0_PS4_.kd
    .uniform_work_group_size: 1
    .uses_dynamic_stack: false
    .vgpr_count:     39
    .vgpr_spill_count: 0
    .wavefront_size: 64
  - .args:
      - .address_space:  global
        .offset:         0
        .size:           8
        .value_kind:     global_buffer
      - .address_space:  global
        .offset:         8
        .size:           8
        .value_kind:     global_buffer
      - .offset:         16
        .size:           4
        .value_kind:     hidden_block_count_x
      - .offset:         20
        .size:           4
        .value_kind:     hidden_block_count_y
      - .offset:         24
        .size:           4
        .value_kind:     hidden_block_count_z
      - .offset:         28
        .size:           2
        .value_kind:     hidden_group_size_x
      - .offset:         30
        .size:           2
        .value_kind:     hidden_group_size_y
      - .offset:         32
        .size:           2
        .value_kind:     hidden_group_size_z
      - .offset:         34
        .size:           2
        .value_kind:     hidden_remainder_x
      - .offset:         36
        .size:           2
        .value_kind:     hidden_remainder_y
      - .offset:         38
        .size:           2
        .value_kind:     hidden_remainder_z
      - .offset:         56
        .size:           8
        .value_kind:     hidden_global_offset_x
      - .offset:         64
        .size:           8
        .value_kind:     hidden_global_offset_y
      - .offset:         72
        .size:           8
        .value_kind:     hidden_global_offset_z
      - .offset:         80
        .size:           2
        .value_kind:     hidden_grid_dims
    .group_segment_fixed_size: 4096
    .kernarg_segment_align: 8
    .kernarg_segment_size: 272
    .language:       OpenCL C
    .language_version:
      - 2
      - 0
    .max_flat_workgroup_size: 128
    .name:           _Z16sort_keys_kernelI22helper_blocked_blockedN15benchmark_utils11custom_typeIiiEELj128ELj4ELj10EEvPKT0_PS4_
    .private_segment_fixed_size: 0
    .sgpr_count:     55
    .sgpr_spill_count: 0
    .symbol:         _Z16sort_keys_kernelI22helper_blocked_blockedN15benchmark_utils11custom_typeIiiEELj128ELj4ELj10EEvPKT0_PS4_.kd
    .uniform_work_group_size: 1
    .uses_dynamic_stack: false
    .vgpr_count:     43
    .vgpr_spill_count: 0
    .wavefront_size: 64
  - .args:
      - .address_space:  global
        .offset:         0
        .size:           8
        .value_kind:     global_buffer
      - .address_space:  global
        .offset:         8
        .size:           8
        .value_kind:     global_buffer
      - .offset:         16
        .size:           4
        .value_kind:     hidden_block_count_x
      - .offset:         20
        .size:           4
        .value_kind:     hidden_block_count_y
      - .offset:         24
        .size:           4
        .value_kind:     hidden_block_count_z
      - .offset:         28
        .size:           2
        .value_kind:     hidden_group_size_x
      - .offset:         30
        .size:           2
        .value_kind:     hidden_group_size_y
      - .offset:         32
        .size:           2
        .value_kind:     hidden_group_size_z
      - .offset:         34
        .size:           2
        .value_kind:     hidden_remainder_x
      - .offset:         36
        .size:           2
        .value_kind:     hidden_remainder_y
      - .offset:         38
        .size:           2
        .value_kind:     hidden_remainder_z
      - .offset:         56
        .size:           8
        .value_kind:     hidden_global_offset_x
      - .offset:         64
        .size:           8
        .value_kind:     hidden_global_offset_y
      - .offset:         72
        .size:           8
        .value_kind:     hidden_global_offset_z
      - .offset:         80
        .size:           2
        .value_kind:     hidden_grid_dims
    .group_segment_fixed_size: 4096
    .kernarg_segment_align: 8
    .kernarg_segment_size: 272
    .language:       OpenCL C
    .language_version:
      - 2
      - 0
    .max_flat_workgroup_size: 128
    .name:           _Z17sort_pairs_kernelI22helper_blocked_blockedN15benchmark_utils11custom_typeIiiEELj128ELj4ELj10EEvPKT0_PS4_
    .private_segment_fixed_size: 0
    .sgpr_count:     59
    .sgpr_spill_count: 0
    .symbol:         _Z17sort_pairs_kernelI22helper_blocked_blockedN15benchmark_utils11custom_typeIiiEELj128ELj4ELj10EEvPKT0_PS4_.kd
    .uniform_work_group_size: 1
    .uses_dynamic_stack: false
    .vgpr_count:     62
    .vgpr_spill_count: 0
    .wavefront_size: 64
  - .args:
      - .address_space:  global
        .offset:         0
        .size:           8
        .value_kind:     global_buffer
      - .address_space:  global
        .offset:         8
        .size:           8
        .value_kind:     global_buffer
      - .offset:         16
        .size:           4
        .value_kind:     hidden_block_count_x
      - .offset:         20
        .size:           4
        .value_kind:     hidden_block_count_y
      - .offset:         24
        .size:           4
        .value_kind:     hidden_block_count_z
      - .offset:         28
        .size:           2
        .value_kind:     hidden_group_size_x
      - .offset:         30
        .size:           2
        .value_kind:     hidden_group_size_y
      - .offset:         32
        .size:           2
        .value_kind:     hidden_group_size_z
      - .offset:         34
        .size:           2
        .value_kind:     hidden_remainder_x
      - .offset:         36
        .size:           2
        .value_kind:     hidden_remainder_y
      - .offset:         38
        .size:           2
        .value_kind:     hidden_remainder_z
      - .offset:         56
        .size:           8
        .value_kind:     hidden_global_offset_x
      - .offset:         64
        .size:           8
        .value_kind:     hidden_global_offset_y
      - .offset:         72
        .size:           8
        .value_kind:     hidden_global_offset_z
      - .offset:         80
        .size:           2
        .value_kind:     hidden_grid_dims
    .group_segment_fixed_size: 8192
    .kernarg_segment_align: 8
    .kernarg_segment_size: 272
    .language:       OpenCL C
    .language_version:
      - 2
      - 0
    .max_flat_workgroup_size: 128
    .name:           _Z16sort_keys_kernelI22helper_blocked_blockedN15benchmark_utils11custom_typeIiiEELj128ELj8ELj10EEvPKT0_PS4_
    .private_segment_fixed_size: 0
    .sgpr_count:     47
    .sgpr_spill_count: 0
    .symbol:         _Z16sort_keys_kernelI22helper_blocked_blockedN15benchmark_utils11custom_typeIiiEELj128ELj8ELj10EEvPKT0_PS4_.kd
    .uniform_work_group_size: 1
    .uses_dynamic_stack: false
    .vgpr_count:     60
    .vgpr_spill_count: 0
    .wavefront_size: 64
  - .args:
      - .address_space:  global
        .offset:         0
        .size:           8
        .value_kind:     global_buffer
      - .address_space:  global
        .offset:         8
        .size:           8
        .value_kind:     global_buffer
      - .offset:         16
        .size:           4
        .value_kind:     hidden_block_count_x
      - .offset:         20
        .size:           4
        .value_kind:     hidden_block_count_y
      - .offset:         24
        .size:           4
        .value_kind:     hidden_block_count_z
      - .offset:         28
        .size:           2
        .value_kind:     hidden_group_size_x
      - .offset:         30
        .size:           2
        .value_kind:     hidden_group_size_y
      - .offset:         32
        .size:           2
        .value_kind:     hidden_group_size_z
      - .offset:         34
        .size:           2
        .value_kind:     hidden_remainder_x
      - .offset:         36
        .size:           2
        .value_kind:     hidden_remainder_y
      - .offset:         38
        .size:           2
        .value_kind:     hidden_remainder_z
      - .offset:         56
        .size:           8
        .value_kind:     hidden_global_offset_x
      - .offset:         64
        .size:           8
        .value_kind:     hidden_global_offset_y
      - .offset:         72
        .size:           8
        .value_kind:     hidden_global_offset_z
      - .offset:         80
        .size:           2
        .value_kind:     hidden_grid_dims
    .group_segment_fixed_size: 8192
    .kernarg_segment_align: 8
    .kernarg_segment_size: 272
    .language:       OpenCL C
    .language_version:
      - 2
      - 0
    .max_flat_workgroup_size: 128
    .name:           _Z17sort_pairs_kernelI22helper_blocked_blockedN15benchmark_utils11custom_typeIiiEELj128ELj8ELj10EEvPKT0_PS4_
    .private_segment_fixed_size: 0
    .sgpr_count:     51
    .sgpr_spill_count: 0
    .symbol:         _Z17sort_pairs_kernelI22helper_blocked_blockedN15benchmark_utils11custom_typeIiiEELj128ELj8ELj10EEvPKT0_PS4_.kd
    .uniform_work_group_size: 1
    .uses_dynamic_stack: false
    .vgpr_count:     83
    .vgpr_spill_count: 0
    .wavefront_size: 64
  - .args:
      - .address_space:  global
        .offset:         0
        .size:           8
        .value_kind:     global_buffer
      - .address_space:  global
        .offset:         8
        .size:           8
        .value_kind:     global_buffer
      - .offset:         16
        .size:           4
        .value_kind:     hidden_block_count_x
      - .offset:         20
        .size:           4
        .value_kind:     hidden_block_count_y
      - .offset:         24
        .size:           4
        .value_kind:     hidden_block_count_z
      - .offset:         28
        .size:           2
        .value_kind:     hidden_group_size_x
      - .offset:         30
        .size:           2
        .value_kind:     hidden_group_size_y
      - .offset:         32
        .size:           2
        .value_kind:     hidden_group_size_z
      - .offset:         34
        .size:           2
        .value_kind:     hidden_remainder_x
      - .offset:         36
        .size:           2
        .value_kind:     hidden_remainder_y
      - .offset:         38
        .size:           2
        .value_kind:     hidden_remainder_z
      - .offset:         56
        .size:           8
        .value_kind:     hidden_global_offset_x
      - .offset:         64
        .size:           8
        .value_kind:     hidden_global_offset_y
      - .offset:         72
        .size:           8
        .value_kind:     hidden_global_offset_z
      - .offset:         80
        .size:           2
        .value_kind:     hidden_grid_dims
    .group_segment_fixed_size: 3088
    .kernarg_segment_align: 8
    .kernarg_segment_size: 272
    .language:       OpenCL C
    .language_version:
      - 2
      - 0
    .max_flat_workgroup_size: 192
    .name:           _Z16sort_keys_kernelI22helper_blocked_blockedN15benchmark_utils11custom_typeIiiEELj192ELj1ELj10EEvPKT0_PS4_
    .private_segment_fixed_size: 0
    .sgpr_count:     40
    .sgpr_spill_count: 0
    .symbol:         _Z16sort_keys_kernelI22helper_blocked_blockedN15benchmark_utils11custom_typeIiiEELj192ELj1ELj10EEvPKT0_PS4_.kd
    .uniform_work_group_size: 1
    .uses_dynamic_stack: false
    .vgpr_count:     29
    .vgpr_spill_count: 0
    .wavefront_size: 64
  - .args:
      - .address_space:  global
        .offset:         0
        .size:           8
        .value_kind:     global_buffer
      - .address_space:  global
        .offset:         8
        .size:           8
        .value_kind:     global_buffer
      - .offset:         16
        .size:           4
        .value_kind:     hidden_block_count_x
      - .offset:         20
        .size:           4
        .value_kind:     hidden_block_count_y
      - .offset:         24
        .size:           4
        .value_kind:     hidden_block_count_z
      - .offset:         28
        .size:           2
        .value_kind:     hidden_group_size_x
      - .offset:         30
        .size:           2
        .value_kind:     hidden_group_size_y
      - .offset:         32
        .size:           2
        .value_kind:     hidden_group_size_z
      - .offset:         34
        .size:           2
        .value_kind:     hidden_remainder_x
      - .offset:         36
        .size:           2
        .value_kind:     hidden_remainder_y
      - .offset:         38
        .size:           2
        .value_kind:     hidden_remainder_z
      - .offset:         56
        .size:           8
        .value_kind:     hidden_global_offset_x
      - .offset:         64
        .size:           8
        .value_kind:     hidden_global_offset_y
      - .offset:         72
        .size:           8
        .value_kind:     hidden_global_offset_z
      - .offset:         80
        .size:           2
        .value_kind:     hidden_grid_dims
    .group_segment_fixed_size: 3088
    .kernarg_segment_align: 8
    .kernarg_segment_size: 272
    .language:       OpenCL C
    .language_version:
      - 2
      - 0
    .max_flat_workgroup_size: 192
    .name:           _Z17sort_pairs_kernelI22helper_blocked_blockedN15benchmark_utils11custom_typeIiiEELj192ELj1ELj10EEvPKT0_PS4_
    .private_segment_fixed_size: 0
    .sgpr_count:     45
    .sgpr_spill_count: 0
    .symbol:         _Z17sort_pairs_kernelI22helper_blocked_blockedN15benchmark_utils11custom_typeIiiEELj192ELj1ELj10EEvPKT0_PS4_.kd
    .uniform_work_group_size: 1
    .uses_dynamic_stack: false
    .vgpr_count:     27
    .vgpr_spill_count: 0
    .wavefront_size: 64
  - .args:
      - .address_space:  global
        .offset:         0
        .size:           8
        .value_kind:     global_buffer
      - .address_space:  global
        .offset:         8
        .size:           8
        .value_kind:     global_buffer
      - .offset:         16
        .size:           4
        .value_kind:     hidden_block_count_x
      - .offset:         20
        .size:           4
        .value_kind:     hidden_block_count_y
      - .offset:         24
        .size:           4
        .value_kind:     hidden_block_count_z
      - .offset:         28
        .size:           2
        .value_kind:     hidden_group_size_x
      - .offset:         30
        .size:           2
        .value_kind:     hidden_group_size_y
      - .offset:         32
        .size:           2
        .value_kind:     hidden_group_size_z
      - .offset:         34
        .size:           2
        .value_kind:     hidden_remainder_x
      - .offset:         36
        .size:           2
        .value_kind:     hidden_remainder_y
      - .offset:         38
        .size:           2
        .value_kind:     hidden_remainder_z
      - .offset:         56
        .size:           8
        .value_kind:     hidden_global_offset_x
      - .offset:         64
        .size:           8
        .value_kind:     hidden_global_offset_y
      - .offset:         72
        .size:           8
        .value_kind:     hidden_global_offset_z
      - .offset:         80
        .size:           2
        .value_kind:     hidden_grid_dims
    .group_segment_fixed_size: 4608
    .kernarg_segment_align: 8
    .kernarg_segment_size: 272
    .language:       OpenCL C
    .language_version:
      - 2
      - 0
    .max_flat_workgroup_size: 192
    .name:           _Z16sort_keys_kernelI22helper_blocked_blockedN15benchmark_utils11custom_typeIiiEELj192ELj3ELj10EEvPKT0_PS4_
    .private_segment_fixed_size: 0
    .sgpr_count:     49
    .sgpr_spill_count: 0
    .symbol:         _Z16sort_keys_kernelI22helper_blocked_blockedN15benchmark_utils11custom_typeIiiEELj192ELj3ELj10EEvPKT0_PS4_.kd
    .uniform_work_group_size: 1
    .uses_dynamic_stack: false
    .vgpr_count:     31
    .vgpr_spill_count: 0
    .wavefront_size: 64
  - .args:
      - .address_space:  global
        .offset:         0
        .size:           8
        .value_kind:     global_buffer
      - .address_space:  global
        .offset:         8
        .size:           8
        .value_kind:     global_buffer
      - .offset:         16
        .size:           4
        .value_kind:     hidden_block_count_x
      - .offset:         20
        .size:           4
        .value_kind:     hidden_block_count_y
      - .offset:         24
        .size:           4
        .value_kind:     hidden_block_count_z
      - .offset:         28
        .size:           2
        .value_kind:     hidden_group_size_x
      - .offset:         30
        .size:           2
        .value_kind:     hidden_group_size_y
      - .offset:         32
        .size:           2
        .value_kind:     hidden_group_size_z
      - .offset:         34
        .size:           2
        .value_kind:     hidden_remainder_x
      - .offset:         36
        .size:           2
        .value_kind:     hidden_remainder_y
      - .offset:         38
        .size:           2
        .value_kind:     hidden_remainder_z
      - .offset:         56
        .size:           8
        .value_kind:     hidden_global_offset_x
      - .offset:         64
        .size:           8
        .value_kind:     hidden_global_offset_y
      - .offset:         72
        .size:           8
        .value_kind:     hidden_global_offset_z
      - .offset:         80
        .size:           2
        .value_kind:     hidden_grid_dims
    .group_segment_fixed_size: 4608
    .kernarg_segment_align: 8
    .kernarg_segment_size: 272
    .language:       OpenCL C
    .language_version:
      - 2
      - 0
    .max_flat_workgroup_size: 192
    .name:           _Z17sort_pairs_kernelI22helper_blocked_blockedN15benchmark_utils11custom_typeIiiEELj192ELj3ELj10EEvPKT0_PS4_
    .private_segment_fixed_size: 0
    .sgpr_count:     49
    .sgpr_spill_count: 0
    .symbol:         _Z17sort_pairs_kernelI22helper_blocked_blockedN15benchmark_utils11custom_typeIiiEELj192ELj3ELj10EEvPKT0_PS4_.kd
    .uniform_work_group_size: 1
    .uses_dynamic_stack: false
    .vgpr_count:     39
    .vgpr_spill_count: 0
    .wavefront_size: 64
  - .args:
      - .address_space:  global
        .offset:         0
        .size:           8
        .value_kind:     global_buffer
      - .address_space:  global
        .offset:         8
        .size:           8
        .value_kind:     global_buffer
      - .offset:         16
        .size:           4
        .value_kind:     hidden_block_count_x
      - .offset:         20
        .size:           4
        .value_kind:     hidden_block_count_y
      - .offset:         24
        .size:           4
        .value_kind:     hidden_block_count_z
      - .offset:         28
        .size:           2
        .value_kind:     hidden_group_size_x
      - .offset:         30
        .size:           2
        .value_kind:     hidden_group_size_y
      - .offset:         32
        .size:           2
        .value_kind:     hidden_group_size_z
      - .offset:         34
        .size:           2
        .value_kind:     hidden_remainder_x
      - .offset:         36
        .size:           2
        .value_kind:     hidden_remainder_y
      - .offset:         38
        .size:           2
        .value_kind:     hidden_remainder_z
      - .offset:         56
        .size:           8
        .value_kind:     hidden_global_offset_x
      - .offset:         64
        .size:           8
        .value_kind:     hidden_global_offset_y
      - .offset:         72
        .size:           8
        .value_kind:     hidden_global_offset_z
      - .offset:         80
        .size:           2
        .value_kind:     hidden_grid_dims
    .group_segment_fixed_size: 6336
    .kernarg_segment_align: 8
    .kernarg_segment_size: 272
    .language:       OpenCL C
    .language_version:
      - 2
      - 0
    .max_flat_workgroup_size: 192
    .name:           _Z16sort_keys_kernelI22helper_blocked_blockedN15benchmark_utils11custom_typeIiiEELj192ELj4ELj10EEvPKT0_PS4_
    .private_segment_fixed_size: 0
    .sgpr_count:     55
    .sgpr_spill_count: 0
    .symbol:         _Z16sort_keys_kernelI22helper_blocked_blockedN15benchmark_utils11custom_typeIiiEELj192ELj4ELj10EEvPKT0_PS4_.kd
    .uniform_work_group_size: 1
    .uses_dynamic_stack: false
    .vgpr_count:     42
    .vgpr_spill_count: 0
    .wavefront_size: 64
  - .args:
      - .address_space:  global
        .offset:         0
        .size:           8
        .value_kind:     global_buffer
      - .address_space:  global
        .offset:         8
        .size:           8
        .value_kind:     global_buffer
      - .offset:         16
        .size:           4
        .value_kind:     hidden_block_count_x
      - .offset:         20
        .size:           4
        .value_kind:     hidden_block_count_y
      - .offset:         24
        .size:           4
        .value_kind:     hidden_block_count_z
      - .offset:         28
        .size:           2
        .value_kind:     hidden_group_size_x
      - .offset:         30
        .size:           2
        .value_kind:     hidden_group_size_y
      - .offset:         32
        .size:           2
        .value_kind:     hidden_group_size_z
      - .offset:         34
        .size:           2
        .value_kind:     hidden_remainder_x
      - .offset:         36
        .size:           2
        .value_kind:     hidden_remainder_y
      - .offset:         38
        .size:           2
        .value_kind:     hidden_remainder_z
      - .offset:         56
        .size:           8
        .value_kind:     hidden_global_offset_x
      - .offset:         64
        .size:           8
        .value_kind:     hidden_global_offset_y
      - .offset:         72
        .size:           8
        .value_kind:     hidden_global_offset_z
      - .offset:         80
        .size:           2
        .value_kind:     hidden_grid_dims
    .group_segment_fixed_size: 6336
    .kernarg_segment_align: 8
    .kernarg_segment_size: 272
    .language:       OpenCL C
    .language_version:
      - 2
      - 0
    .max_flat_workgroup_size: 192
    .name:           _Z17sort_pairs_kernelI22helper_blocked_blockedN15benchmark_utils11custom_typeIiiEELj192ELj4ELj10EEvPKT0_PS4_
    .private_segment_fixed_size: 0
    .sgpr_count:     55
    .sgpr_spill_count: 0
    .symbol:         _Z17sort_pairs_kernelI22helper_blocked_blockedN15benchmark_utils11custom_typeIiiEELj192ELj4ELj10EEvPKT0_PS4_.kd
    .uniform_work_group_size: 1
    .uses_dynamic_stack: false
    .vgpr_count:     53
    .vgpr_spill_count: 0
    .wavefront_size: 64
  - .args:
      - .address_space:  global
        .offset:         0
        .size:           8
        .value_kind:     global_buffer
      - .address_space:  global
        .offset:         8
        .size:           8
        .value_kind:     global_buffer
      - .offset:         16
        .size:           4
        .value_kind:     hidden_block_count_x
      - .offset:         20
        .size:           4
        .value_kind:     hidden_block_count_y
      - .offset:         24
        .size:           4
        .value_kind:     hidden_block_count_z
      - .offset:         28
        .size:           2
        .value_kind:     hidden_group_size_x
      - .offset:         30
        .size:           2
        .value_kind:     hidden_group_size_y
      - .offset:         32
        .size:           2
        .value_kind:     hidden_group_size_z
      - .offset:         34
        .size:           2
        .value_kind:     hidden_remainder_x
      - .offset:         36
        .size:           2
        .value_kind:     hidden_remainder_y
      - .offset:         38
        .size:           2
        .value_kind:     hidden_remainder_z
      - .offset:         56
        .size:           8
        .value_kind:     hidden_global_offset_x
      - .offset:         64
        .size:           8
        .value_kind:     hidden_global_offset_y
      - .offset:         72
        .size:           8
        .value_kind:     hidden_global_offset_z
      - .offset:         80
        .size:           2
        .value_kind:     hidden_grid_dims
    .group_segment_fixed_size: 12672
    .kernarg_segment_align: 8
    .kernarg_segment_size: 272
    .language:       OpenCL C
    .language_version:
      - 2
      - 0
    .max_flat_workgroup_size: 192
    .name:           _Z16sort_keys_kernelI22helper_blocked_blockedN15benchmark_utils11custom_typeIiiEELj192ELj8ELj10EEvPKT0_PS4_
    .private_segment_fixed_size: 0
    .sgpr_count:     49
    .sgpr_spill_count: 0
    .symbol:         _Z16sort_keys_kernelI22helper_blocked_blockedN15benchmark_utils11custom_typeIiiEELj192ELj8ELj10EEvPKT0_PS4_.kd
    .uniform_work_group_size: 1
    .uses_dynamic_stack: false
    .vgpr_count:     63
    .vgpr_spill_count: 0
    .wavefront_size: 64
  - .args:
      - .address_space:  global
        .offset:         0
        .size:           8
        .value_kind:     global_buffer
      - .address_space:  global
        .offset:         8
        .size:           8
        .value_kind:     global_buffer
      - .offset:         16
        .size:           4
        .value_kind:     hidden_block_count_x
      - .offset:         20
        .size:           4
        .value_kind:     hidden_block_count_y
      - .offset:         24
        .size:           4
        .value_kind:     hidden_block_count_z
      - .offset:         28
        .size:           2
        .value_kind:     hidden_group_size_x
      - .offset:         30
        .size:           2
        .value_kind:     hidden_group_size_y
      - .offset:         32
        .size:           2
        .value_kind:     hidden_group_size_z
      - .offset:         34
        .size:           2
        .value_kind:     hidden_remainder_x
      - .offset:         36
        .size:           2
        .value_kind:     hidden_remainder_y
      - .offset:         38
        .size:           2
        .value_kind:     hidden_remainder_z
      - .offset:         56
        .size:           8
        .value_kind:     hidden_global_offset_x
      - .offset:         64
        .size:           8
        .value_kind:     hidden_global_offset_y
      - .offset:         72
        .size:           8
        .value_kind:     hidden_global_offset_z
      - .offset:         80
        .size:           2
        .value_kind:     hidden_grid_dims
    .group_segment_fixed_size: 12672
    .kernarg_segment_align: 8
    .kernarg_segment_size: 272
    .language:       OpenCL C
    .language_version:
      - 2
      - 0
    .max_flat_workgroup_size: 192
    .name:           _Z17sort_pairs_kernelI22helper_blocked_blockedN15benchmark_utils11custom_typeIiiEELj192ELj8ELj10EEvPKT0_PS4_
    .private_segment_fixed_size: 0
    .sgpr_count:     49
    .sgpr_spill_count: 0
    .symbol:         _Z17sort_pairs_kernelI22helper_blocked_blockedN15benchmark_utils11custom_typeIiiEELj192ELj8ELj10EEvPKT0_PS4_.kd
    .uniform_work_group_size: 1
    .uses_dynamic_stack: false
    .vgpr_count:     90
    .vgpr_spill_count: 0
    .wavefront_size: 64
  - .args:
      - .address_space:  global
        .offset:         0
        .size:           8
        .value_kind:     global_buffer
      - .address_space:  global
        .offset:         8
        .size:           8
        .value_kind:     global_buffer
      - .offset:         16
        .size:           4
        .value_kind:     hidden_block_count_x
      - .offset:         20
        .size:           4
        .value_kind:     hidden_block_count_y
      - .offset:         24
        .size:           4
        .value_kind:     hidden_block_count_z
      - .offset:         28
        .size:           2
        .value_kind:     hidden_group_size_x
      - .offset:         30
        .size:           2
        .value_kind:     hidden_group_size_y
      - .offset:         32
        .size:           2
        .value_kind:     hidden_group_size_z
      - .offset:         34
        .size:           2
        .value_kind:     hidden_remainder_x
      - .offset:         36
        .size:           2
        .value_kind:     hidden_remainder_y
      - .offset:         38
        .size:           2
        .value_kind:     hidden_remainder_z
      - .offset:         56
        .size:           8
        .value_kind:     hidden_global_offset_x
      - .offset:         64
        .size:           8
        .value_kind:     hidden_global_offset_y
      - .offset:         72
        .size:           8
        .value_kind:     hidden_global_offset_z
      - .offset:         80
        .size:           2
        .value_kind:     hidden_grid_dims
    .group_segment_fixed_size: 4112
    .kernarg_segment_align: 8
    .kernarg_segment_size: 272
    .language:       OpenCL C
    .language_version:
      - 2
      - 0
    .max_flat_workgroup_size: 256
    .name:           _Z16sort_keys_kernelI22helper_blocked_blockedN15benchmark_utils11custom_typeIiiEELj256ELj1ELj10EEvPKT0_PS4_
    .private_segment_fixed_size: 0
    .sgpr_count:     43
    .sgpr_spill_count: 0
    .symbol:         _Z16sort_keys_kernelI22helper_blocked_blockedN15benchmark_utils11custom_typeIiiEELj256ELj1ELj10EEvPKT0_PS4_.kd
    .uniform_work_group_size: 1
    .uses_dynamic_stack: false
    .vgpr_count:     33
    .vgpr_spill_count: 0
    .wavefront_size: 64
  - .args:
      - .address_space:  global
        .offset:         0
        .size:           8
        .value_kind:     global_buffer
      - .address_space:  global
        .offset:         8
        .size:           8
        .value_kind:     global_buffer
      - .offset:         16
        .size:           4
        .value_kind:     hidden_block_count_x
      - .offset:         20
        .size:           4
        .value_kind:     hidden_block_count_y
      - .offset:         24
        .size:           4
        .value_kind:     hidden_block_count_z
      - .offset:         28
        .size:           2
        .value_kind:     hidden_group_size_x
      - .offset:         30
        .size:           2
        .value_kind:     hidden_group_size_y
      - .offset:         32
        .size:           2
        .value_kind:     hidden_group_size_z
      - .offset:         34
        .size:           2
        .value_kind:     hidden_remainder_x
      - .offset:         36
        .size:           2
        .value_kind:     hidden_remainder_y
      - .offset:         38
        .size:           2
        .value_kind:     hidden_remainder_z
      - .offset:         56
        .size:           8
        .value_kind:     hidden_global_offset_x
      - .offset:         64
        .size:           8
        .value_kind:     hidden_global_offset_y
      - .offset:         72
        .size:           8
        .value_kind:     hidden_global_offset_z
      - .offset:         80
        .size:           2
        .value_kind:     hidden_grid_dims
    .group_segment_fixed_size: 4112
    .kernarg_segment_align: 8
    .kernarg_segment_size: 272
    .language:       OpenCL C
    .language_version:
      - 2
      - 0
    .max_flat_workgroup_size: 256
    .name:           _Z17sort_pairs_kernelI22helper_blocked_blockedN15benchmark_utils11custom_typeIiiEELj256ELj1ELj10EEvPKT0_PS4_
    .private_segment_fixed_size: 0
    .sgpr_count:     49
    .sgpr_spill_count: 0
    .symbol:         _Z17sort_pairs_kernelI22helper_blocked_blockedN15benchmark_utils11custom_typeIiiEELj256ELj1ELj10EEvPKT0_PS4_.kd
    .uniform_work_group_size: 1
    .uses_dynamic_stack: false
    .vgpr_count:     31
    .vgpr_spill_count: 0
    .wavefront_size: 64
  - .args:
      - .address_space:  global
        .offset:         0
        .size:           8
        .value_kind:     global_buffer
      - .address_space:  global
        .offset:         8
        .size:           8
        .value_kind:     global_buffer
      - .offset:         16
        .size:           4
        .value_kind:     hidden_block_count_x
      - .offset:         20
        .size:           4
        .value_kind:     hidden_block_count_y
      - .offset:         24
        .size:           4
        .value_kind:     hidden_block_count_z
      - .offset:         28
        .size:           2
        .value_kind:     hidden_group_size_x
      - .offset:         30
        .size:           2
        .value_kind:     hidden_group_size_y
      - .offset:         32
        .size:           2
        .value_kind:     hidden_group_size_z
      - .offset:         34
        .size:           2
        .value_kind:     hidden_remainder_x
      - .offset:         36
        .size:           2
        .value_kind:     hidden_remainder_y
      - .offset:         38
        .size:           2
        .value_kind:     hidden_remainder_z
      - .offset:         56
        .size:           8
        .value_kind:     hidden_global_offset_x
      - .offset:         64
        .size:           8
        .value_kind:     hidden_global_offset_y
      - .offset:         72
        .size:           8
        .value_kind:     hidden_global_offset_z
      - .offset:         80
        .size:           2
        .value_kind:     hidden_grid_dims
    .group_segment_fixed_size: 6144
    .kernarg_segment_align: 8
    .kernarg_segment_size: 272
    .language:       OpenCL C
    .language_version:
      - 2
      - 0
    .max_flat_workgroup_size: 256
    .name:           _Z16sort_keys_kernelI22helper_blocked_blockedN15benchmark_utils11custom_typeIiiEELj256ELj3ELj10EEvPKT0_PS4_
    .private_segment_fixed_size: 0
    .sgpr_count:     49
    .sgpr_spill_count: 0
    .symbol:         _Z16sort_keys_kernelI22helper_blocked_blockedN15benchmark_utils11custom_typeIiiEELj256ELj3ELj10EEvPKT0_PS4_.kd
    .uniform_work_group_size: 1
    .uses_dynamic_stack: false
    .vgpr_count:     35
    .vgpr_spill_count: 0
    .wavefront_size: 64
  - .args:
      - .address_space:  global
        .offset:         0
        .size:           8
        .value_kind:     global_buffer
      - .address_space:  global
        .offset:         8
        .size:           8
        .value_kind:     global_buffer
      - .offset:         16
        .size:           4
        .value_kind:     hidden_block_count_x
      - .offset:         20
        .size:           4
        .value_kind:     hidden_block_count_y
      - .offset:         24
        .size:           4
        .value_kind:     hidden_block_count_z
      - .offset:         28
        .size:           2
        .value_kind:     hidden_group_size_x
      - .offset:         30
        .size:           2
        .value_kind:     hidden_group_size_y
      - .offset:         32
        .size:           2
        .value_kind:     hidden_group_size_z
      - .offset:         34
        .size:           2
        .value_kind:     hidden_remainder_x
      - .offset:         36
        .size:           2
        .value_kind:     hidden_remainder_y
      - .offset:         38
        .size:           2
        .value_kind:     hidden_remainder_z
      - .offset:         56
        .size:           8
        .value_kind:     hidden_global_offset_x
      - .offset:         64
        .size:           8
        .value_kind:     hidden_global_offset_y
      - .offset:         72
        .size:           8
        .value_kind:     hidden_global_offset_z
      - .offset:         80
        .size:           2
        .value_kind:     hidden_grid_dims
    .group_segment_fixed_size: 6144
    .kernarg_segment_align: 8
    .kernarg_segment_size: 272
    .language:       OpenCL C
    .language_version:
      - 2
      - 0
    .max_flat_workgroup_size: 256
    .name:           _Z17sort_pairs_kernelI22helper_blocked_blockedN15benchmark_utils11custom_typeIiiEELj256ELj3ELj10EEvPKT0_PS4_
    .private_segment_fixed_size: 0
    .sgpr_count:     49
    .sgpr_spill_count: 0
    .symbol:         _Z17sort_pairs_kernelI22helper_blocked_blockedN15benchmark_utils11custom_typeIiiEELj256ELj3ELj10EEvPKT0_PS4_.kd
    .uniform_work_group_size: 1
    .uses_dynamic_stack: false
    .vgpr_count:     43
    .vgpr_spill_count: 0
    .wavefront_size: 64
  - .args:
      - .address_space:  global
        .offset:         0
        .size:           8
        .value_kind:     global_buffer
      - .address_space:  global
        .offset:         8
        .size:           8
        .value_kind:     global_buffer
      - .offset:         16
        .size:           4
        .value_kind:     hidden_block_count_x
      - .offset:         20
        .size:           4
        .value_kind:     hidden_block_count_y
      - .offset:         24
        .size:           4
        .value_kind:     hidden_block_count_z
      - .offset:         28
        .size:           2
        .value_kind:     hidden_group_size_x
      - .offset:         30
        .size:           2
        .value_kind:     hidden_group_size_y
      - .offset:         32
        .size:           2
        .value_kind:     hidden_group_size_z
      - .offset:         34
        .size:           2
        .value_kind:     hidden_remainder_x
      - .offset:         36
        .size:           2
        .value_kind:     hidden_remainder_y
      - .offset:         38
        .size:           2
        .value_kind:     hidden_remainder_z
      - .offset:         56
        .size:           8
        .value_kind:     hidden_global_offset_x
      - .offset:         64
        .size:           8
        .value_kind:     hidden_global_offset_y
      - .offset:         72
        .size:           8
        .value_kind:     hidden_global_offset_z
      - .offset:         80
        .size:           2
        .value_kind:     hidden_grid_dims
    .group_segment_fixed_size: 8192
    .kernarg_segment_align: 8
    .kernarg_segment_size: 272
    .language:       OpenCL C
    .language_version:
      - 2
      - 0
    .max_flat_workgroup_size: 256
    .name:           _Z16sort_keys_kernelI22helper_blocked_blockedN15benchmark_utils11custom_typeIiiEELj256ELj4ELj10EEvPKT0_PS4_
    .private_segment_fixed_size: 0
    .sgpr_count:     55
    .sgpr_spill_count: 0
    .symbol:         _Z16sort_keys_kernelI22helper_blocked_blockedN15benchmark_utils11custom_typeIiiEELj256ELj4ELj10EEvPKT0_PS4_.kd
    .uniform_work_group_size: 1
    .uses_dynamic_stack: false
    .vgpr_count:     43
    .vgpr_spill_count: 0
    .wavefront_size: 64
  - .args:
      - .address_space:  global
        .offset:         0
        .size:           8
        .value_kind:     global_buffer
      - .address_space:  global
        .offset:         8
        .size:           8
        .value_kind:     global_buffer
      - .offset:         16
        .size:           4
        .value_kind:     hidden_block_count_x
      - .offset:         20
        .size:           4
        .value_kind:     hidden_block_count_y
      - .offset:         24
        .size:           4
        .value_kind:     hidden_block_count_z
      - .offset:         28
        .size:           2
        .value_kind:     hidden_group_size_x
      - .offset:         30
        .size:           2
        .value_kind:     hidden_group_size_y
      - .offset:         32
        .size:           2
        .value_kind:     hidden_group_size_z
      - .offset:         34
        .size:           2
        .value_kind:     hidden_remainder_x
      - .offset:         36
        .size:           2
        .value_kind:     hidden_remainder_y
      - .offset:         38
        .size:           2
        .value_kind:     hidden_remainder_z
      - .offset:         56
        .size:           8
        .value_kind:     hidden_global_offset_x
      - .offset:         64
        .size:           8
        .value_kind:     hidden_global_offset_y
      - .offset:         72
        .size:           8
        .value_kind:     hidden_global_offset_z
      - .offset:         80
        .size:           2
        .value_kind:     hidden_grid_dims
    .group_segment_fixed_size: 8192
    .kernarg_segment_align: 8
    .kernarg_segment_size: 272
    .language:       OpenCL C
    .language_version:
      - 2
      - 0
    .max_flat_workgroup_size: 256
    .name:           _Z17sort_pairs_kernelI22helper_blocked_blockedN15benchmark_utils11custom_typeIiiEELj256ELj4ELj10EEvPKT0_PS4_
    .private_segment_fixed_size: 0
    .sgpr_count:     55
    .sgpr_spill_count: 0
    .symbol:         _Z17sort_pairs_kernelI22helper_blocked_blockedN15benchmark_utils11custom_typeIiiEELj256ELj4ELj10EEvPKT0_PS4_.kd
    .uniform_work_group_size: 1
    .uses_dynamic_stack: false
    .vgpr_count:     54
    .vgpr_spill_count: 0
    .wavefront_size: 64
  - .args:
      - .address_space:  global
        .offset:         0
        .size:           8
        .value_kind:     global_buffer
      - .address_space:  global
        .offset:         8
        .size:           8
        .value_kind:     global_buffer
      - .offset:         16
        .size:           4
        .value_kind:     hidden_block_count_x
      - .offset:         20
        .size:           4
        .value_kind:     hidden_block_count_y
      - .offset:         24
        .size:           4
        .value_kind:     hidden_block_count_z
      - .offset:         28
        .size:           2
        .value_kind:     hidden_group_size_x
      - .offset:         30
        .size:           2
        .value_kind:     hidden_group_size_y
      - .offset:         32
        .size:           2
        .value_kind:     hidden_group_size_z
      - .offset:         34
        .size:           2
        .value_kind:     hidden_remainder_x
      - .offset:         36
        .size:           2
        .value_kind:     hidden_remainder_y
      - .offset:         38
        .size:           2
        .value_kind:     hidden_remainder_z
      - .offset:         56
        .size:           8
        .value_kind:     hidden_global_offset_x
      - .offset:         64
        .size:           8
        .value_kind:     hidden_global_offset_y
      - .offset:         72
        .size:           8
        .value_kind:     hidden_global_offset_z
      - .offset:         80
        .size:           2
        .value_kind:     hidden_grid_dims
    .group_segment_fixed_size: 16384
    .kernarg_segment_align: 8
    .kernarg_segment_size: 272
    .language:       OpenCL C
    .language_version:
      - 2
      - 0
    .max_flat_workgroup_size: 256
    .name:           _Z16sort_keys_kernelI22helper_blocked_blockedN15benchmark_utils11custom_typeIiiEELj256ELj8ELj10EEvPKT0_PS4_
    .private_segment_fixed_size: 0
    .sgpr_count:     49
    .sgpr_spill_count: 0
    .symbol:         _Z16sort_keys_kernelI22helper_blocked_blockedN15benchmark_utils11custom_typeIiiEELj256ELj8ELj10EEvPKT0_PS4_.kd
    .uniform_work_group_size: 1
    .uses_dynamic_stack: false
    .vgpr_count:     60
    .vgpr_spill_count: 0
    .wavefront_size: 64
  - .args:
      - .address_space:  global
        .offset:         0
        .size:           8
        .value_kind:     global_buffer
      - .address_space:  global
        .offset:         8
        .size:           8
        .value_kind:     global_buffer
      - .offset:         16
        .size:           4
        .value_kind:     hidden_block_count_x
      - .offset:         20
        .size:           4
        .value_kind:     hidden_block_count_y
      - .offset:         24
        .size:           4
        .value_kind:     hidden_block_count_z
      - .offset:         28
        .size:           2
        .value_kind:     hidden_group_size_x
      - .offset:         30
        .size:           2
        .value_kind:     hidden_group_size_y
      - .offset:         32
        .size:           2
        .value_kind:     hidden_group_size_z
      - .offset:         34
        .size:           2
        .value_kind:     hidden_remainder_x
      - .offset:         36
        .size:           2
        .value_kind:     hidden_remainder_y
      - .offset:         38
        .size:           2
        .value_kind:     hidden_remainder_z
      - .offset:         56
        .size:           8
        .value_kind:     hidden_global_offset_x
      - .offset:         64
        .size:           8
        .value_kind:     hidden_global_offset_y
      - .offset:         72
        .size:           8
        .value_kind:     hidden_global_offset_z
      - .offset:         80
        .size:           2
        .value_kind:     hidden_grid_dims
    .group_segment_fixed_size: 16384
    .kernarg_segment_align: 8
    .kernarg_segment_size: 272
    .language:       OpenCL C
    .language_version:
      - 2
      - 0
    .max_flat_workgroup_size: 256
    .name:           _Z17sort_pairs_kernelI22helper_blocked_blockedN15benchmark_utils11custom_typeIiiEELj256ELj8ELj10EEvPKT0_PS4_
    .private_segment_fixed_size: 0
    .sgpr_count:     49
    .sgpr_spill_count: 0
    .symbol:         _Z17sort_pairs_kernelI22helper_blocked_blockedN15benchmark_utils11custom_typeIiiEELj256ELj8ELj10EEvPKT0_PS4_.kd
    .uniform_work_group_size: 1
    .uses_dynamic_stack: false
    .vgpr_count:     87
    .vgpr_spill_count: 0
    .wavefront_size: 64
  - .args:
      - .address_space:  global
        .offset:         0
        .size:           8
        .value_kind:     global_buffer
      - .address_space:  global
        .offset:         8
        .size:           8
        .value_kind:     global_buffer
      - .offset:         16
        .size:           4
        .value_kind:     hidden_block_count_x
      - .offset:         20
        .size:           4
        .value_kind:     hidden_block_count_y
      - .offset:         24
        .size:           4
        .value_kind:     hidden_block_count_z
      - .offset:         28
        .size:           2
        .value_kind:     hidden_group_size_x
      - .offset:         30
        .size:           2
        .value_kind:     hidden_group_size_y
      - .offset:         32
        .size:           2
        .value_kind:     hidden_group_size_z
      - .offset:         34
        .size:           2
        .value_kind:     hidden_remainder_x
      - .offset:         36
        .size:           2
        .value_kind:     hidden_remainder_y
      - .offset:         38
        .size:           2
        .value_kind:     hidden_remainder_z
      - .offset:         56
        .size:           8
        .value_kind:     hidden_global_offset_x
      - .offset:         64
        .size:           8
        .value_kind:     hidden_global_offset_y
      - .offset:         72
        .size:           8
        .value_kind:     hidden_global_offset_z
      - .offset:         80
        .size:           2
        .value_kind:     hidden_grid_dims
    .group_segment_fixed_size: 5152
    .kernarg_segment_align: 8
    .kernarg_segment_size: 272
    .language:       OpenCL C
    .language_version:
      - 2
      - 0
    .max_flat_workgroup_size: 320
    .name:           _Z16sort_keys_kernelI22helper_blocked_blockedN15benchmark_utils11custom_typeIiiEELj320ELj1ELj10EEvPKT0_PS4_
    .private_segment_fixed_size: 0
    .sgpr_count:     41
    .sgpr_spill_count: 0
    .symbol:         _Z16sort_keys_kernelI22helper_blocked_blockedN15benchmark_utils11custom_typeIiiEELj320ELj1ELj10EEvPKT0_PS4_.kd
    .uniform_work_group_size: 1
    .uses_dynamic_stack: false
    .vgpr_count:     29
    .vgpr_spill_count: 0
    .wavefront_size: 64
  - .args:
      - .address_space:  global
        .offset:         0
        .size:           8
        .value_kind:     global_buffer
      - .address_space:  global
        .offset:         8
        .size:           8
        .value_kind:     global_buffer
      - .offset:         16
        .size:           4
        .value_kind:     hidden_block_count_x
      - .offset:         20
        .size:           4
        .value_kind:     hidden_block_count_y
      - .offset:         24
        .size:           4
        .value_kind:     hidden_block_count_z
      - .offset:         28
        .size:           2
        .value_kind:     hidden_group_size_x
      - .offset:         30
        .size:           2
        .value_kind:     hidden_group_size_y
      - .offset:         32
        .size:           2
        .value_kind:     hidden_group_size_z
      - .offset:         34
        .size:           2
        .value_kind:     hidden_remainder_x
      - .offset:         36
        .size:           2
        .value_kind:     hidden_remainder_y
      - .offset:         38
        .size:           2
        .value_kind:     hidden_remainder_z
      - .offset:         56
        .size:           8
        .value_kind:     hidden_global_offset_x
      - .offset:         64
        .size:           8
        .value_kind:     hidden_global_offset_y
      - .offset:         72
        .size:           8
        .value_kind:     hidden_global_offset_z
      - .offset:         80
        .size:           2
        .value_kind:     hidden_grid_dims
    .group_segment_fixed_size: 5152
    .kernarg_segment_align: 8
    .kernarg_segment_size: 272
    .language:       OpenCL C
    .language_version:
      - 2
      - 0
    .max_flat_workgroup_size: 320
    .name:           _Z17sort_pairs_kernelI22helper_blocked_blockedN15benchmark_utils11custom_typeIiiEELj320ELj1ELj10EEvPKT0_PS4_
    .private_segment_fixed_size: 0
    .sgpr_count:     47
    .sgpr_spill_count: 0
    .symbol:         _Z17sort_pairs_kernelI22helper_blocked_blockedN15benchmark_utils11custom_typeIiiEELj320ELj1ELj10EEvPKT0_PS4_.kd
    .uniform_work_group_size: 1
    .uses_dynamic_stack: false
    .vgpr_count:     27
    .vgpr_spill_count: 0
    .wavefront_size: 64
  - .args:
      - .address_space:  global
        .offset:         0
        .size:           8
        .value_kind:     global_buffer
      - .address_space:  global
        .offset:         8
        .size:           8
        .value_kind:     global_buffer
      - .offset:         16
        .size:           4
        .value_kind:     hidden_block_count_x
      - .offset:         20
        .size:           4
        .value_kind:     hidden_block_count_y
      - .offset:         24
        .size:           4
        .value_kind:     hidden_block_count_z
      - .offset:         28
        .size:           2
        .value_kind:     hidden_group_size_x
      - .offset:         30
        .size:           2
        .value_kind:     hidden_group_size_y
      - .offset:         32
        .size:           2
        .value_kind:     hidden_group_size_z
      - .offset:         34
        .size:           2
        .value_kind:     hidden_remainder_x
      - .offset:         36
        .size:           2
        .value_kind:     hidden_remainder_y
      - .offset:         38
        .size:           2
        .value_kind:     hidden_remainder_z
      - .offset:         56
        .size:           8
        .value_kind:     hidden_global_offset_x
      - .offset:         64
        .size:           8
        .value_kind:     hidden_global_offset_y
      - .offset:         72
        .size:           8
        .value_kind:     hidden_global_offset_z
      - .offset:         80
        .size:           2
        .value_kind:     hidden_grid_dims
    .group_segment_fixed_size: 7680
    .kernarg_segment_align: 8
    .kernarg_segment_size: 272
    .language:       OpenCL C
    .language_version:
      - 2
      - 0
    .max_flat_workgroup_size: 320
    .name:           _Z16sort_keys_kernelI22helper_blocked_blockedN15benchmark_utils11custom_typeIiiEELj320ELj3ELj10EEvPKT0_PS4_
    .private_segment_fixed_size: 0
    .sgpr_count:     51
    .sgpr_spill_count: 0
    .symbol:         _Z16sort_keys_kernelI22helper_blocked_blockedN15benchmark_utils11custom_typeIiiEELj320ELj3ELj10EEvPKT0_PS4_.kd
    .uniform_work_group_size: 1
    .uses_dynamic_stack: false
    .vgpr_count:     31
    .vgpr_spill_count: 0
    .wavefront_size: 64
  - .args:
      - .address_space:  global
        .offset:         0
        .size:           8
        .value_kind:     global_buffer
      - .address_space:  global
        .offset:         8
        .size:           8
        .value_kind:     global_buffer
      - .offset:         16
        .size:           4
        .value_kind:     hidden_block_count_x
      - .offset:         20
        .size:           4
        .value_kind:     hidden_block_count_y
      - .offset:         24
        .size:           4
        .value_kind:     hidden_block_count_z
      - .offset:         28
        .size:           2
        .value_kind:     hidden_group_size_x
      - .offset:         30
        .size:           2
        .value_kind:     hidden_group_size_y
      - .offset:         32
        .size:           2
        .value_kind:     hidden_group_size_z
      - .offset:         34
        .size:           2
        .value_kind:     hidden_remainder_x
      - .offset:         36
        .size:           2
        .value_kind:     hidden_remainder_y
      - .offset:         38
        .size:           2
        .value_kind:     hidden_remainder_z
      - .offset:         56
        .size:           8
        .value_kind:     hidden_global_offset_x
      - .offset:         64
        .size:           8
        .value_kind:     hidden_global_offset_y
      - .offset:         72
        .size:           8
        .value_kind:     hidden_global_offset_z
      - .offset:         80
        .size:           2
        .value_kind:     hidden_grid_dims
    .group_segment_fixed_size: 7680
    .kernarg_segment_align: 8
    .kernarg_segment_size: 272
    .language:       OpenCL C
    .language_version:
      - 2
      - 0
    .max_flat_workgroup_size: 320
    .name:           _Z17sort_pairs_kernelI22helper_blocked_blockedN15benchmark_utils11custom_typeIiiEELj320ELj3ELj10EEvPKT0_PS4_
    .private_segment_fixed_size: 0
    .sgpr_count:     51
    .sgpr_spill_count: 0
    .symbol:         _Z17sort_pairs_kernelI22helper_blocked_blockedN15benchmark_utils11custom_typeIiiEELj320ELj3ELj10EEvPKT0_PS4_.kd
    .uniform_work_group_size: 1
    .uses_dynamic_stack: false
    .vgpr_count:     39
    .vgpr_spill_count: 0
    .wavefront_size: 64
  - .args:
      - .address_space:  global
        .offset:         0
        .size:           8
        .value_kind:     global_buffer
      - .address_space:  global
        .offset:         8
        .size:           8
        .value_kind:     global_buffer
      - .offset:         16
        .size:           4
        .value_kind:     hidden_block_count_x
      - .offset:         20
        .size:           4
        .value_kind:     hidden_block_count_y
      - .offset:         24
        .size:           4
        .value_kind:     hidden_block_count_z
      - .offset:         28
        .size:           2
        .value_kind:     hidden_group_size_x
      - .offset:         30
        .size:           2
        .value_kind:     hidden_group_size_y
      - .offset:         32
        .size:           2
        .value_kind:     hidden_group_size_z
      - .offset:         34
        .size:           2
        .value_kind:     hidden_remainder_x
      - .offset:         36
        .size:           2
        .value_kind:     hidden_remainder_y
      - .offset:         38
        .size:           2
        .value_kind:     hidden_remainder_z
      - .offset:         56
        .size:           8
        .value_kind:     hidden_global_offset_x
      - .offset:         64
        .size:           8
        .value_kind:     hidden_global_offset_y
      - .offset:         72
        .size:           8
        .value_kind:     hidden_global_offset_z
      - .offset:         80
        .size:           2
        .value_kind:     hidden_grid_dims
    .group_segment_fixed_size: 10560
    .kernarg_segment_align: 8
    .kernarg_segment_size: 272
    .language:       OpenCL C
    .language_version:
      - 2
      - 0
    .max_flat_workgroup_size: 320
    .name:           _Z16sort_keys_kernelI22helper_blocked_blockedN15benchmark_utils11custom_typeIiiEELj320ELj4ELj10EEvPKT0_PS4_
    .private_segment_fixed_size: 0
    .sgpr_count:     59
    .sgpr_spill_count: 0
    .symbol:         _Z16sort_keys_kernelI22helper_blocked_blockedN15benchmark_utils11custom_typeIiiEELj320ELj4ELj10EEvPKT0_PS4_.kd
    .uniform_work_group_size: 1
    .uses_dynamic_stack: false
    .vgpr_count:     42
    .vgpr_spill_count: 0
    .wavefront_size: 64
  - .args:
      - .address_space:  global
        .offset:         0
        .size:           8
        .value_kind:     global_buffer
      - .address_space:  global
        .offset:         8
        .size:           8
        .value_kind:     global_buffer
      - .offset:         16
        .size:           4
        .value_kind:     hidden_block_count_x
      - .offset:         20
        .size:           4
        .value_kind:     hidden_block_count_y
      - .offset:         24
        .size:           4
        .value_kind:     hidden_block_count_z
      - .offset:         28
        .size:           2
        .value_kind:     hidden_group_size_x
      - .offset:         30
        .size:           2
        .value_kind:     hidden_group_size_y
      - .offset:         32
        .size:           2
        .value_kind:     hidden_group_size_z
      - .offset:         34
        .size:           2
        .value_kind:     hidden_remainder_x
      - .offset:         36
        .size:           2
        .value_kind:     hidden_remainder_y
      - .offset:         38
        .size:           2
        .value_kind:     hidden_remainder_z
      - .offset:         56
        .size:           8
        .value_kind:     hidden_global_offset_x
      - .offset:         64
        .size:           8
        .value_kind:     hidden_global_offset_y
      - .offset:         72
        .size:           8
        .value_kind:     hidden_global_offset_z
      - .offset:         80
        .size:           2
        .value_kind:     hidden_grid_dims
    .group_segment_fixed_size: 10560
    .kernarg_segment_align: 8
    .kernarg_segment_size: 272
    .language:       OpenCL C
    .language_version:
      - 2
      - 0
    .max_flat_workgroup_size: 320
    .name:           _Z17sort_pairs_kernelI22helper_blocked_blockedN15benchmark_utils11custom_typeIiiEELj320ELj4ELj10EEvPKT0_PS4_
    .private_segment_fixed_size: 0
    .sgpr_count:     59
    .sgpr_spill_count: 0
    .symbol:         _Z17sort_pairs_kernelI22helper_blocked_blockedN15benchmark_utils11custom_typeIiiEELj320ELj4ELj10EEvPKT0_PS4_.kd
    .uniform_work_group_size: 1
    .uses_dynamic_stack: false
    .vgpr_count:     53
    .vgpr_spill_count: 0
    .wavefront_size: 64
  - .args:
      - .address_space:  global
        .offset:         0
        .size:           8
        .value_kind:     global_buffer
      - .address_space:  global
        .offset:         8
        .size:           8
        .value_kind:     global_buffer
      - .offset:         16
        .size:           4
        .value_kind:     hidden_block_count_x
      - .offset:         20
        .size:           4
        .value_kind:     hidden_block_count_y
      - .offset:         24
        .size:           4
        .value_kind:     hidden_block_count_z
      - .offset:         28
        .size:           2
        .value_kind:     hidden_group_size_x
      - .offset:         30
        .size:           2
        .value_kind:     hidden_group_size_y
      - .offset:         32
        .size:           2
        .value_kind:     hidden_group_size_z
      - .offset:         34
        .size:           2
        .value_kind:     hidden_remainder_x
      - .offset:         36
        .size:           2
        .value_kind:     hidden_remainder_y
      - .offset:         38
        .size:           2
        .value_kind:     hidden_remainder_z
      - .offset:         56
        .size:           8
        .value_kind:     hidden_global_offset_x
      - .offset:         64
        .size:           8
        .value_kind:     hidden_global_offset_y
      - .offset:         72
        .size:           8
        .value_kind:     hidden_global_offset_z
      - .offset:         80
        .size:           2
        .value_kind:     hidden_grid_dims
    .group_segment_fixed_size: 21120
    .kernarg_segment_align: 8
    .kernarg_segment_size: 272
    .language:       OpenCL C
    .language_version:
      - 2
      - 0
    .max_flat_workgroup_size: 320
    .name:           _Z16sort_keys_kernelI22helper_blocked_blockedN15benchmark_utils11custom_typeIiiEELj320ELj8ELj10EEvPKT0_PS4_
    .private_segment_fixed_size: 0
    .sgpr_count:     51
    .sgpr_spill_count: 0
    .symbol:         _Z16sort_keys_kernelI22helper_blocked_blockedN15benchmark_utils11custom_typeIiiEELj320ELj8ELj10EEvPKT0_PS4_.kd
    .uniform_work_group_size: 1
    .uses_dynamic_stack: false
    .vgpr_count:     63
    .vgpr_spill_count: 0
    .wavefront_size: 64
  - .args:
      - .address_space:  global
        .offset:         0
        .size:           8
        .value_kind:     global_buffer
      - .address_space:  global
        .offset:         8
        .size:           8
        .value_kind:     global_buffer
      - .offset:         16
        .size:           4
        .value_kind:     hidden_block_count_x
      - .offset:         20
        .size:           4
        .value_kind:     hidden_block_count_y
      - .offset:         24
        .size:           4
        .value_kind:     hidden_block_count_z
      - .offset:         28
        .size:           2
        .value_kind:     hidden_group_size_x
      - .offset:         30
        .size:           2
        .value_kind:     hidden_group_size_y
      - .offset:         32
        .size:           2
        .value_kind:     hidden_group_size_z
      - .offset:         34
        .size:           2
        .value_kind:     hidden_remainder_x
      - .offset:         36
        .size:           2
        .value_kind:     hidden_remainder_y
      - .offset:         38
        .size:           2
        .value_kind:     hidden_remainder_z
      - .offset:         56
        .size:           8
        .value_kind:     hidden_global_offset_x
      - .offset:         64
        .size:           8
        .value_kind:     hidden_global_offset_y
      - .offset:         72
        .size:           8
        .value_kind:     hidden_global_offset_z
      - .offset:         80
        .size:           2
        .value_kind:     hidden_grid_dims
    .group_segment_fixed_size: 21120
    .kernarg_segment_align: 8
    .kernarg_segment_size: 272
    .language:       OpenCL C
    .language_version:
      - 2
      - 0
    .max_flat_workgroup_size: 320
    .name:           _Z17sort_pairs_kernelI22helper_blocked_blockedN15benchmark_utils11custom_typeIiiEELj320ELj8ELj10EEvPKT0_PS4_
    .private_segment_fixed_size: 0
    .sgpr_count:     51
    .sgpr_spill_count: 0
    .symbol:         _Z17sort_pairs_kernelI22helper_blocked_blockedN15benchmark_utils11custom_typeIiiEELj320ELj8ELj10EEvPKT0_PS4_.kd
    .uniform_work_group_size: 1
    .uses_dynamic_stack: false
    .vgpr_count:     90
    .vgpr_spill_count: 0
    .wavefront_size: 64
  - .args:
      - .address_space:  global
        .offset:         0
        .size:           8
        .value_kind:     global_buffer
      - .address_space:  global
        .offset:         8
        .size:           8
        .value_kind:     global_buffer
      - .offset:         16
        .size:           4
        .value_kind:     hidden_block_count_x
      - .offset:         20
        .size:           4
        .value_kind:     hidden_block_count_y
      - .offset:         24
        .size:           4
        .value_kind:     hidden_block_count_z
      - .offset:         28
        .size:           2
        .value_kind:     hidden_group_size_x
      - .offset:         30
        .size:           2
        .value_kind:     hidden_group_size_y
      - .offset:         32
        .size:           2
        .value_kind:     hidden_group_size_z
      - .offset:         34
        .size:           2
        .value_kind:     hidden_remainder_x
      - .offset:         36
        .size:           2
        .value_kind:     hidden_remainder_y
      - .offset:         38
        .size:           2
        .value_kind:     hidden_remainder_z
      - .offset:         56
        .size:           8
        .value_kind:     hidden_global_offset_x
      - .offset:         64
        .size:           8
        .value_kind:     hidden_global_offset_y
      - .offset:         72
        .size:           8
        .value_kind:     hidden_global_offset_z
      - .offset:         80
        .size:           2
        .value_kind:     hidden_grid_dims
    .group_segment_fixed_size: 8224
    .kernarg_segment_align: 8
    .kernarg_segment_size: 272
    .language:       OpenCL C
    .language_version:
      - 2
      - 0
    .max_flat_workgroup_size: 512
    .name:           _Z16sort_keys_kernelI22helper_blocked_blockedN15benchmark_utils11custom_typeIiiEELj512ELj1ELj10EEvPKT0_PS4_
    .private_segment_fixed_size: 0
    .sgpr_count:     46
    .sgpr_spill_count: 0
    .symbol:         _Z16sort_keys_kernelI22helper_blocked_blockedN15benchmark_utils11custom_typeIiiEELj512ELj1ELj10EEvPKT0_PS4_.kd
    .uniform_work_group_size: 1
    .uses_dynamic_stack: false
    .vgpr_count:     33
    .vgpr_spill_count: 0
    .wavefront_size: 64
  - .args:
      - .address_space:  global
        .offset:         0
        .size:           8
        .value_kind:     global_buffer
      - .address_space:  global
        .offset:         8
        .size:           8
        .value_kind:     global_buffer
      - .offset:         16
        .size:           4
        .value_kind:     hidden_block_count_x
      - .offset:         20
        .size:           4
        .value_kind:     hidden_block_count_y
      - .offset:         24
        .size:           4
        .value_kind:     hidden_block_count_z
      - .offset:         28
        .size:           2
        .value_kind:     hidden_group_size_x
      - .offset:         30
        .size:           2
        .value_kind:     hidden_group_size_y
      - .offset:         32
        .size:           2
        .value_kind:     hidden_group_size_z
      - .offset:         34
        .size:           2
        .value_kind:     hidden_remainder_x
      - .offset:         36
        .size:           2
        .value_kind:     hidden_remainder_y
      - .offset:         38
        .size:           2
        .value_kind:     hidden_remainder_z
      - .offset:         56
        .size:           8
        .value_kind:     hidden_global_offset_x
      - .offset:         64
        .size:           8
        .value_kind:     hidden_global_offset_y
      - .offset:         72
        .size:           8
        .value_kind:     hidden_global_offset_z
      - .offset:         80
        .size:           2
        .value_kind:     hidden_grid_dims
    .group_segment_fixed_size: 8224
    .kernarg_segment_align: 8
    .kernarg_segment_size: 272
    .language:       OpenCL C
    .language_version:
      - 2
      - 0
    .max_flat_workgroup_size: 512
    .name:           _Z17sort_pairs_kernelI22helper_blocked_blockedN15benchmark_utils11custom_typeIiiEELj512ELj1ELj10EEvPKT0_PS4_
    .private_segment_fixed_size: 0
    .sgpr_count:     51
    .sgpr_spill_count: 0
    .symbol:         _Z17sort_pairs_kernelI22helper_blocked_blockedN15benchmark_utils11custom_typeIiiEELj512ELj1ELj10EEvPKT0_PS4_.kd
    .uniform_work_group_size: 1
    .uses_dynamic_stack: false
    .vgpr_count:     31
    .vgpr_spill_count: 0
    .wavefront_size: 64
  - .args:
      - .address_space:  global
        .offset:         0
        .size:           8
        .value_kind:     global_buffer
      - .address_space:  global
        .offset:         8
        .size:           8
        .value_kind:     global_buffer
      - .offset:         16
        .size:           4
        .value_kind:     hidden_block_count_x
      - .offset:         20
        .size:           4
        .value_kind:     hidden_block_count_y
      - .offset:         24
        .size:           4
        .value_kind:     hidden_block_count_z
      - .offset:         28
        .size:           2
        .value_kind:     hidden_group_size_x
      - .offset:         30
        .size:           2
        .value_kind:     hidden_group_size_y
      - .offset:         32
        .size:           2
        .value_kind:     hidden_group_size_z
      - .offset:         34
        .size:           2
        .value_kind:     hidden_remainder_x
      - .offset:         36
        .size:           2
        .value_kind:     hidden_remainder_y
      - .offset:         38
        .size:           2
        .value_kind:     hidden_remainder_z
      - .offset:         56
        .size:           8
        .value_kind:     hidden_global_offset_x
      - .offset:         64
        .size:           8
        .value_kind:     hidden_global_offset_y
      - .offset:         72
        .size:           8
        .value_kind:     hidden_global_offset_z
      - .offset:         80
        .size:           2
        .value_kind:     hidden_grid_dims
    .group_segment_fixed_size: 12288
    .kernarg_segment_align: 8
    .kernarg_segment_size: 272
    .language:       OpenCL C
    .language_version:
      - 2
      - 0
    .max_flat_workgroup_size: 512
    .name:           _Z16sort_keys_kernelI22helper_blocked_blockedN15benchmark_utils11custom_typeIiiEELj512ELj3ELj10EEvPKT0_PS4_
    .private_segment_fixed_size: 0
    .sgpr_count:     51
    .sgpr_spill_count: 0
    .symbol:         _Z16sort_keys_kernelI22helper_blocked_blockedN15benchmark_utils11custom_typeIiiEELj512ELj3ELj10EEvPKT0_PS4_.kd
    .uniform_work_group_size: 1
    .uses_dynamic_stack: false
    .vgpr_count:     35
    .vgpr_spill_count: 0
    .wavefront_size: 64
  - .args:
      - .address_space:  global
        .offset:         0
        .size:           8
        .value_kind:     global_buffer
      - .address_space:  global
        .offset:         8
        .size:           8
        .value_kind:     global_buffer
      - .offset:         16
        .size:           4
        .value_kind:     hidden_block_count_x
      - .offset:         20
        .size:           4
        .value_kind:     hidden_block_count_y
      - .offset:         24
        .size:           4
        .value_kind:     hidden_block_count_z
      - .offset:         28
        .size:           2
        .value_kind:     hidden_group_size_x
      - .offset:         30
        .size:           2
        .value_kind:     hidden_group_size_y
      - .offset:         32
        .size:           2
        .value_kind:     hidden_group_size_z
      - .offset:         34
        .size:           2
        .value_kind:     hidden_remainder_x
      - .offset:         36
        .size:           2
        .value_kind:     hidden_remainder_y
      - .offset:         38
        .size:           2
        .value_kind:     hidden_remainder_z
      - .offset:         56
        .size:           8
        .value_kind:     hidden_global_offset_x
      - .offset:         64
        .size:           8
        .value_kind:     hidden_global_offset_y
      - .offset:         72
        .size:           8
        .value_kind:     hidden_global_offset_z
      - .offset:         80
        .size:           2
        .value_kind:     hidden_grid_dims
    .group_segment_fixed_size: 12288
    .kernarg_segment_align: 8
    .kernarg_segment_size: 272
    .language:       OpenCL C
    .language_version:
      - 2
      - 0
    .max_flat_workgroup_size: 512
    .name:           _Z17sort_pairs_kernelI22helper_blocked_blockedN15benchmark_utils11custom_typeIiiEELj512ELj3ELj10EEvPKT0_PS4_
    .private_segment_fixed_size: 0
    .sgpr_count:     51
    .sgpr_spill_count: 0
    .symbol:         _Z17sort_pairs_kernelI22helper_blocked_blockedN15benchmark_utils11custom_typeIiiEELj512ELj3ELj10EEvPKT0_PS4_.kd
    .uniform_work_group_size: 1
    .uses_dynamic_stack: false
    .vgpr_count:     43
    .vgpr_spill_count: 0
    .wavefront_size: 64
  - .args:
      - .address_space:  global
        .offset:         0
        .size:           8
        .value_kind:     global_buffer
      - .address_space:  global
        .offset:         8
        .size:           8
        .value_kind:     global_buffer
      - .offset:         16
        .size:           4
        .value_kind:     hidden_block_count_x
      - .offset:         20
        .size:           4
        .value_kind:     hidden_block_count_y
      - .offset:         24
        .size:           4
        .value_kind:     hidden_block_count_z
      - .offset:         28
        .size:           2
        .value_kind:     hidden_group_size_x
      - .offset:         30
        .size:           2
        .value_kind:     hidden_group_size_y
      - .offset:         32
        .size:           2
        .value_kind:     hidden_group_size_z
      - .offset:         34
        .size:           2
        .value_kind:     hidden_remainder_x
      - .offset:         36
        .size:           2
        .value_kind:     hidden_remainder_y
      - .offset:         38
        .size:           2
        .value_kind:     hidden_remainder_z
      - .offset:         56
        .size:           8
        .value_kind:     hidden_global_offset_x
      - .offset:         64
        .size:           8
        .value_kind:     hidden_global_offset_y
      - .offset:         72
        .size:           8
        .value_kind:     hidden_global_offset_z
      - .offset:         80
        .size:           2
        .value_kind:     hidden_grid_dims
    .group_segment_fixed_size: 16384
    .kernarg_segment_align: 8
    .kernarg_segment_size: 272
    .language:       OpenCL C
    .language_version:
      - 2
      - 0
    .max_flat_workgroup_size: 512
    .name:           _Z16sort_keys_kernelI22helper_blocked_blockedN15benchmark_utils11custom_typeIiiEELj512ELj4ELj10EEvPKT0_PS4_
    .private_segment_fixed_size: 0
    .sgpr_count:     59
    .sgpr_spill_count: 0
    .symbol:         _Z16sort_keys_kernelI22helper_blocked_blockedN15benchmark_utils11custom_typeIiiEELj512ELj4ELj10EEvPKT0_PS4_.kd
    .uniform_work_group_size: 1
    .uses_dynamic_stack: false
    .vgpr_count:     43
    .vgpr_spill_count: 0
    .wavefront_size: 64
  - .args:
      - .address_space:  global
        .offset:         0
        .size:           8
        .value_kind:     global_buffer
      - .address_space:  global
        .offset:         8
        .size:           8
        .value_kind:     global_buffer
      - .offset:         16
        .size:           4
        .value_kind:     hidden_block_count_x
      - .offset:         20
        .size:           4
        .value_kind:     hidden_block_count_y
      - .offset:         24
        .size:           4
        .value_kind:     hidden_block_count_z
      - .offset:         28
        .size:           2
        .value_kind:     hidden_group_size_x
      - .offset:         30
        .size:           2
        .value_kind:     hidden_group_size_y
      - .offset:         32
        .size:           2
        .value_kind:     hidden_group_size_z
      - .offset:         34
        .size:           2
        .value_kind:     hidden_remainder_x
      - .offset:         36
        .size:           2
        .value_kind:     hidden_remainder_y
      - .offset:         38
        .size:           2
        .value_kind:     hidden_remainder_z
      - .offset:         56
        .size:           8
        .value_kind:     hidden_global_offset_x
      - .offset:         64
        .size:           8
        .value_kind:     hidden_global_offset_y
      - .offset:         72
        .size:           8
        .value_kind:     hidden_global_offset_z
      - .offset:         80
        .size:           2
        .value_kind:     hidden_grid_dims
    .group_segment_fixed_size: 16384
    .kernarg_segment_align: 8
    .kernarg_segment_size: 272
    .language:       OpenCL C
    .language_version:
      - 2
      - 0
    .max_flat_workgroup_size: 512
    .name:           _Z17sort_pairs_kernelI22helper_blocked_blockedN15benchmark_utils11custom_typeIiiEELj512ELj4ELj10EEvPKT0_PS4_
    .private_segment_fixed_size: 0
    .sgpr_count:     59
    .sgpr_spill_count: 0
    .symbol:         _Z17sort_pairs_kernelI22helper_blocked_blockedN15benchmark_utils11custom_typeIiiEELj512ELj4ELj10EEvPKT0_PS4_.kd
    .uniform_work_group_size: 1
    .uses_dynamic_stack: false
    .vgpr_count:     55
    .vgpr_spill_count: 0
    .wavefront_size: 64
  - .args:
      - .address_space:  global
        .offset:         0
        .size:           8
        .value_kind:     global_buffer
      - .address_space:  global
        .offset:         8
        .size:           8
        .value_kind:     global_buffer
      - .offset:         16
        .size:           4
        .value_kind:     hidden_block_count_x
      - .offset:         20
        .size:           4
        .value_kind:     hidden_block_count_y
      - .offset:         24
        .size:           4
        .value_kind:     hidden_block_count_z
      - .offset:         28
        .size:           2
        .value_kind:     hidden_group_size_x
      - .offset:         30
        .size:           2
        .value_kind:     hidden_group_size_y
      - .offset:         32
        .size:           2
        .value_kind:     hidden_group_size_z
      - .offset:         34
        .size:           2
        .value_kind:     hidden_remainder_x
      - .offset:         36
        .size:           2
        .value_kind:     hidden_remainder_y
      - .offset:         38
        .size:           2
        .value_kind:     hidden_remainder_z
      - .offset:         56
        .size:           8
        .value_kind:     hidden_global_offset_x
      - .offset:         64
        .size:           8
        .value_kind:     hidden_global_offset_y
      - .offset:         72
        .size:           8
        .value_kind:     hidden_global_offset_z
      - .offset:         80
        .size:           2
        .value_kind:     hidden_grid_dims
    .group_segment_fixed_size: 32768
    .kernarg_segment_align: 8
    .kernarg_segment_size: 272
    .language:       OpenCL C
    .language_version:
      - 2
      - 0
    .max_flat_workgroup_size: 512
    .name:           _Z16sort_keys_kernelI22helper_blocked_blockedN15benchmark_utils11custom_typeIiiEELj512ELj8ELj10EEvPKT0_PS4_
    .private_segment_fixed_size: 0
    .sgpr_count:     55
    .sgpr_spill_count: 0
    .symbol:         _Z16sort_keys_kernelI22helper_blocked_blockedN15benchmark_utils11custom_typeIiiEELj512ELj8ELj10EEvPKT0_PS4_.kd
    .uniform_work_group_size: 1
    .uses_dynamic_stack: false
    .vgpr_count:     56
    .vgpr_spill_count: 0
    .wavefront_size: 64
  - .args:
      - .address_space:  global
        .offset:         0
        .size:           8
        .value_kind:     global_buffer
      - .address_space:  global
        .offset:         8
        .size:           8
        .value_kind:     global_buffer
      - .offset:         16
        .size:           4
        .value_kind:     hidden_block_count_x
      - .offset:         20
        .size:           4
        .value_kind:     hidden_block_count_y
      - .offset:         24
        .size:           4
        .value_kind:     hidden_block_count_z
      - .offset:         28
        .size:           2
        .value_kind:     hidden_group_size_x
      - .offset:         30
        .size:           2
        .value_kind:     hidden_group_size_y
      - .offset:         32
        .size:           2
        .value_kind:     hidden_group_size_z
      - .offset:         34
        .size:           2
        .value_kind:     hidden_remainder_x
      - .offset:         36
        .size:           2
        .value_kind:     hidden_remainder_y
      - .offset:         38
        .size:           2
        .value_kind:     hidden_remainder_z
      - .offset:         56
        .size:           8
        .value_kind:     hidden_global_offset_x
      - .offset:         64
        .size:           8
        .value_kind:     hidden_global_offset_y
      - .offset:         72
        .size:           8
        .value_kind:     hidden_global_offset_z
      - .offset:         80
        .size:           2
        .value_kind:     hidden_grid_dims
    .group_segment_fixed_size: 32768
    .kernarg_segment_align: 8
    .kernarg_segment_size: 272
    .language:       OpenCL C
    .language_version:
      - 2
      - 0
    .max_flat_workgroup_size: 512
    .name:           _Z17sort_pairs_kernelI22helper_blocked_blockedN15benchmark_utils11custom_typeIiiEELj512ELj8ELj10EEvPKT0_PS4_
    .private_segment_fixed_size: 0
    .sgpr_count:     55
    .sgpr_spill_count: 0
    .symbol:         _Z17sort_pairs_kernelI22helper_blocked_blockedN15benchmark_utils11custom_typeIiiEELj512ELj8ELj10EEvPKT0_PS4_.kd
    .uniform_work_group_size: 1
    .uses_dynamic_stack: false
    .vgpr_count:     83
    .vgpr_spill_count: 0
    .wavefront_size: 64
  - .args:
      - .address_space:  global
        .offset:         0
        .size:           8
        .value_kind:     global_buffer
      - .address_space:  global
        .offset:         8
        .size:           8
        .value_kind:     global_buffer
      - .offset:         16
        .size:           4
        .value_kind:     hidden_block_count_x
      - .offset:         20
        .size:           4
        .value_kind:     hidden_block_count_y
      - .offset:         24
        .size:           4
        .value_kind:     hidden_block_count_z
      - .offset:         28
        .size:           2
        .value_kind:     hidden_group_size_x
      - .offset:         30
        .size:           2
        .value_kind:     hidden_group_size_y
      - .offset:         32
        .size:           2
        .value_kind:     hidden_group_size_z
      - .offset:         34
        .size:           2
        .value_kind:     hidden_remainder_x
      - .offset:         36
        .size:           2
        .value_kind:     hidden_remainder_y
      - .offset:         38
        .size:           2
        .value_kind:     hidden_remainder_z
      - .offset:         56
        .size:           8
        .value_kind:     hidden_global_offset_x
      - .offset:         64
        .size:           8
        .value_kind:     hidden_global_offset_y
      - .offset:         72
        .size:           8
        .value_kind:     hidden_global_offset_z
      - .offset:         80
        .size:           2
        .value_kind:     hidden_grid_dims
    .group_segment_fixed_size: 1040
    .kernarg_segment_align: 8
    .kernarg_segment_size: 272
    .language:       OpenCL C
    .language_version:
      - 2
      - 0
    .max_flat_workgroup_size: 64
    .name:           _Z16sort_keys_kernelI22helper_blocked_stripediLj64ELj1ELj10EEvPKT0_PS1_
    .private_segment_fixed_size: 0
    .sgpr_count:     28
    .sgpr_spill_count: 0
    .symbol:         _Z16sort_keys_kernelI22helper_blocked_stripediLj64ELj1ELj10EEvPKT0_PS1_.kd
    .uniform_work_group_size: 1
    .uses_dynamic_stack: false
    .vgpr_count:     23
    .vgpr_spill_count: 0
    .wavefront_size: 64
  - .args:
      - .address_space:  global
        .offset:         0
        .size:           8
        .value_kind:     global_buffer
      - .address_space:  global
        .offset:         8
        .size:           8
        .value_kind:     global_buffer
      - .offset:         16
        .size:           4
        .value_kind:     hidden_block_count_x
      - .offset:         20
        .size:           4
        .value_kind:     hidden_block_count_y
      - .offset:         24
        .size:           4
        .value_kind:     hidden_block_count_z
      - .offset:         28
        .size:           2
        .value_kind:     hidden_group_size_x
      - .offset:         30
        .size:           2
        .value_kind:     hidden_group_size_y
      - .offset:         32
        .size:           2
        .value_kind:     hidden_group_size_z
      - .offset:         34
        .size:           2
        .value_kind:     hidden_remainder_x
      - .offset:         36
        .size:           2
        .value_kind:     hidden_remainder_y
      - .offset:         38
        .size:           2
        .value_kind:     hidden_remainder_z
      - .offset:         56
        .size:           8
        .value_kind:     hidden_global_offset_x
      - .offset:         64
        .size:           8
        .value_kind:     hidden_global_offset_y
      - .offset:         72
        .size:           8
        .value_kind:     hidden_global_offset_z
      - .offset:         80
        .size:           2
        .value_kind:     hidden_grid_dims
    .group_segment_fixed_size: 1040
    .kernarg_segment_align: 8
    .kernarg_segment_size: 272
    .language:       OpenCL C
    .language_version:
      - 2
      - 0
    .max_flat_workgroup_size: 64
    .name:           _Z17sort_pairs_kernelI22helper_blocked_stripediLj64ELj1ELj10EEvPKT0_PS1_
    .private_segment_fixed_size: 0
    .sgpr_count:     30
    .sgpr_spill_count: 0
    .symbol:         _Z17sort_pairs_kernelI22helper_blocked_stripediLj64ELj1ELj10EEvPKT0_PS1_.kd
    .uniform_work_group_size: 1
    .uses_dynamic_stack: false
    .vgpr_count:     23
    .vgpr_spill_count: 0
    .wavefront_size: 64
  - .args:
      - .address_space:  global
        .offset:         0
        .size:           8
        .value_kind:     global_buffer
      - .address_space:  global
        .offset:         8
        .size:           8
        .value_kind:     global_buffer
      - .offset:         16
        .size:           4
        .value_kind:     hidden_block_count_x
      - .offset:         20
        .size:           4
        .value_kind:     hidden_block_count_y
      - .offset:         24
        .size:           4
        .value_kind:     hidden_block_count_z
      - .offset:         28
        .size:           2
        .value_kind:     hidden_group_size_x
      - .offset:         30
        .size:           2
        .value_kind:     hidden_group_size_y
      - .offset:         32
        .size:           2
        .value_kind:     hidden_group_size_z
      - .offset:         34
        .size:           2
        .value_kind:     hidden_remainder_x
      - .offset:         36
        .size:           2
        .value_kind:     hidden_remainder_y
      - .offset:         38
        .size:           2
        .value_kind:     hidden_remainder_z
      - .offset:         56
        .size:           8
        .value_kind:     hidden_global_offset_x
      - .offset:         64
        .size:           8
        .value_kind:     hidden_global_offset_y
      - .offset:         72
        .size:           8
        .value_kind:     hidden_global_offset_z
      - .offset:         80
        .size:           2
        .value_kind:     hidden_grid_dims
    .group_segment_fixed_size: 1040
    .kernarg_segment_align: 8
    .kernarg_segment_size: 272
    .language:       OpenCL C
    .language_version:
      - 2
      - 0
    .max_flat_workgroup_size: 64
    .name:           _Z16sort_keys_kernelI22helper_blocked_stripediLj64ELj3ELj10EEvPKT0_PS1_
    .private_segment_fixed_size: 0
    .sgpr_count:     30
    .sgpr_spill_count: 0
    .symbol:         _Z16sort_keys_kernelI22helper_blocked_stripediLj64ELj3ELj10EEvPKT0_PS1_.kd
    .uniform_work_group_size: 1
    .uses_dynamic_stack: false
    .vgpr_count:     25
    .vgpr_spill_count: 0
    .wavefront_size: 64
  - .args:
      - .address_space:  global
        .offset:         0
        .size:           8
        .value_kind:     global_buffer
      - .address_space:  global
        .offset:         8
        .size:           8
        .value_kind:     global_buffer
      - .offset:         16
        .size:           4
        .value_kind:     hidden_block_count_x
      - .offset:         20
        .size:           4
        .value_kind:     hidden_block_count_y
      - .offset:         24
        .size:           4
        .value_kind:     hidden_block_count_z
      - .offset:         28
        .size:           2
        .value_kind:     hidden_group_size_x
      - .offset:         30
        .size:           2
        .value_kind:     hidden_group_size_y
      - .offset:         32
        .size:           2
        .value_kind:     hidden_group_size_z
      - .offset:         34
        .size:           2
        .value_kind:     hidden_remainder_x
      - .offset:         36
        .size:           2
        .value_kind:     hidden_remainder_y
      - .offset:         38
        .size:           2
        .value_kind:     hidden_remainder_z
      - .offset:         56
        .size:           8
        .value_kind:     hidden_global_offset_x
      - .offset:         64
        .size:           8
        .value_kind:     hidden_global_offset_y
      - .offset:         72
        .size:           8
        .value_kind:     hidden_global_offset_z
      - .offset:         80
        .size:           2
        .value_kind:     hidden_grid_dims
    .group_segment_fixed_size: 1040
    .kernarg_segment_align: 8
    .kernarg_segment_size: 272
    .language:       OpenCL C
    .language_version:
      - 2
      - 0
    .max_flat_workgroup_size: 64
    .name:           _Z17sort_pairs_kernelI22helper_blocked_stripediLj64ELj3ELj10EEvPKT0_PS1_
    .private_segment_fixed_size: 0
    .sgpr_count:     30
    .sgpr_spill_count: 0
    .symbol:         _Z17sort_pairs_kernelI22helper_blocked_stripediLj64ELj3ELj10EEvPKT0_PS1_.kd
    .uniform_work_group_size: 1
    .uses_dynamic_stack: false
    .vgpr_count:     28
    .vgpr_spill_count: 0
    .wavefront_size: 64
  - .args:
      - .address_space:  global
        .offset:         0
        .size:           8
        .value_kind:     global_buffer
      - .address_space:  global
        .offset:         8
        .size:           8
        .value_kind:     global_buffer
      - .offset:         16
        .size:           4
        .value_kind:     hidden_block_count_x
      - .offset:         20
        .size:           4
        .value_kind:     hidden_block_count_y
      - .offset:         24
        .size:           4
        .value_kind:     hidden_block_count_z
      - .offset:         28
        .size:           2
        .value_kind:     hidden_group_size_x
      - .offset:         30
        .size:           2
        .value_kind:     hidden_group_size_y
      - .offset:         32
        .size:           2
        .value_kind:     hidden_group_size_z
      - .offset:         34
        .size:           2
        .value_kind:     hidden_remainder_x
      - .offset:         36
        .size:           2
        .value_kind:     hidden_remainder_y
      - .offset:         38
        .size:           2
        .value_kind:     hidden_remainder_z
      - .offset:         56
        .size:           8
        .value_kind:     hidden_global_offset_x
      - .offset:         64
        .size:           8
        .value_kind:     hidden_global_offset_y
      - .offset:         72
        .size:           8
        .value_kind:     hidden_global_offset_z
      - .offset:         80
        .size:           2
        .value_kind:     hidden_grid_dims
    .group_segment_fixed_size: 1040
    .kernarg_segment_align: 8
    .kernarg_segment_size: 272
    .language:       OpenCL C
    .language_version:
      - 2
      - 0
    .max_flat_workgroup_size: 64
    .name:           _Z16sort_keys_kernelI22helper_blocked_stripediLj64ELj4ELj10EEvPKT0_PS1_
    .private_segment_fixed_size: 0
    .sgpr_count:     40
    .sgpr_spill_count: 0
    .symbol:         _Z16sort_keys_kernelI22helper_blocked_stripediLj64ELj4ELj10EEvPKT0_PS1_.kd
    .uniform_work_group_size: 1
    .uses_dynamic_stack: false
    .vgpr_count:     32
    .vgpr_spill_count: 0
    .wavefront_size: 64
  - .args:
      - .address_space:  global
        .offset:         0
        .size:           8
        .value_kind:     global_buffer
      - .address_space:  global
        .offset:         8
        .size:           8
        .value_kind:     global_buffer
      - .offset:         16
        .size:           4
        .value_kind:     hidden_block_count_x
      - .offset:         20
        .size:           4
        .value_kind:     hidden_block_count_y
      - .offset:         24
        .size:           4
        .value_kind:     hidden_block_count_z
      - .offset:         28
        .size:           2
        .value_kind:     hidden_group_size_x
      - .offset:         30
        .size:           2
        .value_kind:     hidden_group_size_y
      - .offset:         32
        .size:           2
        .value_kind:     hidden_group_size_z
      - .offset:         34
        .size:           2
        .value_kind:     hidden_remainder_x
      - .offset:         36
        .size:           2
        .value_kind:     hidden_remainder_y
      - .offset:         38
        .size:           2
        .value_kind:     hidden_remainder_z
      - .offset:         56
        .size:           8
        .value_kind:     hidden_global_offset_x
      - .offset:         64
        .size:           8
        .value_kind:     hidden_global_offset_y
      - .offset:         72
        .size:           8
        .value_kind:     hidden_global_offset_z
      - .offset:         80
        .size:           2
        .value_kind:     hidden_grid_dims
    .group_segment_fixed_size: 1040
    .kernarg_segment_align: 8
    .kernarg_segment_size: 272
    .language:       OpenCL C
    .language_version:
      - 2
      - 0
    .max_flat_workgroup_size: 64
    .name:           _Z17sort_pairs_kernelI22helper_blocked_stripediLj64ELj4ELj10EEvPKT0_PS1_
    .private_segment_fixed_size: 0
    .sgpr_count:     40
    .sgpr_spill_count: 0
    .symbol:         _Z17sort_pairs_kernelI22helper_blocked_stripediLj64ELj4ELj10EEvPKT0_PS1_.kd
    .uniform_work_group_size: 1
    .uses_dynamic_stack: false
    .vgpr_count:     36
    .vgpr_spill_count: 0
    .wavefront_size: 64
  - .args:
      - .address_space:  global
        .offset:         0
        .size:           8
        .value_kind:     global_buffer
      - .address_space:  global
        .offset:         8
        .size:           8
        .value_kind:     global_buffer
      - .offset:         16
        .size:           4
        .value_kind:     hidden_block_count_x
      - .offset:         20
        .size:           4
        .value_kind:     hidden_block_count_y
      - .offset:         24
        .size:           4
        .value_kind:     hidden_block_count_z
      - .offset:         28
        .size:           2
        .value_kind:     hidden_group_size_x
      - .offset:         30
        .size:           2
        .value_kind:     hidden_group_size_y
      - .offset:         32
        .size:           2
        .value_kind:     hidden_group_size_z
      - .offset:         34
        .size:           2
        .value_kind:     hidden_remainder_x
      - .offset:         36
        .size:           2
        .value_kind:     hidden_remainder_y
      - .offset:         38
        .size:           2
        .value_kind:     hidden_remainder_z
      - .offset:         56
        .size:           8
        .value_kind:     hidden_global_offset_x
      - .offset:         64
        .size:           8
        .value_kind:     hidden_global_offset_y
      - .offset:         72
        .size:           8
        .value_kind:     hidden_global_offset_z
      - .offset:         80
        .size:           2
        .value_kind:     hidden_grid_dims
    .group_segment_fixed_size: 2048
    .kernarg_segment_align: 8
    .kernarg_segment_size: 272
    .language:       OpenCL C
    .language_version:
      - 2
      - 0
    .max_flat_workgroup_size: 64
    .name:           _Z16sort_keys_kernelI22helper_blocked_stripediLj64ELj8ELj10EEvPKT0_PS1_
    .private_segment_fixed_size: 0
    .sgpr_count:     30
    .sgpr_spill_count: 0
    .symbol:         _Z16sort_keys_kernelI22helper_blocked_stripediLj64ELj8ELj10EEvPKT0_PS1_.kd
    .uniform_work_group_size: 1
    .uses_dynamic_stack: false
    .vgpr_count:     45
    .vgpr_spill_count: 0
    .wavefront_size: 64
  - .args:
      - .address_space:  global
        .offset:         0
        .size:           8
        .value_kind:     global_buffer
      - .address_space:  global
        .offset:         8
        .size:           8
        .value_kind:     global_buffer
      - .offset:         16
        .size:           4
        .value_kind:     hidden_block_count_x
      - .offset:         20
        .size:           4
        .value_kind:     hidden_block_count_y
      - .offset:         24
        .size:           4
        .value_kind:     hidden_block_count_z
      - .offset:         28
        .size:           2
        .value_kind:     hidden_group_size_x
      - .offset:         30
        .size:           2
        .value_kind:     hidden_group_size_y
      - .offset:         32
        .size:           2
        .value_kind:     hidden_group_size_z
      - .offset:         34
        .size:           2
        .value_kind:     hidden_remainder_x
      - .offset:         36
        .size:           2
        .value_kind:     hidden_remainder_y
      - .offset:         38
        .size:           2
        .value_kind:     hidden_remainder_z
      - .offset:         56
        .size:           8
        .value_kind:     hidden_global_offset_x
      - .offset:         64
        .size:           8
        .value_kind:     hidden_global_offset_y
      - .offset:         72
        .size:           8
        .value_kind:     hidden_global_offset_z
      - .offset:         80
        .size:           2
        .value_kind:     hidden_grid_dims
    .group_segment_fixed_size: 2048
    .kernarg_segment_align: 8
    .kernarg_segment_size: 272
    .language:       OpenCL C
    .language_version:
      - 2
      - 0
    .max_flat_workgroup_size: 64
    .name:           _Z17sort_pairs_kernelI22helper_blocked_stripediLj64ELj8ELj10EEvPKT0_PS1_
    .private_segment_fixed_size: 0
    .sgpr_count:     30
    .sgpr_spill_count: 0
    .symbol:         _Z17sort_pairs_kernelI22helper_blocked_stripediLj64ELj8ELj10EEvPKT0_PS1_.kd
    .uniform_work_group_size: 1
    .uses_dynamic_stack: false
    .vgpr_count:     54
    .vgpr_spill_count: 0
    .wavefront_size: 64
  - .args:
      - .address_space:  global
        .offset:         0
        .size:           8
        .value_kind:     global_buffer
      - .address_space:  global
        .offset:         8
        .size:           8
        .value_kind:     global_buffer
      - .offset:         16
        .size:           4
        .value_kind:     hidden_block_count_x
      - .offset:         20
        .size:           4
        .value_kind:     hidden_block_count_y
      - .offset:         24
        .size:           4
        .value_kind:     hidden_block_count_z
      - .offset:         28
        .size:           2
        .value_kind:     hidden_group_size_x
      - .offset:         30
        .size:           2
        .value_kind:     hidden_group_size_y
      - .offset:         32
        .size:           2
        .value_kind:     hidden_group_size_z
      - .offset:         34
        .size:           2
        .value_kind:     hidden_remainder_x
      - .offset:         36
        .size:           2
        .value_kind:     hidden_remainder_y
      - .offset:         38
        .size:           2
        .value_kind:     hidden_remainder_z
      - .offset:         56
        .size:           8
        .value_kind:     hidden_global_offset_x
      - .offset:         64
        .size:           8
        .value_kind:     hidden_global_offset_y
      - .offset:         72
        .size:           8
        .value_kind:     hidden_global_offset_z
      - .offset:         80
        .size:           2
        .value_kind:     hidden_grid_dims
    .group_segment_fixed_size: 2064
    .kernarg_segment_align: 8
    .kernarg_segment_size: 272
    .language:       OpenCL C
    .language_version:
      - 2
      - 0
    .max_flat_workgroup_size: 128
    .name:           _Z16sort_keys_kernelI22helper_blocked_stripediLj128ELj1ELj10EEvPKT0_PS1_
    .private_segment_fixed_size: 0
    .sgpr_count:     41
    .sgpr_spill_count: 0
    .symbol:         _Z16sort_keys_kernelI22helper_blocked_stripediLj128ELj1ELj10EEvPKT0_PS1_.kd
    .uniform_work_group_size: 1
    .uses_dynamic_stack: false
    .vgpr_count:     31
    .vgpr_spill_count: 0
    .wavefront_size: 64
  - .args:
      - .address_space:  global
        .offset:         0
        .size:           8
        .value_kind:     global_buffer
      - .address_space:  global
        .offset:         8
        .size:           8
        .value_kind:     global_buffer
      - .offset:         16
        .size:           4
        .value_kind:     hidden_block_count_x
      - .offset:         20
        .size:           4
        .value_kind:     hidden_block_count_y
      - .offset:         24
        .size:           4
        .value_kind:     hidden_block_count_z
      - .offset:         28
        .size:           2
        .value_kind:     hidden_group_size_x
      - .offset:         30
        .size:           2
        .value_kind:     hidden_group_size_y
      - .offset:         32
        .size:           2
        .value_kind:     hidden_group_size_z
      - .offset:         34
        .size:           2
        .value_kind:     hidden_remainder_x
      - .offset:         36
        .size:           2
        .value_kind:     hidden_remainder_y
      - .offset:         38
        .size:           2
        .value_kind:     hidden_remainder_z
      - .offset:         56
        .size:           8
        .value_kind:     hidden_global_offset_x
      - .offset:         64
        .size:           8
        .value_kind:     hidden_global_offset_y
      - .offset:         72
        .size:           8
        .value_kind:     hidden_global_offset_z
      - .offset:         80
        .size:           2
        .value_kind:     hidden_grid_dims
    .group_segment_fixed_size: 2064
    .kernarg_segment_align: 8
    .kernarg_segment_size: 272
    .language:       OpenCL C
    .language_version:
      - 2
      - 0
    .max_flat_workgroup_size: 128
    .name:           _Z17sort_pairs_kernelI22helper_blocked_stripediLj128ELj1ELj10EEvPKT0_PS1_
    .private_segment_fixed_size: 0
    .sgpr_count:     41
    .sgpr_spill_count: 0
    .symbol:         _Z17sort_pairs_kernelI22helper_blocked_stripediLj128ELj1ELj10EEvPKT0_PS1_.kd
    .uniform_work_group_size: 1
    .uses_dynamic_stack: false
    .vgpr_count:     32
    .vgpr_spill_count: 0
    .wavefront_size: 64
  - .args:
      - .address_space:  global
        .offset:         0
        .size:           8
        .value_kind:     global_buffer
      - .address_space:  global
        .offset:         8
        .size:           8
        .value_kind:     global_buffer
      - .offset:         16
        .size:           4
        .value_kind:     hidden_block_count_x
      - .offset:         20
        .size:           4
        .value_kind:     hidden_block_count_y
      - .offset:         24
        .size:           4
        .value_kind:     hidden_block_count_z
      - .offset:         28
        .size:           2
        .value_kind:     hidden_group_size_x
      - .offset:         30
        .size:           2
        .value_kind:     hidden_group_size_y
      - .offset:         32
        .size:           2
        .value_kind:     hidden_group_size_z
      - .offset:         34
        .size:           2
        .value_kind:     hidden_remainder_x
      - .offset:         36
        .size:           2
        .value_kind:     hidden_remainder_y
      - .offset:         38
        .size:           2
        .value_kind:     hidden_remainder_z
      - .offset:         56
        .size:           8
        .value_kind:     hidden_global_offset_x
      - .offset:         64
        .size:           8
        .value_kind:     hidden_global_offset_y
      - .offset:         72
        .size:           8
        .value_kind:     hidden_global_offset_z
      - .offset:         80
        .size:           2
        .value_kind:     hidden_grid_dims
    .group_segment_fixed_size: 2064
    .kernarg_segment_align: 8
    .kernarg_segment_size: 272
    .language:       OpenCL C
    .language_version:
      - 2
      - 0
    .max_flat_workgroup_size: 128
    .name:           _Z16sort_keys_kernelI22helper_blocked_stripediLj128ELj3ELj10EEvPKT0_PS1_
    .private_segment_fixed_size: 0
    .sgpr_count:     40
    .sgpr_spill_count: 0
    .symbol:         _Z16sort_keys_kernelI22helper_blocked_stripediLj128ELj3ELj10EEvPKT0_PS1_.kd
    .uniform_work_group_size: 1
    .uses_dynamic_stack: false
    .vgpr_count:     35
    .vgpr_spill_count: 0
    .wavefront_size: 64
  - .args:
      - .address_space:  global
        .offset:         0
        .size:           8
        .value_kind:     global_buffer
      - .address_space:  global
        .offset:         8
        .size:           8
        .value_kind:     global_buffer
      - .offset:         16
        .size:           4
        .value_kind:     hidden_block_count_x
      - .offset:         20
        .size:           4
        .value_kind:     hidden_block_count_y
      - .offset:         24
        .size:           4
        .value_kind:     hidden_block_count_z
      - .offset:         28
        .size:           2
        .value_kind:     hidden_group_size_x
      - .offset:         30
        .size:           2
        .value_kind:     hidden_group_size_y
      - .offset:         32
        .size:           2
        .value_kind:     hidden_group_size_z
      - .offset:         34
        .size:           2
        .value_kind:     hidden_remainder_x
      - .offset:         36
        .size:           2
        .value_kind:     hidden_remainder_y
      - .offset:         38
        .size:           2
        .value_kind:     hidden_remainder_z
      - .offset:         56
        .size:           8
        .value_kind:     hidden_global_offset_x
      - .offset:         64
        .size:           8
        .value_kind:     hidden_global_offset_y
      - .offset:         72
        .size:           8
        .value_kind:     hidden_global_offset_z
      - .offset:         80
        .size:           2
        .value_kind:     hidden_grid_dims
    .group_segment_fixed_size: 2064
    .kernarg_segment_align: 8
    .kernarg_segment_size: 272
    .language:       OpenCL C
    .language_version:
      - 2
      - 0
    .max_flat_workgroup_size: 128
    .name:           _Z17sort_pairs_kernelI22helper_blocked_stripediLj128ELj3ELj10EEvPKT0_PS1_
    .private_segment_fixed_size: 0
    .sgpr_count:     42
    .sgpr_spill_count: 0
    .symbol:         _Z17sort_pairs_kernelI22helper_blocked_stripediLj128ELj3ELj10EEvPKT0_PS1_.kd
    .uniform_work_group_size: 1
    .uses_dynamic_stack: false
    .vgpr_count:     35
    .vgpr_spill_count: 0
    .wavefront_size: 64
  - .args:
      - .address_space:  global
        .offset:         0
        .size:           8
        .value_kind:     global_buffer
      - .address_space:  global
        .offset:         8
        .size:           8
        .value_kind:     global_buffer
      - .offset:         16
        .size:           4
        .value_kind:     hidden_block_count_x
      - .offset:         20
        .size:           4
        .value_kind:     hidden_block_count_y
      - .offset:         24
        .size:           4
        .value_kind:     hidden_block_count_z
      - .offset:         28
        .size:           2
        .value_kind:     hidden_group_size_x
      - .offset:         30
        .size:           2
        .value_kind:     hidden_group_size_y
      - .offset:         32
        .size:           2
        .value_kind:     hidden_group_size_z
      - .offset:         34
        .size:           2
        .value_kind:     hidden_remainder_x
      - .offset:         36
        .size:           2
        .value_kind:     hidden_remainder_y
      - .offset:         38
        .size:           2
        .value_kind:     hidden_remainder_z
      - .offset:         56
        .size:           8
        .value_kind:     hidden_global_offset_x
      - .offset:         64
        .size:           8
        .value_kind:     hidden_global_offset_y
      - .offset:         72
        .size:           8
        .value_kind:     hidden_global_offset_z
      - .offset:         80
        .size:           2
        .value_kind:     hidden_grid_dims
    .group_segment_fixed_size: 2064
    .kernarg_segment_align: 8
    .kernarg_segment_size: 272
    .language:       OpenCL C
    .language_version:
      - 2
      - 0
    .max_flat_workgroup_size: 128
    .name:           _Z16sort_keys_kernelI22helper_blocked_stripediLj128ELj4ELj10EEvPKT0_PS1_
    .private_segment_fixed_size: 0
    .sgpr_count:     50
    .sgpr_spill_count: 0
    .symbol:         _Z16sort_keys_kernelI22helper_blocked_stripediLj128ELj4ELj10EEvPKT0_PS1_.kd
    .uniform_work_group_size: 1
    .uses_dynamic_stack: false
    .vgpr_count:     37
    .vgpr_spill_count: 0
    .wavefront_size: 64
  - .args:
      - .address_space:  global
        .offset:         0
        .size:           8
        .value_kind:     global_buffer
      - .address_space:  global
        .offset:         8
        .size:           8
        .value_kind:     global_buffer
      - .offset:         16
        .size:           4
        .value_kind:     hidden_block_count_x
      - .offset:         20
        .size:           4
        .value_kind:     hidden_block_count_y
      - .offset:         24
        .size:           4
        .value_kind:     hidden_block_count_z
      - .offset:         28
        .size:           2
        .value_kind:     hidden_group_size_x
      - .offset:         30
        .size:           2
        .value_kind:     hidden_group_size_y
      - .offset:         32
        .size:           2
        .value_kind:     hidden_group_size_z
      - .offset:         34
        .size:           2
        .value_kind:     hidden_remainder_x
      - .offset:         36
        .size:           2
        .value_kind:     hidden_remainder_y
      - .offset:         38
        .size:           2
        .value_kind:     hidden_remainder_z
      - .offset:         56
        .size:           8
        .value_kind:     hidden_global_offset_x
      - .offset:         64
        .size:           8
        .value_kind:     hidden_global_offset_y
      - .offset:         72
        .size:           8
        .value_kind:     hidden_global_offset_z
      - .offset:         80
        .size:           2
        .value_kind:     hidden_grid_dims
    .group_segment_fixed_size: 2064
    .kernarg_segment_align: 8
    .kernarg_segment_size: 272
    .language:       OpenCL C
    .language_version:
      - 2
      - 0
    .max_flat_workgroup_size: 128
    .name:           _Z17sort_pairs_kernelI22helper_blocked_stripediLj128ELj4ELj10EEvPKT0_PS1_
    .private_segment_fixed_size: 0
    .sgpr_count:     50
    .sgpr_spill_count: 0
    .symbol:         _Z17sort_pairs_kernelI22helper_blocked_stripediLj128ELj4ELj10EEvPKT0_PS1_.kd
    .uniform_work_group_size: 1
    .uses_dynamic_stack: false
    .vgpr_count:     41
    .vgpr_spill_count: 0
    .wavefront_size: 64
  - .args:
      - .address_space:  global
        .offset:         0
        .size:           8
        .value_kind:     global_buffer
      - .address_space:  global
        .offset:         8
        .size:           8
        .value_kind:     global_buffer
      - .offset:         16
        .size:           4
        .value_kind:     hidden_block_count_x
      - .offset:         20
        .size:           4
        .value_kind:     hidden_block_count_y
      - .offset:         24
        .size:           4
        .value_kind:     hidden_block_count_z
      - .offset:         28
        .size:           2
        .value_kind:     hidden_group_size_x
      - .offset:         30
        .size:           2
        .value_kind:     hidden_group_size_y
      - .offset:         32
        .size:           2
        .value_kind:     hidden_group_size_z
      - .offset:         34
        .size:           2
        .value_kind:     hidden_remainder_x
      - .offset:         36
        .size:           2
        .value_kind:     hidden_remainder_y
      - .offset:         38
        .size:           2
        .value_kind:     hidden_remainder_z
      - .offset:         56
        .size:           8
        .value_kind:     hidden_global_offset_x
      - .offset:         64
        .size:           8
        .value_kind:     hidden_global_offset_y
      - .offset:         72
        .size:           8
        .value_kind:     hidden_global_offset_z
      - .offset:         80
        .size:           2
        .value_kind:     hidden_grid_dims
    .group_segment_fixed_size: 4096
    .kernarg_segment_align: 8
    .kernarg_segment_size: 272
    .language:       OpenCL C
    .language_version:
      - 2
      - 0
    .max_flat_workgroup_size: 128
    .name:           _Z16sort_keys_kernelI22helper_blocked_stripediLj128ELj8ELj10EEvPKT0_PS1_
    .private_segment_fixed_size: 0
    .sgpr_count:     40
    .sgpr_spill_count: 0
    .symbol:         _Z16sort_keys_kernelI22helper_blocked_stripediLj128ELj8ELj10EEvPKT0_PS1_.kd
    .uniform_work_group_size: 1
    .uses_dynamic_stack: false
    .vgpr_count:     54
    .vgpr_spill_count: 0
    .wavefront_size: 64
  - .args:
      - .address_space:  global
        .offset:         0
        .size:           8
        .value_kind:     global_buffer
      - .address_space:  global
        .offset:         8
        .size:           8
        .value_kind:     global_buffer
      - .offset:         16
        .size:           4
        .value_kind:     hidden_block_count_x
      - .offset:         20
        .size:           4
        .value_kind:     hidden_block_count_y
      - .offset:         24
        .size:           4
        .value_kind:     hidden_block_count_z
      - .offset:         28
        .size:           2
        .value_kind:     hidden_group_size_x
      - .offset:         30
        .size:           2
        .value_kind:     hidden_group_size_y
      - .offset:         32
        .size:           2
        .value_kind:     hidden_group_size_z
      - .offset:         34
        .size:           2
        .value_kind:     hidden_remainder_x
      - .offset:         36
        .size:           2
        .value_kind:     hidden_remainder_y
      - .offset:         38
        .size:           2
        .value_kind:     hidden_remainder_z
      - .offset:         56
        .size:           8
        .value_kind:     hidden_global_offset_x
      - .offset:         64
        .size:           8
        .value_kind:     hidden_global_offset_y
      - .offset:         72
        .size:           8
        .value_kind:     hidden_global_offset_z
      - .offset:         80
        .size:           2
        .value_kind:     hidden_grid_dims
    .group_segment_fixed_size: 4096
    .kernarg_segment_align: 8
    .kernarg_segment_size: 272
    .language:       OpenCL C
    .language_version:
      - 2
      - 0
    .max_flat_workgroup_size: 128
    .name:           _Z17sort_pairs_kernelI22helper_blocked_stripediLj128ELj8ELj10EEvPKT0_PS1_
    .private_segment_fixed_size: 0
    .sgpr_count:     42
    .sgpr_spill_count: 0
    .symbol:         _Z17sort_pairs_kernelI22helper_blocked_stripediLj128ELj8ELj10EEvPKT0_PS1_.kd
    .uniform_work_group_size: 1
    .uses_dynamic_stack: false
    .vgpr_count:     58
    .vgpr_spill_count: 0
    .wavefront_size: 64
  - .args:
      - .address_space:  global
        .offset:         0
        .size:           8
        .value_kind:     global_buffer
      - .address_space:  global
        .offset:         8
        .size:           8
        .value_kind:     global_buffer
      - .offset:         16
        .size:           4
        .value_kind:     hidden_block_count_x
      - .offset:         20
        .size:           4
        .value_kind:     hidden_block_count_y
      - .offset:         24
        .size:           4
        .value_kind:     hidden_block_count_z
      - .offset:         28
        .size:           2
        .value_kind:     hidden_group_size_x
      - .offset:         30
        .size:           2
        .value_kind:     hidden_group_size_y
      - .offset:         32
        .size:           2
        .value_kind:     hidden_group_size_z
      - .offset:         34
        .size:           2
        .value_kind:     hidden_remainder_x
      - .offset:         36
        .size:           2
        .value_kind:     hidden_remainder_y
      - .offset:         38
        .size:           2
        .value_kind:     hidden_remainder_z
      - .offset:         56
        .size:           8
        .value_kind:     hidden_global_offset_x
      - .offset:         64
        .size:           8
        .value_kind:     hidden_global_offset_y
      - .offset:         72
        .size:           8
        .value_kind:     hidden_global_offset_z
      - .offset:         80
        .size:           2
        .value_kind:     hidden_grid_dims
    .group_segment_fixed_size: 3088
    .kernarg_segment_align: 8
    .kernarg_segment_size: 272
    .language:       OpenCL C
    .language_version:
      - 2
      - 0
    .max_flat_workgroup_size: 192
    .name:           _Z16sort_keys_kernelI22helper_blocked_stripediLj192ELj1ELj10EEvPKT0_PS1_
    .private_segment_fixed_size: 0
    .sgpr_count:     40
    .sgpr_spill_count: 0
    .symbol:         _Z16sort_keys_kernelI22helper_blocked_stripediLj192ELj1ELj10EEvPKT0_PS1_.kd
    .uniform_work_group_size: 1
    .uses_dynamic_stack: false
    .vgpr_count:     27
    .vgpr_spill_count: 0
    .wavefront_size: 64
  - .args:
      - .address_space:  global
        .offset:         0
        .size:           8
        .value_kind:     global_buffer
      - .address_space:  global
        .offset:         8
        .size:           8
        .value_kind:     global_buffer
      - .offset:         16
        .size:           4
        .value_kind:     hidden_block_count_x
      - .offset:         20
        .size:           4
        .value_kind:     hidden_block_count_y
      - .offset:         24
        .size:           4
        .value_kind:     hidden_block_count_z
      - .offset:         28
        .size:           2
        .value_kind:     hidden_group_size_x
      - .offset:         30
        .size:           2
        .value_kind:     hidden_group_size_y
      - .offset:         32
        .size:           2
        .value_kind:     hidden_group_size_z
      - .offset:         34
        .size:           2
        .value_kind:     hidden_remainder_x
      - .offset:         36
        .size:           2
        .value_kind:     hidden_remainder_y
      - .offset:         38
        .size:           2
        .value_kind:     hidden_remainder_z
      - .offset:         56
        .size:           8
        .value_kind:     hidden_global_offset_x
      - .offset:         64
        .size:           8
        .value_kind:     hidden_global_offset_y
      - .offset:         72
        .size:           8
        .value_kind:     hidden_global_offset_z
      - .offset:         80
        .size:           2
        .value_kind:     hidden_grid_dims
    .group_segment_fixed_size: 3088
    .kernarg_segment_align: 8
    .kernarg_segment_size: 272
    .language:       OpenCL C
    .language_version:
      - 2
      - 0
    .max_flat_workgroup_size: 192
    .name:           _Z17sort_pairs_kernelI22helper_blocked_stripediLj192ELj1ELj10EEvPKT0_PS1_
    .private_segment_fixed_size: 0
    .sgpr_count:     40
    .sgpr_spill_count: 0
    .symbol:         _Z17sort_pairs_kernelI22helper_blocked_stripediLj192ELj1ELj10EEvPKT0_PS1_.kd
    .uniform_work_group_size: 1
    .uses_dynamic_stack: false
    .vgpr_count:     28
    .vgpr_spill_count: 0
    .wavefront_size: 64
  - .args:
      - .address_space:  global
        .offset:         0
        .size:           8
        .value_kind:     global_buffer
      - .address_space:  global
        .offset:         8
        .size:           8
        .value_kind:     global_buffer
      - .offset:         16
        .size:           4
        .value_kind:     hidden_block_count_x
      - .offset:         20
        .size:           4
        .value_kind:     hidden_block_count_y
      - .offset:         24
        .size:           4
        .value_kind:     hidden_block_count_z
      - .offset:         28
        .size:           2
        .value_kind:     hidden_group_size_x
      - .offset:         30
        .size:           2
        .value_kind:     hidden_group_size_y
      - .offset:         32
        .size:           2
        .value_kind:     hidden_group_size_z
      - .offset:         34
        .size:           2
        .value_kind:     hidden_remainder_x
      - .offset:         36
        .size:           2
        .value_kind:     hidden_remainder_y
      - .offset:         38
        .size:           2
        .value_kind:     hidden_remainder_z
      - .offset:         56
        .size:           8
        .value_kind:     hidden_global_offset_x
      - .offset:         64
        .size:           8
        .value_kind:     hidden_global_offset_y
      - .offset:         72
        .size:           8
        .value_kind:     hidden_global_offset_z
      - .offset:         80
        .size:           2
        .value_kind:     hidden_grid_dims
    .group_segment_fixed_size: 3088
    .kernarg_segment_align: 8
    .kernarg_segment_size: 272
    .language:       OpenCL C
    .language_version:
      - 2
      - 0
    .max_flat_workgroup_size: 192
    .name:           _Z16sort_keys_kernelI22helper_blocked_stripediLj192ELj3ELj10EEvPKT0_PS1_
    .private_segment_fixed_size: 0
    .sgpr_count:     42
    .sgpr_spill_count: 0
    .symbol:         _Z16sort_keys_kernelI22helper_blocked_stripediLj192ELj3ELj10EEvPKT0_PS1_.kd
    .uniform_work_group_size: 1
    .uses_dynamic_stack: false
    .vgpr_count:     31
    .vgpr_spill_count: 0
    .wavefront_size: 64
  - .args:
      - .address_space:  global
        .offset:         0
        .size:           8
        .value_kind:     global_buffer
      - .address_space:  global
        .offset:         8
        .size:           8
        .value_kind:     global_buffer
      - .offset:         16
        .size:           4
        .value_kind:     hidden_block_count_x
      - .offset:         20
        .size:           4
        .value_kind:     hidden_block_count_y
      - .offset:         24
        .size:           4
        .value_kind:     hidden_block_count_z
      - .offset:         28
        .size:           2
        .value_kind:     hidden_group_size_x
      - .offset:         30
        .size:           2
        .value_kind:     hidden_group_size_y
      - .offset:         32
        .size:           2
        .value_kind:     hidden_group_size_z
      - .offset:         34
        .size:           2
        .value_kind:     hidden_remainder_x
      - .offset:         36
        .size:           2
        .value_kind:     hidden_remainder_y
      - .offset:         38
        .size:           2
        .value_kind:     hidden_remainder_z
      - .offset:         56
        .size:           8
        .value_kind:     hidden_global_offset_x
      - .offset:         64
        .size:           8
        .value_kind:     hidden_global_offset_y
      - .offset:         72
        .size:           8
        .value_kind:     hidden_global_offset_z
      - .offset:         80
        .size:           2
        .value_kind:     hidden_grid_dims
    .group_segment_fixed_size: 3088
    .kernarg_segment_align: 8
    .kernarg_segment_size: 272
    .language:       OpenCL C
    .language_version:
      - 2
      - 0
    .max_flat_workgroup_size: 192
    .name:           _Z17sort_pairs_kernelI22helper_blocked_stripediLj192ELj3ELj10EEvPKT0_PS1_
    .private_segment_fixed_size: 0
    .sgpr_count:     42
    .sgpr_spill_count: 0
    .symbol:         _Z17sort_pairs_kernelI22helper_blocked_stripediLj192ELj3ELj10EEvPKT0_PS1_.kd
    .uniform_work_group_size: 1
    .uses_dynamic_stack: false
    .vgpr_count:     34
    .vgpr_spill_count: 0
    .wavefront_size: 64
  - .args:
      - .address_space:  global
        .offset:         0
        .size:           8
        .value_kind:     global_buffer
      - .address_space:  global
        .offset:         8
        .size:           8
        .value_kind:     global_buffer
      - .offset:         16
        .size:           4
        .value_kind:     hidden_block_count_x
      - .offset:         20
        .size:           4
        .value_kind:     hidden_block_count_y
      - .offset:         24
        .size:           4
        .value_kind:     hidden_block_count_z
      - .offset:         28
        .size:           2
        .value_kind:     hidden_group_size_x
      - .offset:         30
        .size:           2
        .value_kind:     hidden_group_size_y
      - .offset:         32
        .size:           2
        .value_kind:     hidden_group_size_z
      - .offset:         34
        .size:           2
        .value_kind:     hidden_remainder_x
      - .offset:         36
        .size:           2
        .value_kind:     hidden_remainder_y
      - .offset:         38
        .size:           2
        .value_kind:     hidden_remainder_z
      - .offset:         56
        .size:           8
        .value_kind:     hidden_global_offset_x
      - .offset:         64
        .size:           8
        .value_kind:     hidden_global_offset_y
      - .offset:         72
        .size:           8
        .value_kind:     hidden_global_offset_z
      - .offset:         80
        .size:           2
        .value_kind:     hidden_grid_dims
    .group_segment_fixed_size: 3088
    .kernarg_segment_align: 8
    .kernarg_segment_size: 272
    .language:       OpenCL C
    .language_version:
      - 2
      - 0
    .max_flat_workgroup_size: 192
    .name:           _Z16sort_keys_kernelI22helper_blocked_stripediLj192ELj4ELj10EEvPKT0_PS1_
    .private_segment_fixed_size: 0
    .sgpr_count:     48
    .sgpr_spill_count: 0
    .symbol:         _Z16sort_keys_kernelI22helper_blocked_stripediLj192ELj4ELj10EEvPKT0_PS1_.kd
    .uniform_work_group_size: 1
    .uses_dynamic_stack: false
    .vgpr_count:     35
    .vgpr_spill_count: 0
    .wavefront_size: 64
  - .args:
      - .address_space:  global
        .offset:         0
        .size:           8
        .value_kind:     global_buffer
      - .address_space:  global
        .offset:         8
        .size:           8
        .value_kind:     global_buffer
      - .offset:         16
        .size:           4
        .value_kind:     hidden_block_count_x
      - .offset:         20
        .size:           4
        .value_kind:     hidden_block_count_y
      - .offset:         24
        .size:           4
        .value_kind:     hidden_block_count_z
      - .offset:         28
        .size:           2
        .value_kind:     hidden_group_size_x
      - .offset:         30
        .size:           2
        .value_kind:     hidden_group_size_y
      - .offset:         32
        .size:           2
        .value_kind:     hidden_group_size_z
      - .offset:         34
        .size:           2
        .value_kind:     hidden_remainder_x
      - .offset:         36
        .size:           2
        .value_kind:     hidden_remainder_y
      - .offset:         38
        .size:           2
        .value_kind:     hidden_remainder_z
      - .offset:         56
        .size:           8
        .value_kind:     hidden_global_offset_x
      - .offset:         64
        .size:           8
        .value_kind:     hidden_global_offset_y
      - .offset:         72
        .size:           8
        .value_kind:     hidden_global_offset_z
      - .offset:         80
        .size:           2
        .value_kind:     hidden_grid_dims
    .group_segment_fixed_size: 3088
    .kernarg_segment_align: 8
    .kernarg_segment_size: 272
    .language:       OpenCL C
    .language_version:
      - 2
      - 0
    .max_flat_workgroup_size: 192
    .name:           _Z17sort_pairs_kernelI22helper_blocked_stripediLj192ELj4ELj10EEvPKT0_PS1_
    .private_segment_fixed_size: 0
    .sgpr_count:     48
    .sgpr_spill_count: 0
    .symbol:         _Z17sort_pairs_kernelI22helper_blocked_stripediLj192ELj4ELj10EEvPKT0_PS1_.kd
    .uniform_work_group_size: 1
    .uses_dynamic_stack: false
    .vgpr_count:     39
    .vgpr_spill_count: 0
    .wavefront_size: 64
  - .args:
      - .address_space:  global
        .offset:         0
        .size:           8
        .value_kind:     global_buffer
      - .address_space:  global
        .offset:         8
        .size:           8
        .value_kind:     global_buffer
      - .offset:         16
        .size:           4
        .value_kind:     hidden_block_count_x
      - .offset:         20
        .size:           4
        .value_kind:     hidden_block_count_y
      - .offset:         24
        .size:           4
        .value_kind:     hidden_block_count_z
      - .offset:         28
        .size:           2
        .value_kind:     hidden_group_size_x
      - .offset:         30
        .size:           2
        .value_kind:     hidden_group_size_y
      - .offset:         32
        .size:           2
        .value_kind:     hidden_group_size_z
      - .offset:         34
        .size:           2
        .value_kind:     hidden_remainder_x
      - .offset:         36
        .size:           2
        .value_kind:     hidden_remainder_y
      - .offset:         38
        .size:           2
        .value_kind:     hidden_remainder_z
      - .offset:         56
        .size:           8
        .value_kind:     hidden_global_offset_x
      - .offset:         64
        .size:           8
        .value_kind:     hidden_global_offset_y
      - .offset:         72
        .size:           8
        .value_kind:     hidden_global_offset_z
      - .offset:         80
        .size:           2
        .value_kind:     hidden_grid_dims
    .group_segment_fixed_size: 6336
    .kernarg_segment_align: 8
    .kernarg_segment_size: 272
    .language:       OpenCL C
    .language_version:
      - 2
      - 0
    .max_flat_workgroup_size: 192
    .name:           _Z16sort_keys_kernelI22helper_blocked_stripediLj192ELj8ELj10EEvPKT0_PS1_
    .private_segment_fixed_size: 0
    .sgpr_count:     42
    .sgpr_spill_count: 0
    .symbol:         _Z16sort_keys_kernelI22helper_blocked_stripediLj192ELj8ELj10EEvPKT0_PS1_.kd
    .uniform_work_group_size: 1
    .uses_dynamic_stack: false
    .vgpr_count:     57
    .vgpr_spill_count: 0
    .wavefront_size: 64
  - .args:
      - .address_space:  global
        .offset:         0
        .size:           8
        .value_kind:     global_buffer
      - .address_space:  global
        .offset:         8
        .size:           8
        .value_kind:     global_buffer
      - .offset:         16
        .size:           4
        .value_kind:     hidden_block_count_x
      - .offset:         20
        .size:           4
        .value_kind:     hidden_block_count_y
      - .offset:         24
        .size:           4
        .value_kind:     hidden_block_count_z
      - .offset:         28
        .size:           2
        .value_kind:     hidden_group_size_x
      - .offset:         30
        .size:           2
        .value_kind:     hidden_group_size_y
      - .offset:         32
        .size:           2
        .value_kind:     hidden_group_size_z
      - .offset:         34
        .size:           2
        .value_kind:     hidden_remainder_x
      - .offset:         36
        .size:           2
        .value_kind:     hidden_remainder_y
      - .offset:         38
        .size:           2
        .value_kind:     hidden_remainder_z
      - .offset:         56
        .size:           8
        .value_kind:     hidden_global_offset_x
      - .offset:         64
        .size:           8
        .value_kind:     hidden_global_offset_y
      - .offset:         72
        .size:           8
        .value_kind:     hidden_global_offset_z
      - .offset:         80
        .size:           2
        .value_kind:     hidden_grid_dims
    .group_segment_fixed_size: 6336
    .kernarg_segment_align: 8
    .kernarg_segment_size: 272
    .language:       OpenCL C
    .language_version:
      - 2
      - 0
    .max_flat_workgroup_size: 192
    .name:           _Z17sort_pairs_kernelI22helper_blocked_stripediLj192ELj8ELj10EEvPKT0_PS1_
    .private_segment_fixed_size: 0
    .sgpr_count:     42
    .sgpr_spill_count: 0
    .symbol:         _Z17sort_pairs_kernelI22helper_blocked_stripediLj192ELj8ELj10EEvPKT0_PS1_.kd
    .uniform_work_group_size: 1
    .uses_dynamic_stack: false
    .vgpr_count:     63
    .vgpr_spill_count: 0
    .wavefront_size: 64
  - .args:
      - .address_space:  global
        .offset:         0
        .size:           8
        .value_kind:     global_buffer
      - .address_space:  global
        .offset:         8
        .size:           8
        .value_kind:     global_buffer
      - .offset:         16
        .size:           4
        .value_kind:     hidden_block_count_x
      - .offset:         20
        .size:           4
        .value_kind:     hidden_block_count_y
      - .offset:         24
        .size:           4
        .value_kind:     hidden_block_count_z
      - .offset:         28
        .size:           2
        .value_kind:     hidden_group_size_x
      - .offset:         30
        .size:           2
        .value_kind:     hidden_group_size_y
      - .offset:         32
        .size:           2
        .value_kind:     hidden_group_size_z
      - .offset:         34
        .size:           2
        .value_kind:     hidden_remainder_x
      - .offset:         36
        .size:           2
        .value_kind:     hidden_remainder_y
      - .offset:         38
        .size:           2
        .value_kind:     hidden_remainder_z
      - .offset:         56
        .size:           8
        .value_kind:     hidden_global_offset_x
      - .offset:         64
        .size:           8
        .value_kind:     hidden_global_offset_y
      - .offset:         72
        .size:           8
        .value_kind:     hidden_global_offset_z
      - .offset:         80
        .size:           2
        .value_kind:     hidden_grid_dims
    .group_segment_fixed_size: 4112
    .kernarg_segment_align: 8
    .kernarg_segment_size: 272
    .language:       OpenCL C
    .language_version:
      - 2
      - 0
    .max_flat_workgroup_size: 256
    .name:           _Z16sort_keys_kernelI22helper_blocked_stripediLj256ELj1ELj10EEvPKT0_PS1_
    .private_segment_fixed_size: 0
    .sgpr_count:     43
    .sgpr_spill_count: 0
    .symbol:         _Z16sort_keys_kernelI22helper_blocked_stripediLj256ELj1ELj10EEvPKT0_PS1_.kd
    .uniform_work_group_size: 1
    .uses_dynamic_stack: false
    .vgpr_count:     31
    .vgpr_spill_count: 0
    .wavefront_size: 64
  - .args:
      - .address_space:  global
        .offset:         0
        .size:           8
        .value_kind:     global_buffer
      - .address_space:  global
        .offset:         8
        .size:           8
        .value_kind:     global_buffer
      - .offset:         16
        .size:           4
        .value_kind:     hidden_block_count_x
      - .offset:         20
        .size:           4
        .value_kind:     hidden_block_count_y
      - .offset:         24
        .size:           4
        .value_kind:     hidden_block_count_z
      - .offset:         28
        .size:           2
        .value_kind:     hidden_group_size_x
      - .offset:         30
        .size:           2
        .value_kind:     hidden_group_size_y
      - .offset:         32
        .size:           2
        .value_kind:     hidden_group_size_z
      - .offset:         34
        .size:           2
        .value_kind:     hidden_remainder_x
      - .offset:         36
        .size:           2
        .value_kind:     hidden_remainder_y
      - .offset:         38
        .size:           2
        .value_kind:     hidden_remainder_z
      - .offset:         56
        .size:           8
        .value_kind:     hidden_global_offset_x
      - .offset:         64
        .size:           8
        .value_kind:     hidden_global_offset_y
      - .offset:         72
        .size:           8
        .value_kind:     hidden_global_offset_z
      - .offset:         80
        .size:           2
        .value_kind:     hidden_grid_dims
    .group_segment_fixed_size: 4112
    .kernarg_segment_align: 8
    .kernarg_segment_size: 272
    .language:       OpenCL C
    .language_version:
      - 2
      - 0
    .max_flat_workgroup_size: 256
    .name:           _Z17sort_pairs_kernelI22helper_blocked_stripediLj256ELj1ELj10EEvPKT0_PS1_
    .private_segment_fixed_size: 0
    .sgpr_count:     43
    .sgpr_spill_count: 0
    .symbol:         _Z17sort_pairs_kernelI22helper_blocked_stripediLj256ELj1ELj10EEvPKT0_PS1_.kd
    .uniform_work_group_size: 1
    .uses_dynamic_stack: false
    .vgpr_count:     32
    .vgpr_spill_count: 0
    .wavefront_size: 64
  - .args:
      - .address_space:  global
        .offset:         0
        .size:           8
        .value_kind:     global_buffer
      - .address_space:  global
        .offset:         8
        .size:           8
        .value_kind:     global_buffer
      - .offset:         16
        .size:           4
        .value_kind:     hidden_block_count_x
      - .offset:         20
        .size:           4
        .value_kind:     hidden_block_count_y
      - .offset:         24
        .size:           4
        .value_kind:     hidden_block_count_z
      - .offset:         28
        .size:           2
        .value_kind:     hidden_group_size_x
      - .offset:         30
        .size:           2
        .value_kind:     hidden_group_size_y
      - .offset:         32
        .size:           2
        .value_kind:     hidden_group_size_z
      - .offset:         34
        .size:           2
        .value_kind:     hidden_remainder_x
      - .offset:         36
        .size:           2
        .value_kind:     hidden_remainder_y
      - .offset:         38
        .size:           2
        .value_kind:     hidden_remainder_z
      - .offset:         56
        .size:           8
        .value_kind:     hidden_global_offset_x
      - .offset:         64
        .size:           8
        .value_kind:     hidden_global_offset_y
      - .offset:         72
        .size:           8
        .value_kind:     hidden_global_offset_z
      - .offset:         80
        .size:           2
        .value_kind:     hidden_grid_dims
    .group_segment_fixed_size: 4112
    .kernarg_segment_align: 8
    .kernarg_segment_size: 272
    .language:       OpenCL C
    .language_version:
      - 2
      - 0
    .max_flat_workgroup_size: 256
    .name:           _Z16sort_keys_kernelI22helper_blocked_stripediLj256ELj3ELj10EEvPKT0_PS1_
    .private_segment_fixed_size: 0
    .sgpr_count:     42
    .sgpr_spill_count: 0
    .symbol:         _Z16sort_keys_kernelI22helper_blocked_stripediLj256ELj3ELj10EEvPKT0_PS1_.kd
    .uniform_work_group_size: 1
    .uses_dynamic_stack: false
    .vgpr_count:     35
    .vgpr_spill_count: 0
    .wavefront_size: 64
  - .args:
      - .address_space:  global
        .offset:         0
        .size:           8
        .value_kind:     global_buffer
      - .address_space:  global
        .offset:         8
        .size:           8
        .value_kind:     global_buffer
      - .offset:         16
        .size:           4
        .value_kind:     hidden_block_count_x
      - .offset:         20
        .size:           4
        .value_kind:     hidden_block_count_y
      - .offset:         24
        .size:           4
        .value_kind:     hidden_block_count_z
      - .offset:         28
        .size:           2
        .value_kind:     hidden_group_size_x
      - .offset:         30
        .size:           2
        .value_kind:     hidden_group_size_y
      - .offset:         32
        .size:           2
        .value_kind:     hidden_group_size_z
      - .offset:         34
        .size:           2
        .value_kind:     hidden_remainder_x
      - .offset:         36
        .size:           2
        .value_kind:     hidden_remainder_y
      - .offset:         38
        .size:           2
        .value_kind:     hidden_remainder_z
      - .offset:         56
        .size:           8
        .value_kind:     hidden_global_offset_x
      - .offset:         64
        .size:           8
        .value_kind:     hidden_global_offset_y
      - .offset:         72
        .size:           8
        .value_kind:     hidden_global_offset_z
      - .offset:         80
        .size:           2
        .value_kind:     hidden_grid_dims
    .group_segment_fixed_size: 4112
    .kernarg_segment_align: 8
    .kernarg_segment_size: 272
    .language:       OpenCL C
    .language_version:
      - 2
      - 0
    .max_flat_workgroup_size: 256
    .name:           _Z17sort_pairs_kernelI22helper_blocked_stripediLj256ELj3ELj10EEvPKT0_PS1_
    .private_segment_fixed_size: 0
    .sgpr_count:     42
    .sgpr_spill_count: 0
    .symbol:         _Z17sort_pairs_kernelI22helper_blocked_stripediLj256ELj3ELj10EEvPKT0_PS1_.kd
    .uniform_work_group_size: 1
    .uses_dynamic_stack: false
    .vgpr_count:     38
    .vgpr_spill_count: 0
    .wavefront_size: 64
  - .args:
      - .address_space:  global
        .offset:         0
        .size:           8
        .value_kind:     global_buffer
      - .address_space:  global
        .offset:         8
        .size:           8
        .value_kind:     global_buffer
      - .offset:         16
        .size:           4
        .value_kind:     hidden_block_count_x
      - .offset:         20
        .size:           4
        .value_kind:     hidden_block_count_y
      - .offset:         24
        .size:           4
        .value_kind:     hidden_block_count_z
      - .offset:         28
        .size:           2
        .value_kind:     hidden_group_size_x
      - .offset:         30
        .size:           2
        .value_kind:     hidden_group_size_y
      - .offset:         32
        .size:           2
        .value_kind:     hidden_group_size_z
      - .offset:         34
        .size:           2
        .value_kind:     hidden_remainder_x
      - .offset:         36
        .size:           2
        .value_kind:     hidden_remainder_y
      - .offset:         38
        .size:           2
        .value_kind:     hidden_remainder_z
      - .offset:         56
        .size:           8
        .value_kind:     hidden_global_offset_x
      - .offset:         64
        .size:           8
        .value_kind:     hidden_global_offset_y
      - .offset:         72
        .size:           8
        .value_kind:     hidden_global_offset_z
      - .offset:         80
        .size:           2
        .value_kind:     hidden_grid_dims
    .group_segment_fixed_size: 4112
    .kernarg_segment_align: 8
    .kernarg_segment_size: 272
    .language:       OpenCL C
    .language_version:
      - 2
      - 0
    .max_flat_workgroup_size: 256
    .name:           _Z16sort_keys_kernelI22helper_blocked_stripediLj256ELj4ELj10EEvPKT0_PS1_
    .private_segment_fixed_size: 0
    .sgpr_count:     48
    .sgpr_spill_count: 0
    .symbol:         _Z16sort_keys_kernelI22helper_blocked_stripediLj256ELj4ELj10EEvPKT0_PS1_.kd
    .uniform_work_group_size: 1
    .uses_dynamic_stack: false
    .vgpr_count:     41
    .vgpr_spill_count: 0
    .wavefront_size: 64
  - .args:
      - .address_space:  global
        .offset:         0
        .size:           8
        .value_kind:     global_buffer
      - .address_space:  global
        .offset:         8
        .size:           8
        .value_kind:     global_buffer
      - .offset:         16
        .size:           4
        .value_kind:     hidden_block_count_x
      - .offset:         20
        .size:           4
        .value_kind:     hidden_block_count_y
      - .offset:         24
        .size:           4
        .value_kind:     hidden_block_count_z
      - .offset:         28
        .size:           2
        .value_kind:     hidden_group_size_x
      - .offset:         30
        .size:           2
        .value_kind:     hidden_group_size_y
      - .offset:         32
        .size:           2
        .value_kind:     hidden_group_size_z
      - .offset:         34
        .size:           2
        .value_kind:     hidden_remainder_x
      - .offset:         36
        .size:           2
        .value_kind:     hidden_remainder_y
      - .offset:         38
        .size:           2
        .value_kind:     hidden_remainder_z
      - .offset:         56
        .size:           8
        .value_kind:     hidden_global_offset_x
      - .offset:         64
        .size:           8
        .value_kind:     hidden_global_offset_y
      - .offset:         72
        .size:           8
        .value_kind:     hidden_global_offset_z
      - .offset:         80
        .size:           2
        .value_kind:     hidden_grid_dims
    .group_segment_fixed_size: 4112
    .kernarg_segment_align: 8
    .kernarg_segment_size: 272
    .language:       OpenCL C
    .language_version:
      - 2
      - 0
    .max_flat_workgroup_size: 256
    .name:           _Z17sort_pairs_kernelI22helper_blocked_stripediLj256ELj4ELj10EEvPKT0_PS1_
    .private_segment_fixed_size: 0
    .sgpr_count:     48
    .sgpr_spill_count: 0
    .symbol:         _Z17sort_pairs_kernelI22helper_blocked_stripediLj256ELj4ELj10EEvPKT0_PS1_.kd
    .uniform_work_group_size: 1
    .uses_dynamic_stack: false
    .vgpr_count:     45
    .vgpr_spill_count: 0
    .wavefront_size: 64
  - .args:
      - .address_space:  global
        .offset:         0
        .size:           8
        .value_kind:     global_buffer
      - .address_space:  global
        .offset:         8
        .size:           8
        .value_kind:     global_buffer
      - .offset:         16
        .size:           4
        .value_kind:     hidden_block_count_x
      - .offset:         20
        .size:           4
        .value_kind:     hidden_block_count_y
      - .offset:         24
        .size:           4
        .value_kind:     hidden_block_count_z
      - .offset:         28
        .size:           2
        .value_kind:     hidden_group_size_x
      - .offset:         30
        .size:           2
        .value_kind:     hidden_group_size_y
      - .offset:         32
        .size:           2
        .value_kind:     hidden_group_size_z
      - .offset:         34
        .size:           2
        .value_kind:     hidden_remainder_x
      - .offset:         36
        .size:           2
        .value_kind:     hidden_remainder_y
      - .offset:         38
        .size:           2
        .value_kind:     hidden_remainder_z
      - .offset:         56
        .size:           8
        .value_kind:     hidden_global_offset_x
      - .offset:         64
        .size:           8
        .value_kind:     hidden_global_offset_y
      - .offset:         72
        .size:           8
        .value_kind:     hidden_global_offset_z
      - .offset:         80
        .size:           2
        .value_kind:     hidden_grid_dims
    .group_segment_fixed_size: 8192
    .kernarg_segment_align: 8
    .kernarg_segment_size: 272
    .language:       OpenCL C
    .language_version:
      - 2
      - 0
    .max_flat_workgroup_size: 256
    .name:           _Z16sort_keys_kernelI22helper_blocked_stripediLj256ELj8ELj10EEvPKT0_PS1_
    .private_segment_fixed_size: 0
    .sgpr_count:     42
    .sgpr_spill_count: 0
    .symbol:         _Z16sort_keys_kernelI22helper_blocked_stripediLj256ELj8ELj10EEvPKT0_PS1_.kd
    .uniform_work_group_size: 1
    .uses_dynamic_stack: false
    .vgpr_count:     54
    .vgpr_spill_count: 0
    .wavefront_size: 64
  - .args:
      - .address_space:  global
        .offset:         0
        .size:           8
        .value_kind:     global_buffer
      - .address_space:  global
        .offset:         8
        .size:           8
        .value_kind:     global_buffer
      - .offset:         16
        .size:           4
        .value_kind:     hidden_block_count_x
      - .offset:         20
        .size:           4
        .value_kind:     hidden_block_count_y
      - .offset:         24
        .size:           4
        .value_kind:     hidden_block_count_z
      - .offset:         28
        .size:           2
        .value_kind:     hidden_group_size_x
      - .offset:         30
        .size:           2
        .value_kind:     hidden_group_size_y
      - .offset:         32
        .size:           2
        .value_kind:     hidden_group_size_z
      - .offset:         34
        .size:           2
        .value_kind:     hidden_remainder_x
      - .offset:         36
        .size:           2
        .value_kind:     hidden_remainder_y
      - .offset:         38
        .size:           2
        .value_kind:     hidden_remainder_z
      - .offset:         56
        .size:           8
        .value_kind:     hidden_global_offset_x
      - .offset:         64
        .size:           8
        .value_kind:     hidden_global_offset_y
      - .offset:         72
        .size:           8
        .value_kind:     hidden_global_offset_z
      - .offset:         80
        .size:           2
        .value_kind:     hidden_grid_dims
    .group_segment_fixed_size: 8192
    .kernarg_segment_align: 8
    .kernarg_segment_size: 272
    .language:       OpenCL C
    .language_version:
      - 2
      - 0
    .max_flat_workgroup_size: 256
    .name:           _Z17sort_pairs_kernelI22helper_blocked_stripediLj256ELj8ELj10EEvPKT0_PS1_
    .private_segment_fixed_size: 0
    .sgpr_count:     42
    .sgpr_spill_count: 0
    .symbol:         _Z17sort_pairs_kernelI22helper_blocked_stripediLj256ELj8ELj10EEvPKT0_PS1_.kd
    .uniform_work_group_size: 1
    .uses_dynamic_stack: false
    .vgpr_count:     62
    .vgpr_spill_count: 0
    .wavefront_size: 64
  - .args:
      - .address_space:  global
        .offset:         0
        .size:           8
        .value_kind:     global_buffer
      - .address_space:  global
        .offset:         8
        .size:           8
        .value_kind:     global_buffer
      - .offset:         16
        .size:           4
        .value_kind:     hidden_block_count_x
      - .offset:         20
        .size:           4
        .value_kind:     hidden_block_count_y
      - .offset:         24
        .size:           4
        .value_kind:     hidden_block_count_z
      - .offset:         28
        .size:           2
        .value_kind:     hidden_group_size_x
      - .offset:         30
        .size:           2
        .value_kind:     hidden_group_size_y
      - .offset:         32
        .size:           2
        .value_kind:     hidden_group_size_z
      - .offset:         34
        .size:           2
        .value_kind:     hidden_remainder_x
      - .offset:         36
        .size:           2
        .value_kind:     hidden_remainder_y
      - .offset:         38
        .size:           2
        .value_kind:     hidden_remainder_z
      - .offset:         56
        .size:           8
        .value_kind:     hidden_global_offset_x
      - .offset:         64
        .size:           8
        .value_kind:     hidden_global_offset_y
      - .offset:         72
        .size:           8
        .value_kind:     hidden_global_offset_z
      - .offset:         80
        .size:           2
        .value_kind:     hidden_grid_dims
    .group_segment_fixed_size: 5152
    .kernarg_segment_align: 8
    .kernarg_segment_size: 272
    .language:       OpenCL C
    .language_version:
      - 2
      - 0
    .max_flat_workgroup_size: 320
    .name:           _Z16sort_keys_kernelI22helper_blocked_stripediLj320ELj1ELj10EEvPKT0_PS1_
    .private_segment_fixed_size: 0
    .sgpr_count:     41
    .sgpr_spill_count: 0
    .symbol:         _Z16sort_keys_kernelI22helper_blocked_stripediLj320ELj1ELj10EEvPKT0_PS1_.kd
    .uniform_work_group_size: 1
    .uses_dynamic_stack: false
    .vgpr_count:     27
    .vgpr_spill_count: 0
    .wavefront_size: 64
  - .args:
      - .address_space:  global
        .offset:         0
        .size:           8
        .value_kind:     global_buffer
      - .address_space:  global
        .offset:         8
        .size:           8
        .value_kind:     global_buffer
      - .offset:         16
        .size:           4
        .value_kind:     hidden_block_count_x
      - .offset:         20
        .size:           4
        .value_kind:     hidden_block_count_y
      - .offset:         24
        .size:           4
        .value_kind:     hidden_block_count_z
      - .offset:         28
        .size:           2
        .value_kind:     hidden_group_size_x
      - .offset:         30
        .size:           2
        .value_kind:     hidden_group_size_y
      - .offset:         32
        .size:           2
        .value_kind:     hidden_group_size_z
      - .offset:         34
        .size:           2
        .value_kind:     hidden_remainder_x
      - .offset:         36
        .size:           2
        .value_kind:     hidden_remainder_y
      - .offset:         38
        .size:           2
        .value_kind:     hidden_remainder_z
      - .offset:         56
        .size:           8
        .value_kind:     hidden_global_offset_x
      - .offset:         64
        .size:           8
        .value_kind:     hidden_global_offset_y
      - .offset:         72
        .size:           8
        .value_kind:     hidden_global_offset_z
      - .offset:         80
        .size:           2
        .value_kind:     hidden_grid_dims
    .group_segment_fixed_size: 5152
    .kernarg_segment_align: 8
    .kernarg_segment_size: 272
    .language:       OpenCL C
    .language_version:
      - 2
      - 0
    .max_flat_workgroup_size: 320
    .name:           _Z17sort_pairs_kernelI22helper_blocked_stripediLj320ELj1ELj10EEvPKT0_PS1_
    .private_segment_fixed_size: 0
    .sgpr_count:     41
    .sgpr_spill_count: 0
    .symbol:         _Z17sort_pairs_kernelI22helper_blocked_stripediLj320ELj1ELj10EEvPKT0_PS1_.kd
    .uniform_work_group_size: 1
    .uses_dynamic_stack: false
    .vgpr_count:     28
    .vgpr_spill_count: 0
    .wavefront_size: 64
  - .args:
      - .address_space:  global
        .offset:         0
        .size:           8
        .value_kind:     global_buffer
      - .address_space:  global
        .offset:         8
        .size:           8
        .value_kind:     global_buffer
      - .offset:         16
        .size:           4
        .value_kind:     hidden_block_count_x
      - .offset:         20
        .size:           4
        .value_kind:     hidden_block_count_y
      - .offset:         24
        .size:           4
        .value_kind:     hidden_block_count_z
      - .offset:         28
        .size:           2
        .value_kind:     hidden_group_size_x
      - .offset:         30
        .size:           2
        .value_kind:     hidden_group_size_y
      - .offset:         32
        .size:           2
        .value_kind:     hidden_group_size_z
      - .offset:         34
        .size:           2
        .value_kind:     hidden_remainder_x
      - .offset:         36
        .size:           2
        .value_kind:     hidden_remainder_y
      - .offset:         38
        .size:           2
        .value_kind:     hidden_remainder_z
      - .offset:         56
        .size:           8
        .value_kind:     hidden_global_offset_x
      - .offset:         64
        .size:           8
        .value_kind:     hidden_global_offset_y
      - .offset:         72
        .size:           8
        .value_kind:     hidden_global_offset_z
      - .offset:         80
        .size:           2
        .value_kind:     hidden_grid_dims
    .group_segment_fixed_size: 5152
    .kernarg_segment_align: 8
    .kernarg_segment_size: 272
    .language:       OpenCL C
    .language_version:
      - 2
      - 0
    .max_flat_workgroup_size: 320
    .name:           _Z16sort_keys_kernelI22helper_blocked_stripediLj320ELj3ELj10EEvPKT0_PS1_
    .private_segment_fixed_size: 0
    .sgpr_count:     44
    .sgpr_spill_count: 0
    .symbol:         _Z16sort_keys_kernelI22helper_blocked_stripediLj320ELj3ELj10EEvPKT0_PS1_.kd
    .uniform_work_group_size: 1
    .uses_dynamic_stack: false
    .vgpr_count:     31
    .vgpr_spill_count: 0
    .wavefront_size: 64
  - .args:
      - .address_space:  global
        .offset:         0
        .size:           8
        .value_kind:     global_buffer
      - .address_space:  global
        .offset:         8
        .size:           8
        .value_kind:     global_buffer
      - .offset:         16
        .size:           4
        .value_kind:     hidden_block_count_x
      - .offset:         20
        .size:           4
        .value_kind:     hidden_block_count_y
      - .offset:         24
        .size:           4
        .value_kind:     hidden_block_count_z
      - .offset:         28
        .size:           2
        .value_kind:     hidden_group_size_x
      - .offset:         30
        .size:           2
        .value_kind:     hidden_group_size_y
      - .offset:         32
        .size:           2
        .value_kind:     hidden_group_size_z
      - .offset:         34
        .size:           2
        .value_kind:     hidden_remainder_x
      - .offset:         36
        .size:           2
        .value_kind:     hidden_remainder_y
      - .offset:         38
        .size:           2
        .value_kind:     hidden_remainder_z
      - .offset:         56
        .size:           8
        .value_kind:     hidden_global_offset_x
      - .offset:         64
        .size:           8
        .value_kind:     hidden_global_offset_y
      - .offset:         72
        .size:           8
        .value_kind:     hidden_global_offset_z
      - .offset:         80
        .size:           2
        .value_kind:     hidden_grid_dims
    .group_segment_fixed_size: 5152
    .kernarg_segment_align: 8
    .kernarg_segment_size: 272
    .language:       OpenCL C
    .language_version:
      - 2
      - 0
    .max_flat_workgroup_size: 320
    .name:           _Z17sort_pairs_kernelI22helper_blocked_stripediLj320ELj3ELj10EEvPKT0_PS1_
    .private_segment_fixed_size: 0
    .sgpr_count:     44
    .sgpr_spill_count: 0
    .symbol:         _Z17sort_pairs_kernelI22helper_blocked_stripediLj320ELj3ELj10EEvPKT0_PS1_.kd
    .uniform_work_group_size: 1
    .uses_dynamic_stack: false
    .vgpr_count:     34
    .vgpr_spill_count: 0
    .wavefront_size: 64
  - .args:
      - .address_space:  global
        .offset:         0
        .size:           8
        .value_kind:     global_buffer
      - .address_space:  global
        .offset:         8
        .size:           8
        .value_kind:     global_buffer
      - .offset:         16
        .size:           4
        .value_kind:     hidden_block_count_x
      - .offset:         20
        .size:           4
        .value_kind:     hidden_block_count_y
      - .offset:         24
        .size:           4
        .value_kind:     hidden_block_count_z
      - .offset:         28
        .size:           2
        .value_kind:     hidden_group_size_x
      - .offset:         30
        .size:           2
        .value_kind:     hidden_group_size_y
      - .offset:         32
        .size:           2
        .value_kind:     hidden_group_size_z
      - .offset:         34
        .size:           2
        .value_kind:     hidden_remainder_x
      - .offset:         36
        .size:           2
        .value_kind:     hidden_remainder_y
      - .offset:         38
        .size:           2
        .value_kind:     hidden_remainder_z
      - .offset:         56
        .size:           8
        .value_kind:     hidden_global_offset_x
      - .offset:         64
        .size:           8
        .value_kind:     hidden_global_offset_y
      - .offset:         72
        .size:           8
        .value_kind:     hidden_global_offset_z
      - .offset:         80
        .size:           2
        .value_kind:     hidden_grid_dims
    .group_segment_fixed_size: 5280
    .kernarg_segment_align: 8
    .kernarg_segment_size: 272
    .language:       OpenCL C
    .language_version:
      - 2
      - 0
    .max_flat_workgroup_size: 320
    .name:           _Z16sort_keys_kernelI22helper_blocked_stripediLj320ELj4ELj10EEvPKT0_PS1_
    .private_segment_fixed_size: 0
    .sgpr_count:     52
    .sgpr_spill_count: 0
    .symbol:         _Z16sort_keys_kernelI22helper_blocked_stripediLj320ELj4ELj10EEvPKT0_PS1_.kd
    .uniform_work_group_size: 1
    .uses_dynamic_stack: false
    .vgpr_count:     39
    .vgpr_spill_count: 0
    .wavefront_size: 64
  - .args:
      - .address_space:  global
        .offset:         0
        .size:           8
        .value_kind:     global_buffer
      - .address_space:  global
        .offset:         8
        .size:           8
        .value_kind:     global_buffer
      - .offset:         16
        .size:           4
        .value_kind:     hidden_block_count_x
      - .offset:         20
        .size:           4
        .value_kind:     hidden_block_count_y
      - .offset:         24
        .size:           4
        .value_kind:     hidden_block_count_z
      - .offset:         28
        .size:           2
        .value_kind:     hidden_group_size_x
      - .offset:         30
        .size:           2
        .value_kind:     hidden_group_size_y
      - .offset:         32
        .size:           2
        .value_kind:     hidden_group_size_z
      - .offset:         34
        .size:           2
        .value_kind:     hidden_remainder_x
      - .offset:         36
        .size:           2
        .value_kind:     hidden_remainder_y
      - .offset:         38
        .size:           2
        .value_kind:     hidden_remainder_z
      - .offset:         56
        .size:           8
        .value_kind:     hidden_global_offset_x
      - .offset:         64
        .size:           8
        .value_kind:     hidden_global_offset_y
      - .offset:         72
        .size:           8
        .value_kind:     hidden_global_offset_z
      - .offset:         80
        .size:           2
        .value_kind:     hidden_grid_dims
    .group_segment_fixed_size: 5280
    .kernarg_segment_align: 8
    .kernarg_segment_size: 272
    .language:       OpenCL C
    .language_version:
      - 2
      - 0
    .max_flat_workgroup_size: 320
    .name:           _Z17sort_pairs_kernelI22helper_blocked_stripediLj320ELj4ELj10EEvPKT0_PS1_
    .private_segment_fixed_size: 0
    .sgpr_count:     52
    .sgpr_spill_count: 0
    .symbol:         _Z17sort_pairs_kernelI22helper_blocked_stripediLj320ELj4ELj10EEvPKT0_PS1_.kd
    .uniform_work_group_size: 1
    .uses_dynamic_stack: false
    .vgpr_count:     44
    .vgpr_spill_count: 0
    .wavefront_size: 64
  - .args:
      - .address_space:  global
        .offset:         0
        .size:           8
        .value_kind:     global_buffer
      - .address_space:  global
        .offset:         8
        .size:           8
        .value_kind:     global_buffer
      - .offset:         16
        .size:           4
        .value_kind:     hidden_block_count_x
      - .offset:         20
        .size:           4
        .value_kind:     hidden_block_count_y
      - .offset:         24
        .size:           4
        .value_kind:     hidden_block_count_z
      - .offset:         28
        .size:           2
        .value_kind:     hidden_group_size_x
      - .offset:         30
        .size:           2
        .value_kind:     hidden_group_size_y
      - .offset:         32
        .size:           2
        .value_kind:     hidden_group_size_z
      - .offset:         34
        .size:           2
        .value_kind:     hidden_remainder_x
      - .offset:         36
        .size:           2
        .value_kind:     hidden_remainder_y
      - .offset:         38
        .size:           2
        .value_kind:     hidden_remainder_z
      - .offset:         56
        .size:           8
        .value_kind:     hidden_global_offset_x
      - .offset:         64
        .size:           8
        .value_kind:     hidden_global_offset_y
      - .offset:         72
        .size:           8
        .value_kind:     hidden_global_offset_z
      - .offset:         80
        .size:           2
        .value_kind:     hidden_grid_dims
    .group_segment_fixed_size: 10560
    .kernarg_segment_align: 8
    .kernarg_segment_size: 272
    .language:       OpenCL C
    .language_version:
      - 2
      - 0
    .max_flat_workgroup_size: 320
    .name:           _Z16sort_keys_kernelI22helper_blocked_stripediLj320ELj8ELj10EEvPKT0_PS1_
    .private_segment_fixed_size: 0
    .sgpr_count:     44
    .sgpr_spill_count: 0
    .symbol:         _Z16sort_keys_kernelI22helper_blocked_stripediLj320ELj8ELj10EEvPKT0_PS1_.kd
    .uniform_work_group_size: 1
    .uses_dynamic_stack: false
    .vgpr_count:     57
    .vgpr_spill_count: 0
    .wavefront_size: 64
  - .args:
      - .address_space:  global
        .offset:         0
        .size:           8
        .value_kind:     global_buffer
      - .address_space:  global
        .offset:         8
        .size:           8
        .value_kind:     global_buffer
      - .offset:         16
        .size:           4
        .value_kind:     hidden_block_count_x
      - .offset:         20
        .size:           4
        .value_kind:     hidden_block_count_y
      - .offset:         24
        .size:           4
        .value_kind:     hidden_block_count_z
      - .offset:         28
        .size:           2
        .value_kind:     hidden_group_size_x
      - .offset:         30
        .size:           2
        .value_kind:     hidden_group_size_y
      - .offset:         32
        .size:           2
        .value_kind:     hidden_group_size_z
      - .offset:         34
        .size:           2
        .value_kind:     hidden_remainder_x
      - .offset:         36
        .size:           2
        .value_kind:     hidden_remainder_y
      - .offset:         38
        .size:           2
        .value_kind:     hidden_remainder_z
      - .offset:         56
        .size:           8
        .value_kind:     hidden_global_offset_x
      - .offset:         64
        .size:           8
        .value_kind:     hidden_global_offset_y
      - .offset:         72
        .size:           8
        .value_kind:     hidden_global_offset_z
      - .offset:         80
        .size:           2
        .value_kind:     hidden_grid_dims
    .group_segment_fixed_size: 10560
    .kernarg_segment_align: 8
    .kernarg_segment_size: 272
    .language:       OpenCL C
    .language_version:
      - 2
      - 0
    .max_flat_workgroup_size: 320
    .name:           _Z17sort_pairs_kernelI22helper_blocked_stripediLj320ELj8ELj10EEvPKT0_PS1_
    .private_segment_fixed_size: 0
    .sgpr_count:     44
    .sgpr_spill_count: 0
    .symbol:         _Z17sort_pairs_kernelI22helper_blocked_stripediLj320ELj8ELj10EEvPKT0_PS1_.kd
    .uniform_work_group_size: 1
    .uses_dynamic_stack: false
    .vgpr_count:     63
    .vgpr_spill_count: 0
    .wavefront_size: 64
  - .args:
      - .address_space:  global
        .offset:         0
        .size:           8
        .value_kind:     global_buffer
      - .address_space:  global
        .offset:         8
        .size:           8
        .value_kind:     global_buffer
      - .offset:         16
        .size:           4
        .value_kind:     hidden_block_count_x
      - .offset:         20
        .size:           4
        .value_kind:     hidden_block_count_y
      - .offset:         24
        .size:           4
        .value_kind:     hidden_block_count_z
      - .offset:         28
        .size:           2
        .value_kind:     hidden_group_size_x
      - .offset:         30
        .size:           2
        .value_kind:     hidden_group_size_y
      - .offset:         32
        .size:           2
        .value_kind:     hidden_group_size_z
      - .offset:         34
        .size:           2
        .value_kind:     hidden_remainder_x
      - .offset:         36
        .size:           2
        .value_kind:     hidden_remainder_y
      - .offset:         38
        .size:           2
        .value_kind:     hidden_remainder_z
      - .offset:         56
        .size:           8
        .value_kind:     hidden_global_offset_x
      - .offset:         64
        .size:           8
        .value_kind:     hidden_global_offset_y
      - .offset:         72
        .size:           8
        .value_kind:     hidden_global_offset_z
      - .offset:         80
        .size:           2
        .value_kind:     hidden_grid_dims
    .group_segment_fixed_size: 8224
    .kernarg_segment_align: 8
    .kernarg_segment_size: 272
    .language:       OpenCL C
    .language_version:
      - 2
      - 0
    .max_flat_workgroup_size: 512
    .name:           _Z16sort_keys_kernelI22helper_blocked_stripediLj512ELj1ELj10EEvPKT0_PS1_
    .private_segment_fixed_size: 0
    .sgpr_count:     46
    .sgpr_spill_count: 0
    .symbol:         _Z16sort_keys_kernelI22helper_blocked_stripediLj512ELj1ELj10EEvPKT0_PS1_.kd
    .uniform_work_group_size: 1
    .uses_dynamic_stack: false
    .vgpr_count:     31
    .vgpr_spill_count: 0
    .wavefront_size: 64
  - .args:
      - .address_space:  global
        .offset:         0
        .size:           8
        .value_kind:     global_buffer
      - .address_space:  global
        .offset:         8
        .size:           8
        .value_kind:     global_buffer
      - .offset:         16
        .size:           4
        .value_kind:     hidden_block_count_x
      - .offset:         20
        .size:           4
        .value_kind:     hidden_block_count_y
      - .offset:         24
        .size:           4
        .value_kind:     hidden_block_count_z
      - .offset:         28
        .size:           2
        .value_kind:     hidden_group_size_x
      - .offset:         30
        .size:           2
        .value_kind:     hidden_group_size_y
      - .offset:         32
        .size:           2
        .value_kind:     hidden_group_size_z
      - .offset:         34
        .size:           2
        .value_kind:     hidden_remainder_x
      - .offset:         36
        .size:           2
        .value_kind:     hidden_remainder_y
      - .offset:         38
        .size:           2
        .value_kind:     hidden_remainder_z
      - .offset:         56
        .size:           8
        .value_kind:     hidden_global_offset_x
      - .offset:         64
        .size:           8
        .value_kind:     hidden_global_offset_y
      - .offset:         72
        .size:           8
        .value_kind:     hidden_global_offset_z
      - .offset:         80
        .size:           2
        .value_kind:     hidden_grid_dims
    .group_segment_fixed_size: 8224
    .kernarg_segment_align: 8
    .kernarg_segment_size: 272
    .language:       OpenCL C
    .language_version:
      - 2
      - 0
    .max_flat_workgroup_size: 512
    .name:           _Z17sort_pairs_kernelI22helper_blocked_stripediLj512ELj1ELj10EEvPKT0_PS1_
    .private_segment_fixed_size: 0
    .sgpr_count:     46
    .sgpr_spill_count: 0
    .symbol:         _Z17sort_pairs_kernelI22helper_blocked_stripediLj512ELj1ELj10EEvPKT0_PS1_.kd
    .uniform_work_group_size: 1
    .uses_dynamic_stack: false
    .vgpr_count:     32
    .vgpr_spill_count: 0
    .wavefront_size: 64
  - .args:
      - .address_space:  global
        .offset:         0
        .size:           8
        .value_kind:     global_buffer
      - .address_space:  global
        .offset:         8
        .size:           8
        .value_kind:     global_buffer
      - .offset:         16
        .size:           4
        .value_kind:     hidden_block_count_x
      - .offset:         20
        .size:           4
        .value_kind:     hidden_block_count_y
      - .offset:         24
        .size:           4
        .value_kind:     hidden_block_count_z
      - .offset:         28
        .size:           2
        .value_kind:     hidden_group_size_x
      - .offset:         30
        .size:           2
        .value_kind:     hidden_group_size_y
      - .offset:         32
        .size:           2
        .value_kind:     hidden_group_size_z
      - .offset:         34
        .size:           2
        .value_kind:     hidden_remainder_x
      - .offset:         36
        .size:           2
        .value_kind:     hidden_remainder_y
      - .offset:         38
        .size:           2
        .value_kind:     hidden_remainder_z
      - .offset:         56
        .size:           8
        .value_kind:     hidden_global_offset_x
      - .offset:         64
        .size:           8
        .value_kind:     hidden_global_offset_y
      - .offset:         72
        .size:           8
        .value_kind:     hidden_global_offset_z
      - .offset:         80
        .size:           2
        .value_kind:     hidden_grid_dims
    .group_segment_fixed_size: 8224
    .kernarg_segment_align: 8
    .kernarg_segment_size: 272
    .language:       OpenCL C
    .language_version:
      - 2
      - 0
    .max_flat_workgroup_size: 512
    .name:           _Z16sort_keys_kernelI22helper_blocked_stripediLj512ELj3ELj10EEvPKT0_PS1_
    .private_segment_fixed_size: 0
    .sgpr_count:     44
    .sgpr_spill_count: 0
    .symbol:         _Z16sort_keys_kernelI22helper_blocked_stripediLj512ELj3ELj10EEvPKT0_PS1_.kd
    .uniform_work_group_size: 1
    .uses_dynamic_stack: false
    .vgpr_count:     34
    .vgpr_spill_count: 0
    .wavefront_size: 64
  - .args:
      - .address_space:  global
        .offset:         0
        .size:           8
        .value_kind:     global_buffer
      - .address_space:  global
        .offset:         8
        .size:           8
        .value_kind:     global_buffer
      - .offset:         16
        .size:           4
        .value_kind:     hidden_block_count_x
      - .offset:         20
        .size:           4
        .value_kind:     hidden_block_count_y
      - .offset:         24
        .size:           4
        .value_kind:     hidden_block_count_z
      - .offset:         28
        .size:           2
        .value_kind:     hidden_group_size_x
      - .offset:         30
        .size:           2
        .value_kind:     hidden_group_size_y
      - .offset:         32
        .size:           2
        .value_kind:     hidden_group_size_z
      - .offset:         34
        .size:           2
        .value_kind:     hidden_remainder_x
      - .offset:         36
        .size:           2
        .value_kind:     hidden_remainder_y
      - .offset:         38
        .size:           2
        .value_kind:     hidden_remainder_z
      - .offset:         56
        .size:           8
        .value_kind:     hidden_global_offset_x
      - .offset:         64
        .size:           8
        .value_kind:     hidden_global_offset_y
      - .offset:         72
        .size:           8
        .value_kind:     hidden_global_offset_z
      - .offset:         80
        .size:           2
        .value_kind:     hidden_grid_dims
    .group_segment_fixed_size: 8224
    .kernarg_segment_align: 8
    .kernarg_segment_size: 272
    .language:       OpenCL C
    .language_version:
      - 2
      - 0
    .max_flat_workgroup_size: 512
    .name:           _Z17sort_pairs_kernelI22helper_blocked_stripediLj512ELj3ELj10EEvPKT0_PS1_
    .private_segment_fixed_size: 0
    .sgpr_count:     44
    .sgpr_spill_count: 0
    .symbol:         _Z17sort_pairs_kernelI22helper_blocked_stripediLj512ELj3ELj10EEvPKT0_PS1_.kd
    .uniform_work_group_size: 1
    .uses_dynamic_stack: false
    .vgpr_count:     37
    .vgpr_spill_count: 0
    .wavefront_size: 64
  - .args:
      - .address_space:  global
        .offset:         0
        .size:           8
        .value_kind:     global_buffer
      - .address_space:  global
        .offset:         8
        .size:           8
        .value_kind:     global_buffer
      - .offset:         16
        .size:           4
        .value_kind:     hidden_block_count_x
      - .offset:         20
        .size:           4
        .value_kind:     hidden_block_count_y
      - .offset:         24
        .size:           4
        .value_kind:     hidden_block_count_z
      - .offset:         28
        .size:           2
        .value_kind:     hidden_group_size_x
      - .offset:         30
        .size:           2
        .value_kind:     hidden_group_size_y
      - .offset:         32
        .size:           2
        .value_kind:     hidden_group_size_z
      - .offset:         34
        .size:           2
        .value_kind:     hidden_remainder_x
      - .offset:         36
        .size:           2
        .value_kind:     hidden_remainder_y
      - .offset:         38
        .size:           2
        .value_kind:     hidden_remainder_z
      - .offset:         56
        .size:           8
        .value_kind:     hidden_global_offset_x
      - .offset:         64
        .size:           8
        .value_kind:     hidden_global_offset_y
      - .offset:         72
        .size:           8
        .value_kind:     hidden_global_offset_z
      - .offset:         80
        .size:           2
        .value_kind:     hidden_grid_dims
    .group_segment_fixed_size: 8224
    .kernarg_segment_align: 8
    .kernarg_segment_size: 272
    .language:       OpenCL C
    .language_version:
      - 2
      - 0
    .max_flat_workgroup_size: 512
    .name:           _Z16sort_keys_kernelI22helper_blocked_stripediLj512ELj4ELj10EEvPKT0_PS1_
    .private_segment_fixed_size: 0
    .sgpr_count:     52
    .sgpr_spill_count: 0
    .symbol:         _Z16sort_keys_kernelI22helper_blocked_stripediLj512ELj4ELj10EEvPKT0_PS1_.kd
    .uniform_work_group_size: 1
    .uses_dynamic_stack: false
    .vgpr_count:     41
    .vgpr_spill_count: 0
    .wavefront_size: 64
  - .args:
      - .address_space:  global
        .offset:         0
        .size:           8
        .value_kind:     global_buffer
      - .address_space:  global
        .offset:         8
        .size:           8
        .value_kind:     global_buffer
      - .offset:         16
        .size:           4
        .value_kind:     hidden_block_count_x
      - .offset:         20
        .size:           4
        .value_kind:     hidden_block_count_y
      - .offset:         24
        .size:           4
        .value_kind:     hidden_block_count_z
      - .offset:         28
        .size:           2
        .value_kind:     hidden_group_size_x
      - .offset:         30
        .size:           2
        .value_kind:     hidden_group_size_y
      - .offset:         32
        .size:           2
        .value_kind:     hidden_group_size_z
      - .offset:         34
        .size:           2
        .value_kind:     hidden_remainder_x
      - .offset:         36
        .size:           2
        .value_kind:     hidden_remainder_y
      - .offset:         38
        .size:           2
        .value_kind:     hidden_remainder_z
      - .offset:         56
        .size:           8
        .value_kind:     hidden_global_offset_x
      - .offset:         64
        .size:           8
        .value_kind:     hidden_global_offset_y
      - .offset:         72
        .size:           8
        .value_kind:     hidden_global_offset_z
      - .offset:         80
        .size:           2
        .value_kind:     hidden_grid_dims
    .group_segment_fixed_size: 8224
    .kernarg_segment_align: 8
    .kernarg_segment_size: 272
    .language:       OpenCL C
    .language_version:
      - 2
      - 0
    .max_flat_workgroup_size: 512
    .name:           _Z17sort_pairs_kernelI22helper_blocked_stripediLj512ELj4ELj10EEvPKT0_PS1_
    .private_segment_fixed_size: 0
    .sgpr_count:     52
    .sgpr_spill_count: 0
    .symbol:         _Z17sort_pairs_kernelI22helper_blocked_stripediLj512ELj4ELj10EEvPKT0_PS1_.kd
    .uniform_work_group_size: 1
    .uses_dynamic_stack: false
    .vgpr_count:     45
    .vgpr_spill_count: 0
    .wavefront_size: 64
  - .args:
      - .address_space:  global
        .offset:         0
        .size:           8
        .value_kind:     global_buffer
      - .address_space:  global
        .offset:         8
        .size:           8
        .value_kind:     global_buffer
      - .offset:         16
        .size:           4
        .value_kind:     hidden_block_count_x
      - .offset:         20
        .size:           4
        .value_kind:     hidden_block_count_y
      - .offset:         24
        .size:           4
        .value_kind:     hidden_block_count_z
      - .offset:         28
        .size:           2
        .value_kind:     hidden_group_size_x
      - .offset:         30
        .size:           2
        .value_kind:     hidden_group_size_y
      - .offset:         32
        .size:           2
        .value_kind:     hidden_group_size_z
      - .offset:         34
        .size:           2
        .value_kind:     hidden_remainder_x
      - .offset:         36
        .size:           2
        .value_kind:     hidden_remainder_y
      - .offset:         38
        .size:           2
        .value_kind:     hidden_remainder_z
      - .offset:         56
        .size:           8
        .value_kind:     hidden_global_offset_x
      - .offset:         64
        .size:           8
        .value_kind:     hidden_global_offset_y
      - .offset:         72
        .size:           8
        .value_kind:     hidden_global_offset_z
      - .offset:         80
        .size:           2
        .value_kind:     hidden_grid_dims
    .group_segment_fixed_size: 16384
    .kernarg_segment_align: 8
    .kernarg_segment_size: 272
    .language:       OpenCL C
    .language_version:
      - 2
      - 0
    .max_flat_workgroup_size: 512
    .name:           _Z16sort_keys_kernelI22helper_blocked_stripediLj512ELj8ELj10EEvPKT0_PS1_
    .private_segment_fixed_size: 0
    .sgpr_count:     44
    .sgpr_spill_count: 0
    .symbol:         _Z16sort_keys_kernelI22helper_blocked_stripediLj512ELj8ELj10EEvPKT0_PS1_.kd
    .uniform_work_group_size: 1
    .uses_dynamic_stack: false
    .vgpr_count:     54
    .vgpr_spill_count: 0
    .wavefront_size: 64
  - .args:
      - .address_space:  global
        .offset:         0
        .size:           8
        .value_kind:     global_buffer
      - .address_space:  global
        .offset:         8
        .size:           8
        .value_kind:     global_buffer
      - .offset:         16
        .size:           4
        .value_kind:     hidden_block_count_x
      - .offset:         20
        .size:           4
        .value_kind:     hidden_block_count_y
      - .offset:         24
        .size:           4
        .value_kind:     hidden_block_count_z
      - .offset:         28
        .size:           2
        .value_kind:     hidden_group_size_x
      - .offset:         30
        .size:           2
        .value_kind:     hidden_group_size_y
      - .offset:         32
        .size:           2
        .value_kind:     hidden_group_size_z
      - .offset:         34
        .size:           2
        .value_kind:     hidden_remainder_x
      - .offset:         36
        .size:           2
        .value_kind:     hidden_remainder_y
      - .offset:         38
        .size:           2
        .value_kind:     hidden_remainder_z
      - .offset:         56
        .size:           8
        .value_kind:     hidden_global_offset_x
      - .offset:         64
        .size:           8
        .value_kind:     hidden_global_offset_y
      - .offset:         72
        .size:           8
        .value_kind:     hidden_global_offset_z
      - .offset:         80
        .size:           2
        .value_kind:     hidden_grid_dims
    .group_segment_fixed_size: 16384
    .kernarg_segment_align: 8
    .kernarg_segment_size: 272
    .language:       OpenCL C
    .language_version:
      - 2
      - 0
    .max_flat_workgroup_size: 512
    .name:           _Z17sort_pairs_kernelI22helper_blocked_stripediLj512ELj8ELj10EEvPKT0_PS1_
    .private_segment_fixed_size: 0
    .sgpr_count:     44
    .sgpr_spill_count: 0
    .symbol:         _Z17sort_pairs_kernelI22helper_blocked_stripediLj512ELj8ELj10EEvPKT0_PS1_.kd
    .uniform_work_group_size: 1
    .uses_dynamic_stack: false
    .vgpr_count:     62
    .vgpr_spill_count: 0
    .wavefront_size: 64
  - .args:
      - .address_space:  global
        .offset:         0
        .size:           8
        .value_kind:     global_buffer
      - .address_space:  global
        .offset:         8
        .size:           8
        .value_kind:     global_buffer
      - .offset:         16
        .size:           4
        .value_kind:     hidden_block_count_x
      - .offset:         20
        .size:           4
        .value_kind:     hidden_block_count_y
      - .offset:         24
        .size:           4
        .value_kind:     hidden_block_count_z
      - .offset:         28
        .size:           2
        .value_kind:     hidden_group_size_x
      - .offset:         30
        .size:           2
        .value_kind:     hidden_group_size_y
      - .offset:         32
        .size:           2
        .value_kind:     hidden_group_size_z
      - .offset:         34
        .size:           2
        .value_kind:     hidden_remainder_x
      - .offset:         36
        .size:           2
        .value_kind:     hidden_remainder_y
      - .offset:         38
        .size:           2
        .value_kind:     hidden_remainder_z
      - .offset:         56
        .size:           8
        .value_kind:     hidden_global_offset_x
      - .offset:         64
        .size:           8
        .value_kind:     hidden_global_offset_y
      - .offset:         72
        .size:           8
        .value_kind:     hidden_global_offset_z
      - .offset:         80
        .size:           2
        .value_kind:     hidden_grid_dims
    .group_segment_fixed_size: 1040
    .kernarg_segment_align: 8
    .kernarg_segment_size: 272
    .language:       OpenCL C
    .language_version:
      - 2
      - 0
    .max_flat_workgroup_size: 64
    .name:           _Z16sort_keys_kernelI22helper_blocked_stripedaLj64ELj1ELj10EEvPKT0_PS1_
    .private_segment_fixed_size: 0
    .sgpr_count:     27
    .sgpr_spill_count: 0
    .symbol:         _Z16sort_keys_kernelI22helper_blocked_stripedaLj64ELj1ELj10EEvPKT0_PS1_.kd
    .uniform_work_group_size: 1
    .uses_dynamic_stack: false
    .vgpr_count:     13
    .vgpr_spill_count: 0
    .wavefront_size: 64
  - .args:
      - .address_space:  global
        .offset:         0
        .size:           8
        .value_kind:     global_buffer
      - .address_space:  global
        .offset:         8
        .size:           8
        .value_kind:     global_buffer
      - .offset:         16
        .size:           4
        .value_kind:     hidden_block_count_x
      - .offset:         20
        .size:           4
        .value_kind:     hidden_block_count_y
      - .offset:         24
        .size:           4
        .value_kind:     hidden_block_count_z
      - .offset:         28
        .size:           2
        .value_kind:     hidden_group_size_x
      - .offset:         30
        .size:           2
        .value_kind:     hidden_group_size_y
      - .offset:         32
        .size:           2
        .value_kind:     hidden_group_size_z
      - .offset:         34
        .size:           2
        .value_kind:     hidden_remainder_x
      - .offset:         36
        .size:           2
        .value_kind:     hidden_remainder_y
      - .offset:         38
        .size:           2
        .value_kind:     hidden_remainder_z
      - .offset:         56
        .size:           8
        .value_kind:     hidden_global_offset_x
      - .offset:         64
        .size:           8
        .value_kind:     hidden_global_offset_y
      - .offset:         72
        .size:           8
        .value_kind:     hidden_global_offset_z
      - .offset:         80
        .size:           2
        .value_kind:     hidden_grid_dims
    .group_segment_fixed_size: 1040
    .kernarg_segment_align: 8
    .kernarg_segment_size: 272
    .language:       OpenCL C
    .language_version:
      - 2
      - 0
    .max_flat_workgroup_size: 64
    .name:           _Z17sort_pairs_kernelI22helper_blocked_stripedaLj64ELj1ELj10EEvPKT0_PS1_
    .private_segment_fixed_size: 0
    .sgpr_count:     27
    .sgpr_spill_count: 0
    .symbol:         _Z17sort_pairs_kernelI22helper_blocked_stripedaLj64ELj1ELj10EEvPKT0_PS1_.kd
    .uniform_work_group_size: 1
    .uses_dynamic_stack: false
    .vgpr_count:     14
    .vgpr_spill_count: 0
    .wavefront_size: 64
  - .args:
      - .address_space:  global
        .offset:         0
        .size:           8
        .value_kind:     global_buffer
      - .address_space:  global
        .offset:         8
        .size:           8
        .value_kind:     global_buffer
      - .offset:         16
        .size:           4
        .value_kind:     hidden_block_count_x
      - .offset:         20
        .size:           4
        .value_kind:     hidden_block_count_y
      - .offset:         24
        .size:           4
        .value_kind:     hidden_block_count_z
      - .offset:         28
        .size:           2
        .value_kind:     hidden_group_size_x
      - .offset:         30
        .size:           2
        .value_kind:     hidden_group_size_y
      - .offset:         32
        .size:           2
        .value_kind:     hidden_group_size_z
      - .offset:         34
        .size:           2
        .value_kind:     hidden_remainder_x
      - .offset:         36
        .size:           2
        .value_kind:     hidden_remainder_y
      - .offset:         38
        .size:           2
        .value_kind:     hidden_remainder_z
      - .offset:         56
        .size:           8
        .value_kind:     hidden_global_offset_x
      - .offset:         64
        .size:           8
        .value_kind:     hidden_global_offset_y
      - .offset:         72
        .size:           8
        .value_kind:     hidden_global_offset_z
      - .offset:         80
        .size:           2
        .value_kind:     hidden_grid_dims
    .group_segment_fixed_size: 1040
    .kernarg_segment_align: 8
    .kernarg_segment_size: 272
    .language:       OpenCL C
    .language_version:
      - 2
      - 0
    .max_flat_workgroup_size: 64
    .name:           _Z16sort_keys_kernelI22helper_blocked_stripedaLj64ELj3ELj10EEvPKT0_PS1_
    .private_segment_fixed_size: 0
    .sgpr_count:     28
    .sgpr_spill_count: 0
    .symbol:         _Z16sort_keys_kernelI22helper_blocked_stripedaLj64ELj3ELj10EEvPKT0_PS1_.kd
    .uniform_work_group_size: 1
    .uses_dynamic_stack: false
    .vgpr_count:     23
    .vgpr_spill_count: 0
    .wavefront_size: 64
  - .args:
      - .address_space:  global
        .offset:         0
        .size:           8
        .value_kind:     global_buffer
      - .address_space:  global
        .offset:         8
        .size:           8
        .value_kind:     global_buffer
      - .offset:         16
        .size:           4
        .value_kind:     hidden_block_count_x
      - .offset:         20
        .size:           4
        .value_kind:     hidden_block_count_y
      - .offset:         24
        .size:           4
        .value_kind:     hidden_block_count_z
      - .offset:         28
        .size:           2
        .value_kind:     hidden_group_size_x
      - .offset:         30
        .size:           2
        .value_kind:     hidden_group_size_y
      - .offset:         32
        .size:           2
        .value_kind:     hidden_group_size_z
      - .offset:         34
        .size:           2
        .value_kind:     hidden_remainder_x
      - .offset:         36
        .size:           2
        .value_kind:     hidden_remainder_y
      - .offset:         38
        .size:           2
        .value_kind:     hidden_remainder_z
      - .offset:         56
        .size:           8
        .value_kind:     hidden_global_offset_x
      - .offset:         64
        .size:           8
        .value_kind:     hidden_global_offset_y
      - .offset:         72
        .size:           8
        .value_kind:     hidden_global_offset_z
      - .offset:         80
        .size:           2
        .value_kind:     hidden_grid_dims
    .group_segment_fixed_size: 1040
    .kernarg_segment_align: 8
    .kernarg_segment_size: 272
    .language:       OpenCL C
    .language_version:
      - 2
      - 0
    .max_flat_workgroup_size: 64
    .name:           _Z17sort_pairs_kernelI22helper_blocked_stripedaLj64ELj3ELj10EEvPKT0_PS1_
    .private_segment_fixed_size: 0
    .sgpr_count:     28
    .sgpr_spill_count: 0
    .symbol:         _Z17sort_pairs_kernelI22helper_blocked_stripedaLj64ELj3ELj10EEvPKT0_PS1_.kd
    .uniform_work_group_size: 1
    .uses_dynamic_stack: false
    .vgpr_count:     26
    .vgpr_spill_count: 0
    .wavefront_size: 64
  - .args:
      - .address_space:  global
        .offset:         0
        .size:           8
        .value_kind:     global_buffer
      - .address_space:  global
        .offset:         8
        .size:           8
        .value_kind:     global_buffer
      - .offset:         16
        .size:           4
        .value_kind:     hidden_block_count_x
      - .offset:         20
        .size:           4
        .value_kind:     hidden_block_count_y
      - .offset:         24
        .size:           4
        .value_kind:     hidden_block_count_z
      - .offset:         28
        .size:           2
        .value_kind:     hidden_group_size_x
      - .offset:         30
        .size:           2
        .value_kind:     hidden_group_size_y
      - .offset:         32
        .size:           2
        .value_kind:     hidden_group_size_z
      - .offset:         34
        .size:           2
        .value_kind:     hidden_remainder_x
      - .offset:         36
        .size:           2
        .value_kind:     hidden_remainder_y
      - .offset:         38
        .size:           2
        .value_kind:     hidden_remainder_z
      - .offset:         56
        .size:           8
        .value_kind:     hidden_global_offset_x
      - .offset:         64
        .size:           8
        .value_kind:     hidden_global_offset_y
      - .offset:         72
        .size:           8
        .value_kind:     hidden_global_offset_z
      - .offset:         80
        .size:           2
        .value_kind:     hidden_grid_dims
    .group_segment_fixed_size: 1040
    .kernarg_segment_align: 8
    .kernarg_segment_size: 272
    .language:       OpenCL C
    .language_version:
      - 2
      - 0
    .max_flat_workgroup_size: 64
    .name:           _Z16sort_keys_kernelI22helper_blocked_stripedaLj64ELj4ELj10EEvPKT0_PS1_
    .private_segment_fixed_size: 0
    .sgpr_count:     42
    .sgpr_spill_count: 0
    .symbol:         _Z16sort_keys_kernelI22helper_blocked_stripedaLj64ELj4ELj10EEvPKT0_PS1_.kd
    .uniform_work_group_size: 1
    .uses_dynamic_stack: false
    .vgpr_count:     29
    .vgpr_spill_count: 0
    .wavefront_size: 64
  - .args:
      - .address_space:  global
        .offset:         0
        .size:           8
        .value_kind:     global_buffer
      - .address_space:  global
        .offset:         8
        .size:           8
        .value_kind:     global_buffer
      - .offset:         16
        .size:           4
        .value_kind:     hidden_block_count_x
      - .offset:         20
        .size:           4
        .value_kind:     hidden_block_count_y
      - .offset:         24
        .size:           4
        .value_kind:     hidden_block_count_z
      - .offset:         28
        .size:           2
        .value_kind:     hidden_group_size_x
      - .offset:         30
        .size:           2
        .value_kind:     hidden_group_size_y
      - .offset:         32
        .size:           2
        .value_kind:     hidden_group_size_z
      - .offset:         34
        .size:           2
        .value_kind:     hidden_remainder_x
      - .offset:         36
        .size:           2
        .value_kind:     hidden_remainder_y
      - .offset:         38
        .size:           2
        .value_kind:     hidden_remainder_z
      - .offset:         56
        .size:           8
        .value_kind:     hidden_global_offset_x
      - .offset:         64
        .size:           8
        .value_kind:     hidden_global_offset_y
      - .offset:         72
        .size:           8
        .value_kind:     hidden_global_offset_z
      - .offset:         80
        .size:           2
        .value_kind:     hidden_grid_dims
    .group_segment_fixed_size: 1040
    .kernarg_segment_align: 8
    .kernarg_segment_size: 272
    .language:       OpenCL C
    .language_version:
      - 2
      - 0
    .max_flat_workgroup_size: 64
    .name:           _Z17sort_pairs_kernelI22helper_blocked_stripedaLj64ELj4ELj10EEvPKT0_PS1_
    .private_segment_fixed_size: 0
    .sgpr_count:     45
    .sgpr_spill_count: 0
    .symbol:         _Z17sort_pairs_kernelI22helper_blocked_stripedaLj64ELj4ELj10EEvPKT0_PS1_.kd
    .uniform_work_group_size: 1
    .uses_dynamic_stack: false
    .vgpr_count:     45
    .vgpr_spill_count: 0
    .wavefront_size: 64
  - .args:
      - .address_space:  global
        .offset:         0
        .size:           8
        .value_kind:     global_buffer
      - .address_space:  global
        .offset:         8
        .size:           8
        .value_kind:     global_buffer
      - .offset:         16
        .size:           4
        .value_kind:     hidden_block_count_x
      - .offset:         20
        .size:           4
        .value_kind:     hidden_block_count_y
      - .offset:         24
        .size:           4
        .value_kind:     hidden_block_count_z
      - .offset:         28
        .size:           2
        .value_kind:     hidden_group_size_x
      - .offset:         30
        .size:           2
        .value_kind:     hidden_group_size_y
      - .offset:         32
        .size:           2
        .value_kind:     hidden_group_size_z
      - .offset:         34
        .size:           2
        .value_kind:     hidden_remainder_x
      - .offset:         36
        .size:           2
        .value_kind:     hidden_remainder_y
      - .offset:         38
        .size:           2
        .value_kind:     hidden_remainder_z
      - .offset:         56
        .size:           8
        .value_kind:     hidden_global_offset_x
      - .offset:         64
        .size:           8
        .value_kind:     hidden_global_offset_y
      - .offset:         72
        .size:           8
        .value_kind:     hidden_global_offset_z
      - .offset:         80
        .size:           2
        .value_kind:     hidden_grid_dims
    .group_segment_fixed_size: 1040
    .kernarg_segment_align: 8
    .kernarg_segment_size: 272
    .language:       OpenCL C
    .language_version:
      - 2
      - 0
    .max_flat_workgroup_size: 64
    .name:           _Z16sort_keys_kernelI22helper_blocked_stripedaLj64ELj8ELj10EEvPKT0_PS1_
    .private_segment_fixed_size: 0
    .sgpr_count:     29
    .sgpr_spill_count: 0
    .symbol:         _Z16sort_keys_kernelI22helper_blocked_stripedaLj64ELj8ELj10EEvPKT0_PS1_.kd
    .uniform_work_group_size: 1
    .uses_dynamic_stack: false
    .vgpr_count:     43
    .vgpr_spill_count: 0
    .wavefront_size: 64
  - .args:
      - .address_space:  global
        .offset:         0
        .size:           8
        .value_kind:     global_buffer
      - .address_space:  global
        .offset:         8
        .size:           8
        .value_kind:     global_buffer
      - .offset:         16
        .size:           4
        .value_kind:     hidden_block_count_x
      - .offset:         20
        .size:           4
        .value_kind:     hidden_block_count_y
      - .offset:         24
        .size:           4
        .value_kind:     hidden_block_count_z
      - .offset:         28
        .size:           2
        .value_kind:     hidden_group_size_x
      - .offset:         30
        .size:           2
        .value_kind:     hidden_group_size_y
      - .offset:         32
        .size:           2
        .value_kind:     hidden_group_size_z
      - .offset:         34
        .size:           2
        .value_kind:     hidden_remainder_x
      - .offset:         36
        .size:           2
        .value_kind:     hidden_remainder_y
      - .offset:         38
        .size:           2
        .value_kind:     hidden_remainder_z
      - .offset:         56
        .size:           8
        .value_kind:     hidden_global_offset_x
      - .offset:         64
        .size:           8
        .value_kind:     hidden_global_offset_y
      - .offset:         72
        .size:           8
        .value_kind:     hidden_global_offset_z
      - .offset:         80
        .size:           2
        .value_kind:     hidden_grid_dims
    .group_segment_fixed_size: 1040
    .kernarg_segment_align: 8
    .kernarg_segment_size: 272
    .language:       OpenCL C
    .language_version:
      - 2
      - 0
    .max_flat_workgroup_size: 64
    .name:           _Z17sort_pairs_kernelI22helper_blocked_stripedaLj64ELj8ELj10EEvPKT0_PS1_
    .private_segment_fixed_size: 0
    .sgpr_count:     32
    .sgpr_spill_count: 0
    .symbol:         _Z17sort_pairs_kernelI22helper_blocked_stripedaLj64ELj8ELj10EEvPKT0_PS1_.kd
    .uniform_work_group_size: 1
    .uses_dynamic_stack: false
    .vgpr_count:     51
    .vgpr_spill_count: 0
    .wavefront_size: 64
  - .args:
      - .address_space:  global
        .offset:         0
        .size:           8
        .value_kind:     global_buffer
      - .address_space:  global
        .offset:         8
        .size:           8
        .value_kind:     global_buffer
      - .offset:         16
        .size:           4
        .value_kind:     hidden_block_count_x
      - .offset:         20
        .size:           4
        .value_kind:     hidden_block_count_y
      - .offset:         24
        .size:           4
        .value_kind:     hidden_block_count_z
      - .offset:         28
        .size:           2
        .value_kind:     hidden_group_size_x
      - .offset:         30
        .size:           2
        .value_kind:     hidden_group_size_y
      - .offset:         32
        .size:           2
        .value_kind:     hidden_group_size_z
      - .offset:         34
        .size:           2
        .value_kind:     hidden_remainder_x
      - .offset:         36
        .size:           2
        .value_kind:     hidden_remainder_y
      - .offset:         38
        .size:           2
        .value_kind:     hidden_remainder_z
      - .offset:         56
        .size:           8
        .value_kind:     hidden_global_offset_x
      - .offset:         64
        .size:           8
        .value_kind:     hidden_global_offset_y
      - .offset:         72
        .size:           8
        .value_kind:     hidden_global_offset_z
      - .offset:         80
        .size:           2
        .value_kind:     hidden_grid_dims
    .group_segment_fixed_size: 2064
    .kernarg_segment_align: 8
    .kernarg_segment_size: 272
    .language:       OpenCL C
    .language_version:
      - 2
      - 0
    .max_flat_workgroup_size: 128
    .name:           _Z16sort_keys_kernelI22helper_blocked_stripedaLj128ELj1ELj10EEvPKT0_PS1_
    .private_segment_fixed_size: 0
    .sgpr_count:     34
    .sgpr_spill_count: 0
    .symbol:         _Z16sort_keys_kernelI22helper_blocked_stripedaLj128ELj1ELj10EEvPKT0_PS1_.kd
    .uniform_work_group_size: 1
    .uses_dynamic_stack: false
    .vgpr_count:     22
    .vgpr_spill_count: 0
    .wavefront_size: 64
  - .args:
      - .address_space:  global
        .offset:         0
        .size:           8
        .value_kind:     global_buffer
      - .address_space:  global
        .offset:         8
        .size:           8
        .value_kind:     global_buffer
      - .offset:         16
        .size:           4
        .value_kind:     hidden_block_count_x
      - .offset:         20
        .size:           4
        .value_kind:     hidden_block_count_y
      - .offset:         24
        .size:           4
        .value_kind:     hidden_block_count_z
      - .offset:         28
        .size:           2
        .value_kind:     hidden_group_size_x
      - .offset:         30
        .size:           2
        .value_kind:     hidden_group_size_y
      - .offset:         32
        .size:           2
        .value_kind:     hidden_group_size_z
      - .offset:         34
        .size:           2
        .value_kind:     hidden_remainder_x
      - .offset:         36
        .size:           2
        .value_kind:     hidden_remainder_y
      - .offset:         38
        .size:           2
        .value_kind:     hidden_remainder_z
      - .offset:         56
        .size:           8
        .value_kind:     hidden_global_offset_x
      - .offset:         64
        .size:           8
        .value_kind:     hidden_global_offset_y
      - .offset:         72
        .size:           8
        .value_kind:     hidden_global_offset_z
      - .offset:         80
        .size:           2
        .value_kind:     hidden_grid_dims
    .group_segment_fixed_size: 2064
    .kernarg_segment_align: 8
    .kernarg_segment_size: 272
    .language:       OpenCL C
    .language_version:
      - 2
      - 0
    .max_flat_workgroup_size: 128
    .name:           _Z17sort_pairs_kernelI22helper_blocked_stripedaLj128ELj1ELj10EEvPKT0_PS1_
    .private_segment_fixed_size: 0
    .sgpr_count:     34
    .sgpr_spill_count: 0
    .symbol:         _Z17sort_pairs_kernelI22helper_blocked_stripedaLj128ELj1ELj10EEvPKT0_PS1_.kd
    .uniform_work_group_size: 1
    .uses_dynamic_stack: false
    .vgpr_count:     23
    .vgpr_spill_count: 0
    .wavefront_size: 64
  - .args:
      - .address_space:  global
        .offset:         0
        .size:           8
        .value_kind:     global_buffer
      - .address_space:  global
        .offset:         8
        .size:           8
        .value_kind:     global_buffer
      - .offset:         16
        .size:           4
        .value_kind:     hidden_block_count_x
      - .offset:         20
        .size:           4
        .value_kind:     hidden_block_count_y
      - .offset:         24
        .size:           4
        .value_kind:     hidden_block_count_z
      - .offset:         28
        .size:           2
        .value_kind:     hidden_group_size_x
      - .offset:         30
        .size:           2
        .value_kind:     hidden_group_size_y
      - .offset:         32
        .size:           2
        .value_kind:     hidden_group_size_z
      - .offset:         34
        .size:           2
        .value_kind:     hidden_remainder_x
      - .offset:         36
        .size:           2
        .value_kind:     hidden_remainder_y
      - .offset:         38
        .size:           2
        .value_kind:     hidden_remainder_z
      - .offset:         56
        .size:           8
        .value_kind:     hidden_global_offset_x
      - .offset:         64
        .size:           8
        .value_kind:     hidden_global_offset_y
      - .offset:         72
        .size:           8
        .value_kind:     hidden_global_offset_z
      - .offset:         80
        .size:           2
        .value_kind:     hidden_grid_dims
    .group_segment_fixed_size: 2064
    .kernarg_segment_align: 8
    .kernarg_segment_size: 272
    .language:       OpenCL C
    .language_version:
      - 2
      - 0
    .max_flat_workgroup_size: 128
    .name:           _Z16sort_keys_kernelI22helper_blocked_stripedaLj128ELj3ELj10EEvPKT0_PS1_
    .private_segment_fixed_size: 0
    .sgpr_count:     34
    .sgpr_spill_count: 0
    .symbol:         _Z16sort_keys_kernelI22helper_blocked_stripedaLj128ELj3ELj10EEvPKT0_PS1_.kd
    .uniform_work_group_size: 1
    .uses_dynamic_stack: false
    .vgpr_count:     33
    .vgpr_spill_count: 0
    .wavefront_size: 64
  - .args:
      - .address_space:  global
        .offset:         0
        .size:           8
        .value_kind:     global_buffer
      - .address_space:  global
        .offset:         8
        .size:           8
        .value_kind:     global_buffer
      - .offset:         16
        .size:           4
        .value_kind:     hidden_block_count_x
      - .offset:         20
        .size:           4
        .value_kind:     hidden_block_count_y
      - .offset:         24
        .size:           4
        .value_kind:     hidden_block_count_z
      - .offset:         28
        .size:           2
        .value_kind:     hidden_group_size_x
      - .offset:         30
        .size:           2
        .value_kind:     hidden_group_size_y
      - .offset:         32
        .size:           2
        .value_kind:     hidden_group_size_z
      - .offset:         34
        .size:           2
        .value_kind:     hidden_remainder_x
      - .offset:         36
        .size:           2
        .value_kind:     hidden_remainder_y
      - .offset:         38
        .size:           2
        .value_kind:     hidden_remainder_z
      - .offset:         56
        .size:           8
        .value_kind:     hidden_global_offset_x
      - .offset:         64
        .size:           8
        .value_kind:     hidden_global_offset_y
      - .offset:         72
        .size:           8
        .value_kind:     hidden_global_offset_z
      - .offset:         80
        .size:           2
        .value_kind:     hidden_grid_dims
    .group_segment_fixed_size: 2064
    .kernarg_segment_align: 8
    .kernarg_segment_size: 272
    .language:       OpenCL C
    .language_version:
      - 2
      - 0
    .max_flat_workgroup_size: 128
    .name:           _Z17sort_pairs_kernelI22helper_blocked_stripedaLj128ELj3ELj10EEvPKT0_PS1_
    .private_segment_fixed_size: 0
    .sgpr_count:     35
    .sgpr_spill_count: 0
    .symbol:         _Z17sort_pairs_kernelI22helper_blocked_stripedaLj128ELj3ELj10EEvPKT0_PS1_.kd
    .uniform_work_group_size: 1
    .uses_dynamic_stack: false
    .vgpr_count:     35
    .vgpr_spill_count: 0
    .wavefront_size: 64
  - .args:
      - .address_space:  global
        .offset:         0
        .size:           8
        .value_kind:     global_buffer
      - .address_space:  global
        .offset:         8
        .size:           8
        .value_kind:     global_buffer
      - .offset:         16
        .size:           4
        .value_kind:     hidden_block_count_x
      - .offset:         20
        .size:           4
        .value_kind:     hidden_block_count_y
      - .offset:         24
        .size:           4
        .value_kind:     hidden_block_count_z
      - .offset:         28
        .size:           2
        .value_kind:     hidden_group_size_x
      - .offset:         30
        .size:           2
        .value_kind:     hidden_group_size_y
      - .offset:         32
        .size:           2
        .value_kind:     hidden_group_size_z
      - .offset:         34
        .size:           2
        .value_kind:     hidden_remainder_x
      - .offset:         36
        .size:           2
        .value_kind:     hidden_remainder_y
      - .offset:         38
        .size:           2
        .value_kind:     hidden_remainder_z
      - .offset:         56
        .size:           8
        .value_kind:     hidden_global_offset_x
      - .offset:         64
        .size:           8
        .value_kind:     hidden_global_offset_y
      - .offset:         72
        .size:           8
        .value_kind:     hidden_global_offset_z
      - .offset:         80
        .size:           2
        .value_kind:     hidden_grid_dims
    .group_segment_fixed_size: 2064
    .kernarg_segment_align: 8
    .kernarg_segment_size: 272
    .language:       OpenCL C
    .language_version:
      - 2
      - 0
    .max_flat_workgroup_size: 128
    .name:           _Z16sort_keys_kernelI22helper_blocked_stripedaLj128ELj4ELj10EEvPKT0_PS1_
    .private_segment_fixed_size: 0
    .sgpr_count:     48
    .sgpr_spill_count: 0
    .symbol:         _Z16sort_keys_kernelI22helper_blocked_stripedaLj128ELj4ELj10EEvPKT0_PS1_.kd
    .uniform_work_group_size: 1
    .uses_dynamic_stack: false
    .vgpr_count:     38
    .vgpr_spill_count: 0
    .wavefront_size: 64
  - .args:
      - .address_space:  global
        .offset:         0
        .size:           8
        .value_kind:     global_buffer
      - .address_space:  global
        .offset:         8
        .size:           8
        .value_kind:     global_buffer
      - .offset:         16
        .size:           4
        .value_kind:     hidden_block_count_x
      - .offset:         20
        .size:           4
        .value_kind:     hidden_block_count_y
      - .offset:         24
        .size:           4
        .value_kind:     hidden_block_count_z
      - .offset:         28
        .size:           2
        .value_kind:     hidden_group_size_x
      - .offset:         30
        .size:           2
        .value_kind:     hidden_group_size_y
      - .offset:         32
        .size:           2
        .value_kind:     hidden_group_size_z
      - .offset:         34
        .size:           2
        .value_kind:     hidden_remainder_x
      - .offset:         36
        .size:           2
        .value_kind:     hidden_remainder_y
      - .offset:         38
        .size:           2
        .value_kind:     hidden_remainder_z
      - .offset:         56
        .size:           8
        .value_kind:     hidden_global_offset_x
      - .offset:         64
        .size:           8
        .value_kind:     hidden_global_offset_y
      - .offset:         72
        .size:           8
        .value_kind:     hidden_global_offset_z
      - .offset:         80
        .size:           2
        .value_kind:     hidden_grid_dims
    .group_segment_fixed_size: 2064
    .kernarg_segment_align: 8
    .kernarg_segment_size: 272
    .language:       OpenCL C
    .language_version:
      - 2
      - 0
    .max_flat_workgroup_size: 128
    .name:           _Z17sort_pairs_kernelI22helper_blocked_stripedaLj128ELj4ELj10EEvPKT0_PS1_
    .private_segment_fixed_size: 0
    .sgpr_count:     51
    .sgpr_spill_count: 0
    .symbol:         _Z17sort_pairs_kernelI22helper_blocked_stripedaLj128ELj4ELj10EEvPKT0_PS1_.kd
    .uniform_work_group_size: 1
    .uses_dynamic_stack: false
    .vgpr_count:     54
    .vgpr_spill_count: 0
    .wavefront_size: 64
  - .args:
      - .address_space:  global
        .offset:         0
        .size:           8
        .value_kind:     global_buffer
      - .address_space:  global
        .offset:         8
        .size:           8
        .value_kind:     global_buffer
      - .offset:         16
        .size:           4
        .value_kind:     hidden_block_count_x
      - .offset:         20
        .size:           4
        .value_kind:     hidden_block_count_y
      - .offset:         24
        .size:           4
        .value_kind:     hidden_block_count_z
      - .offset:         28
        .size:           2
        .value_kind:     hidden_group_size_x
      - .offset:         30
        .size:           2
        .value_kind:     hidden_group_size_y
      - .offset:         32
        .size:           2
        .value_kind:     hidden_group_size_z
      - .offset:         34
        .size:           2
        .value_kind:     hidden_remainder_x
      - .offset:         36
        .size:           2
        .value_kind:     hidden_remainder_y
      - .offset:         38
        .size:           2
        .value_kind:     hidden_remainder_z
      - .offset:         56
        .size:           8
        .value_kind:     hidden_global_offset_x
      - .offset:         64
        .size:           8
        .value_kind:     hidden_global_offset_y
      - .offset:         72
        .size:           8
        .value_kind:     hidden_global_offset_z
      - .offset:         80
        .size:           2
        .value_kind:     hidden_grid_dims
    .group_segment_fixed_size: 2064
    .kernarg_segment_align: 8
    .kernarg_segment_size: 272
    .language:       OpenCL C
    .language_version:
      - 2
      - 0
    .max_flat_workgroup_size: 128
    .name:           _Z16sort_keys_kernelI22helper_blocked_stripedaLj128ELj8ELj10EEvPKT0_PS1_
    .private_segment_fixed_size: 0
    .sgpr_count:     38
    .sgpr_spill_count: 0
    .symbol:         _Z16sort_keys_kernelI22helper_blocked_stripedaLj128ELj8ELj10EEvPKT0_PS1_.kd
    .uniform_work_group_size: 1
    .uses_dynamic_stack: false
    .vgpr_count:     52
    .vgpr_spill_count: 0
    .wavefront_size: 64
  - .args:
      - .address_space:  global
        .offset:         0
        .size:           8
        .value_kind:     global_buffer
      - .address_space:  global
        .offset:         8
        .size:           8
        .value_kind:     global_buffer
      - .offset:         16
        .size:           4
        .value_kind:     hidden_block_count_x
      - .offset:         20
        .size:           4
        .value_kind:     hidden_block_count_y
      - .offset:         24
        .size:           4
        .value_kind:     hidden_block_count_z
      - .offset:         28
        .size:           2
        .value_kind:     hidden_group_size_x
      - .offset:         30
        .size:           2
        .value_kind:     hidden_group_size_y
      - .offset:         32
        .size:           2
        .value_kind:     hidden_group_size_z
      - .offset:         34
        .size:           2
        .value_kind:     hidden_remainder_x
      - .offset:         36
        .size:           2
        .value_kind:     hidden_remainder_y
      - .offset:         38
        .size:           2
        .value_kind:     hidden_remainder_z
      - .offset:         56
        .size:           8
        .value_kind:     hidden_global_offset_x
      - .offset:         64
        .size:           8
        .value_kind:     hidden_global_offset_y
      - .offset:         72
        .size:           8
        .value_kind:     hidden_global_offset_z
      - .offset:         80
        .size:           2
        .value_kind:     hidden_grid_dims
    .group_segment_fixed_size: 2064
    .kernarg_segment_align: 8
    .kernarg_segment_size: 272
    .language:       OpenCL C
    .language_version:
      - 2
      - 0
    .max_flat_workgroup_size: 128
    .name:           _Z17sort_pairs_kernelI22helper_blocked_stripedaLj128ELj8ELj10EEvPKT0_PS1_
    .private_segment_fixed_size: 0
    .sgpr_count:     39
    .sgpr_spill_count: 0
    .symbol:         _Z17sort_pairs_kernelI22helper_blocked_stripedaLj128ELj8ELj10EEvPKT0_PS1_.kd
    .uniform_work_group_size: 1
    .uses_dynamic_stack: false
    .vgpr_count:     60
    .vgpr_spill_count: 0
    .wavefront_size: 64
  - .args:
      - .address_space:  global
        .offset:         0
        .size:           8
        .value_kind:     global_buffer
      - .address_space:  global
        .offset:         8
        .size:           8
        .value_kind:     global_buffer
      - .offset:         16
        .size:           4
        .value_kind:     hidden_block_count_x
      - .offset:         20
        .size:           4
        .value_kind:     hidden_block_count_y
      - .offset:         24
        .size:           4
        .value_kind:     hidden_block_count_z
      - .offset:         28
        .size:           2
        .value_kind:     hidden_group_size_x
      - .offset:         30
        .size:           2
        .value_kind:     hidden_group_size_y
      - .offset:         32
        .size:           2
        .value_kind:     hidden_group_size_z
      - .offset:         34
        .size:           2
        .value_kind:     hidden_remainder_x
      - .offset:         36
        .size:           2
        .value_kind:     hidden_remainder_y
      - .offset:         38
        .size:           2
        .value_kind:     hidden_remainder_z
      - .offset:         56
        .size:           8
        .value_kind:     hidden_global_offset_x
      - .offset:         64
        .size:           8
        .value_kind:     hidden_global_offset_y
      - .offset:         72
        .size:           8
        .value_kind:     hidden_global_offset_z
      - .offset:         80
        .size:           2
        .value_kind:     hidden_grid_dims
    .group_segment_fixed_size: 3088
    .kernarg_segment_align: 8
    .kernarg_segment_size: 272
    .language:       OpenCL C
    .language_version:
      - 2
      - 0
    .max_flat_workgroup_size: 192
    .name:           _Z16sort_keys_kernelI22helper_blocked_stripedaLj192ELj1ELj10EEvPKT0_PS1_
    .private_segment_fixed_size: 0
    .sgpr_count:     38
    .sgpr_spill_count: 0
    .symbol:         _Z16sort_keys_kernelI22helper_blocked_stripedaLj192ELj1ELj10EEvPKT0_PS1_.kd
    .uniform_work_group_size: 1
    .uses_dynamic_stack: false
    .vgpr_count:     18
    .vgpr_spill_count: 0
    .wavefront_size: 64
  - .args:
      - .address_space:  global
        .offset:         0
        .size:           8
        .value_kind:     global_buffer
      - .address_space:  global
        .offset:         8
        .size:           8
        .value_kind:     global_buffer
      - .offset:         16
        .size:           4
        .value_kind:     hidden_block_count_x
      - .offset:         20
        .size:           4
        .value_kind:     hidden_block_count_y
      - .offset:         24
        .size:           4
        .value_kind:     hidden_block_count_z
      - .offset:         28
        .size:           2
        .value_kind:     hidden_group_size_x
      - .offset:         30
        .size:           2
        .value_kind:     hidden_group_size_y
      - .offset:         32
        .size:           2
        .value_kind:     hidden_group_size_z
      - .offset:         34
        .size:           2
        .value_kind:     hidden_remainder_x
      - .offset:         36
        .size:           2
        .value_kind:     hidden_remainder_y
      - .offset:         38
        .size:           2
        .value_kind:     hidden_remainder_z
      - .offset:         56
        .size:           8
        .value_kind:     hidden_global_offset_x
      - .offset:         64
        .size:           8
        .value_kind:     hidden_global_offset_y
      - .offset:         72
        .size:           8
        .value_kind:     hidden_global_offset_z
      - .offset:         80
        .size:           2
        .value_kind:     hidden_grid_dims
    .group_segment_fixed_size: 3088
    .kernarg_segment_align: 8
    .kernarg_segment_size: 272
    .language:       OpenCL C
    .language_version:
      - 2
      - 0
    .max_flat_workgroup_size: 192
    .name:           _Z17sort_pairs_kernelI22helper_blocked_stripedaLj192ELj1ELj10EEvPKT0_PS1_
    .private_segment_fixed_size: 0
    .sgpr_count:     38
    .sgpr_spill_count: 0
    .symbol:         _Z17sort_pairs_kernelI22helper_blocked_stripedaLj192ELj1ELj10EEvPKT0_PS1_.kd
    .uniform_work_group_size: 1
    .uses_dynamic_stack: false
    .vgpr_count:     19
    .vgpr_spill_count: 0
    .wavefront_size: 64
  - .args:
      - .address_space:  global
        .offset:         0
        .size:           8
        .value_kind:     global_buffer
      - .address_space:  global
        .offset:         8
        .size:           8
        .value_kind:     global_buffer
      - .offset:         16
        .size:           4
        .value_kind:     hidden_block_count_x
      - .offset:         20
        .size:           4
        .value_kind:     hidden_block_count_y
      - .offset:         24
        .size:           4
        .value_kind:     hidden_block_count_z
      - .offset:         28
        .size:           2
        .value_kind:     hidden_group_size_x
      - .offset:         30
        .size:           2
        .value_kind:     hidden_group_size_y
      - .offset:         32
        .size:           2
        .value_kind:     hidden_group_size_z
      - .offset:         34
        .size:           2
        .value_kind:     hidden_remainder_x
      - .offset:         36
        .size:           2
        .value_kind:     hidden_remainder_y
      - .offset:         38
        .size:           2
        .value_kind:     hidden_remainder_z
      - .offset:         56
        .size:           8
        .value_kind:     hidden_global_offset_x
      - .offset:         64
        .size:           8
        .value_kind:     hidden_global_offset_y
      - .offset:         72
        .size:           8
        .value_kind:     hidden_global_offset_z
      - .offset:         80
        .size:           2
        .value_kind:     hidden_grid_dims
    .group_segment_fixed_size: 3088
    .kernarg_segment_align: 8
    .kernarg_segment_size: 272
    .language:       OpenCL C
    .language_version:
      - 2
      - 0
    .max_flat_workgroup_size: 192
    .name:           _Z16sort_keys_kernelI22helper_blocked_stripedaLj192ELj3ELj10EEvPKT0_PS1_
    .private_segment_fixed_size: 0
    .sgpr_count:     38
    .sgpr_spill_count: 0
    .symbol:         _Z16sort_keys_kernelI22helper_blocked_stripedaLj192ELj3ELj10EEvPKT0_PS1_.kd
    .uniform_work_group_size: 1
    .uses_dynamic_stack: false
    .vgpr_count:     27
    .vgpr_spill_count: 0
    .wavefront_size: 64
  - .args:
      - .address_space:  global
        .offset:         0
        .size:           8
        .value_kind:     global_buffer
      - .address_space:  global
        .offset:         8
        .size:           8
        .value_kind:     global_buffer
      - .offset:         16
        .size:           4
        .value_kind:     hidden_block_count_x
      - .offset:         20
        .size:           4
        .value_kind:     hidden_block_count_y
      - .offset:         24
        .size:           4
        .value_kind:     hidden_block_count_z
      - .offset:         28
        .size:           2
        .value_kind:     hidden_group_size_x
      - .offset:         30
        .size:           2
        .value_kind:     hidden_group_size_y
      - .offset:         32
        .size:           2
        .value_kind:     hidden_group_size_z
      - .offset:         34
        .size:           2
        .value_kind:     hidden_remainder_x
      - .offset:         36
        .size:           2
        .value_kind:     hidden_remainder_y
      - .offset:         38
        .size:           2
        .value_kind:     hidden_remainder_z
      - .offset:         56
        .size:           8
        .value_kind:     hidden_global_offset_x
      - .offset:         64
        .size:           8
        .value_kind:     hidden_global_offset_y
      - .offset:         72
        .size:           8
        .value_kind:     hidden_global_offset_z
      - .offset:         80
        .size:           2
        .value_kind:     hidden_grid_dims
    .group_segment_fixed_size: 3088
    .kernarg_segment_align: 8
    .kernarg_segment_size: 272
    .language:       OpenCL C
    .language_version:
      - 2
      - 0
    .max_flat_workgroup_size: 192
    .name:           _Z17sort_pairs_kernelI22helper_blocked_stripedaLj192ELj3ELj10EEvPKT0_PS1_
    .private_segment_fixed_size: 0
    .sgpr_count:     38
    .sgpr_spill_count: 0
    .symbol:         _Z17sort_pairs_kernelI22helper_blocked_stripedaLj192ELj3ELj10EEvPKT0_PS1_.kd
    .uniform_work_group_size: 1
    .uses_dynamic_stack: false
    .vgpr_count:     31
    .vgpr_spill_count: 0
    .wavefront_size: 64
  - .args:
      - .address_space:  global
        .offset:         0
        .size:           8
        .value_kind:     global_buffer
      - .address_space:  global
        .offset:         8
        .size:           8
        .value_kind:     global_buffer
      - .offset:         16
        .size:           4
        .value_kind:     hidden_block_count_x
      - .offset:         20
        .size:           4
        .value_kind:     hidden_block_count_y
      - .offset:         24
        .size:           4
        .value_kind:     hidden_block_count_z
      - .offset:         28
        .size:           2
        .value_kind:     hidden_group_size_x
      - .offset:         30
        .size:           2
        .value_kind:     hidden_group_size_y
      - .offset:         32
        .size:           2
        .value_kind:     hidden_group_size_z
      - .offset:         34
        .size:           2
        .value_kind:     hidden_remainder_x
      - .offset:         36
        .size:           2
        .value_kind:     hidden_remainder_y
      - .offset:         38
        .size:           2
        .value_kind:     hidden_remainder_z
      - .offset:         56
        .size:           8
        .value_kind:     hidden_global_offset_x
      - .offset:         64
        .size:           8
        .value_kind:     hidden_global_offset_y
      - .offset:         72
        .size:           8
        .value_kind:     hidden_global_offset_z
      - .offset:         80
        .size:           2
        .value_kind:     hidden_grid_dims
    .group_segment_fixed_size: 3088
    .kernarg_segment_align: 8
    .kernarg_segment_size: 272
    .language:       OpenCL C
    .language_version:
      - 2
      - 0
    .max_flat_workgroup_size: 192
    .name:           _Z16sort_keys_kernelI22helper_blocked_stripedaLj192ELj4ELj10EEvPKT0_PS1_
    .private_segment_fixed_size: 0
    .sgpr_count:     48
    .sgpr_spill_count: 0
    .symbol:         _Z16sort_keys_kernelI22helper_blocked_stripedaLj192ELj4ELj10EEvPKT0_PS1_.kd
    .uniform_work_group_size: 1
    .uses_dynamic_stack: false
    .vgpr_count:     34
    .vgpr_spill_count: 0
    .wavefront_size: 64
  - .args:
      - .address_space:  global
        .offset:         0
        .size:           8
        .value_kind:     global_buffer
      - .address_space:  global
        .offset:         8
        .size:           8
        .value_kind:     global_buffer
      - .offset:         16
        .size:           4
        .value_kind:     hidden_block_count_x
      - .offset:         20
        .size:           4
        .value_kind:     hidden_block_count_y
      - .offset:         24
        .size:           4
        .value_kind:     hidden_block_count_z
      - .offset:         28
        .size:           2
        .value_kind:     hidden_group_size_x
      - .offset:         30
        .size:           2
        .value_kind:     hidden_group_size_y
      - .offset:         32
        .size:           2
        .value_kind:     hidden_group_size_z
      - .offset:         34
        .size:           2
        .value_kind:     hidden_remainder_x
      - .offset:         36
        .size:           2
        .value_kind:     hidden_remainder_y
      - .offset:         38
        .size:           2
        .value_kind:     hidden_remainder_z
      - .offset:         56
        .size:           8
        .value_kind:     hidden_global_offset_x
      - .offset:         64
        .size:           8
        .value_kind:     hidden_global_offset_y
      - .offset:         72
        .size:           8
        .value_kind:     hidden_global_offset_z
      - .offset:         80
        .size:           2
        .value_kind:     hidden_grid_dims
    .group_segment_fixed_size: 3088
    .kernarg_segment_align: 8
    .kernarg_segment_size: 272
    .language:       OpenCL C
    .language_version:
      - 2
      - 0
    .max_flat_workgroup_size: 192
    .name:           _Z17sort_pairs_kernelI22helper_blocked_stripedaLj192ELj4ELj10EEvPKT0_PS1_
    .private_segment_fixed_size: 0
    .sgpr_count:     51
    .sgpr_spill_count: 0
    .symbol:         _Z17sort_pairs_kernelI22helper_blocked_stripedaLj192ELj4ELj10EEvPKT0_PS1_.kd
    .uniform_work_group_size: 1
    .uses_dynamic_stack: false
    .vgpr_count:     50
    .vgpr_spill_count: 0
    .wavefront_size: 64
  - .args:
      - .address_space:  global
        .offset:         0
        .size:           8
        .value_kind:     global_buffer
      - .address_space:  global
        .offset:         8
        .size:           8
        .value_kind:     global_buffer
      - .offset:         16
        .size:           4
        .value_kind:     hidden_block_count_x
      - .offset:         20
        .size:           4
        .value_kind:     hidden_block_count_y
      - .offset:         24
        .size:           4
        .value_kind:     hidden_block_count_z
      - .offset:         28
        .size:           2
        .value_kind:     hidden_group_size_x
      - .offset:         30
        .size:           2
        .value_kind:     hidden_group_size_y
      - .offset:         32
        .size:           2
        .value_kind:     hidden_group_size_z
      - .offset:         34
        .size:           2
        .value_kind:     hidden_remainder_x
      - .offset:         36
        .size:           2
        .value_kind:     hidden_remainder_y
      - .offset:         38
        .size:           2
        .value_kind:     hidden_remainder_z
      - .offset:         56
        .size:           8
        .value_kind:     hidden_global_offset_x
      - .offset:         64
        .size:           8
        .value_kind:     hidden_global_offset_y
      - .offset:         72
        .size:           8
        .value_kind:     hidden_global_offset_z
      - .offset:         80
        .size:           2
        .value_kind:     hidden_grid_dims
    .group_segment_fixed_size: 3088
    .kernarg_segment_align: 8
    .kernarg_segment_size: 272
    .language:       OpenCL C
    .language_version:
      - 2
      - 0
    .max_flat_workgroup_size: 192
    .name:           _Z16sort_keys_kernelI22helper_blocked_stripedaLj192ELj8ELj10EEvPKT0_PS1_
    .private_segment_fixed_size: 0
    .sgpr_count:     40
    .sgpr_spill_count: 0
    .symbol:         _Z16sort_keys_kernelI22helper_blocked_stripedaLj192ELj8ELj10EEvPKT0_PS1_.kd
    .uniform_work_group_size: 1
    .uses_dynamic_stack: false
    .vgpr_count:     47
    .vgpr_spill_count: 0
    .wavefront_size: 64
  - .args:
      - .address_space:  global
        .offset:         0
        .size:           8
        .value_kind:     global_buffer
      - .address_space:  global
        .offset:         8
        .size:           8
        .value_kind:     global_buffer
      - .offset:         16
        .size:           4
        .value_kind:     hidden_block_count_x
      - .offset:         20
        .size:           4
        .value_kind:     hidden_block_count_y
      - .offset:         24
        .size:           4
        .value_kind:     hidden_block_count_z
      - .offset:         28
        .size:           2
        .value_kind:     hidden_group_size_x
      - .offset:         30
        .size:           2
        .value_kind:     hidden_group_size_y
      - .offset:         32
        .size:           2
        .value_kind:     hidden_group_size_z
      - .offset:         34
        .size:           2
        .value_kind:     hidden_remainder_x
      - .offset:         36
        .size:           2
        .value_kind:     hidden_remainder_y
      - .offset:         38
        .size:           2
        .value_kind:     hidden_remainder_z
      - .offset:         56
        .size:           8
        .value_kind:     hidden_global_offset_x
      - .offset:         64
        .size:           8
        .value_kind:     hidden_global_offset_y
      - .offset:         72
        .size:           8
        .value_kind:     hidden_global_offset_z
      - .offset:         80
        .size:           2
        .value_kind:     hidden_grid_dims
    .group_segment_fixed_size: 3088
    .kernarg_segment_align: 8
    .kernarg_segment_size: 272
    .language:       OpenCL C
    .language_version:
      - 2
      - 0
    .max_flat_workgroup_size: 192
    .name:           _Z17sort_pairs_kernelI22helper_blocked_stripedaLj192ELj8ELj10EEvPKT0_PS1_
    .private_segment_fixed_size: 0
    .sgpr_count:     41
    .sgpr_spill_count: 0
    .symbol:         _Z17sort_pairs_kernelI22helper_blocked_stripedaLj192ELj8ELj10EEvPKT0_PS1_.kd
    .uniform_work_group_size: 1
    .uses_dynamic_stack: false
    .vgpr_count:     56
    .vgpr_spill_count: 0
    .wavefront_size: 64
  - .args:
      - .address_space:  global
        .offset:         0
        .size:           8
        .value_kind:     global_buffer
      - .address_space:  global
        .offset:         8
        .size:           8
        .value_kind:     global_buffer
      - .offset:         16
        .size:           4
        .value_kind:     hidden_block_count_x
      - .offset:         20
        .size:           4
        .value_kind:     hidden_block_count_y
      - .offset:         24
        .size:           4
        .value_kind:     hidden_block_count_z
      - .offset:         28
        .size:           2
        .value_kind:     hidden_group_size_x
      - .offset:         30
        .size:           2
        .value_kind:     hidden_group_size_y
      - .offset:         32
        .size:           2
        .value_kind:     hidden_group_size_z
      - .offset:         34
        .size:           2
        .value_kind:     hidden_remainder_x
      - .offset:         36
        .size:           2
        .value_kind:     hidden_remainder_y
      - .offset:         38
        .size:           2
        .value_kind:     hidden_remainder_z
      - .offset:         56
        .size:           8
        .value_kind:     hidden_global_offset_x
      - .offset:         64
        .size:           8
        .value_kind:     hidden_global_offset_y
      - .offset:         72
        .size:           8
        .value_kind:     hidden_global_offset_z
      - .offset:         80
        .size:           2
        .value_kind:     hidden_grid_dims
    .group_segment_fixed_size: 4112
    .kernarg_segment_align: 8
    .kernarg_segment_size: 272
    .language:       OpenCL C
    .language_version:
      - 2
      - 0
    .max_flat_workgroup_size: 256
    .name:           _Z16sort_keys_kernelI22helper_blocked_stripedaLj256ELj1ELj10EEvPKT0_PS1_
    .private_segment_fixed_size: 0
    .sgpr_count:     38
    .sgpr_spill_count: 0
    .symbol:         _Z16sort_keys_kernelI22helper_blocked_stripedaLj256ELj1ELj10EEvPKT0_PS1_.kd
    .uniform_work_group_size: 1
    .uses_dynamic_stack: false
    .vgpr_count:     22
    .vgpr_spill_count: 0
    .wavefront_size: 64
  - .args:
      - .address_space:  global
        .offset:         0
        .size:           8
        .value_kind:     global_buffer
      - .address_space:  global
        .offset:         8
        .size:           8
        .value_kind:     global_buffer
      - .offset:         16
        .size:           4
        .value_kind:     hidden_block_count_x
      - .offset:         20
        .size:           4
        .value_kind:     hidden_block_count_y
      - .offset:         24
        .size:           4
        .value_kind:     hidden_block_count_z
      - .offset:         28
        .size:           2
        .value_kind:     hidden_group_size_x
      - .offset:         30
        .size:           2
        .value_kind:     hidden_group_size_y
      - .offset:         32
        .size:           2
        .value_kind:     hidden_group_size_z
      - .offset:         34
        .size:           2
        .value_kind:     hidden_remainder_x
      - .offset:         36
        .size:           2
        .value_kind:     hidden_remainder_y
      - .offset:         38
        .size:           2
        .value_kind:     hidden_remainder_z
      - .offset:         56
        .size:           8
        .value_kind:     hidden_global_offset_x
      - .offset:         64
        .size:           8
        .value_kind:     hidden_global_offset_y
      - .offset:         72
        .size:           8
        .value_kind:     hidden_global_offset_z
      - .offset:         80
        .size:           2
        .value_kind:     hidden_grid_dims
    .group_segment_fixed_size: 4112
    .kernarg_segment_align: 8
    .kernarg_segment_size: 272
    .language:       OpenCL C
    .language_version:
      - 2
      - 0
    .max_flat_workgroup_size: 256
    .name:           _Z17sort_pairs_kernelI22helper_blocked_stripedaLj256ELj1ELj10EEvPKT0_PS1_
    .private_segment_fixed_size: 0
    .sgpr_count:     38
    .sgpr_spill_count: 0
    .symbol:         _Z17sort_pairs_kernelI22helper_blocked_stripedaLj256ELj1ELj10EEvPKT0_PS1_.kd
    .uniform_work_group_size: 1
    .uses_dynamic_stack: false
    .vgpr_count:     23
    .vgpr_spill_count: 0
    .wavefront_size: 64
  - .args:
      - .address_space:  global
        .offset:         0
        .size:           8
        .value_kind:     global_buffer
      - .address_space:  global
        .offset:         8
        .size:           8
        .value_kind:     global_buffer
      - .offset:         16
        .size:           4
        .value_kind:     hidden_block_count_x
      - .offset:         20
        .size:           4
        .value_kind:     hidden_block_count_y
      - .offset:         24
        .size:           4
        .value_kind:     hidden_block_count_z
      - .offset:         28
        .size:           2
        .value_kind:     hidden_group_size_x
      - .offset:         30
        .size:           2
        .value_kind:     hidden_group_size_y
      - .offset:         32
        .size:           2
        .value_kind:     hidden_group_size_z
      - .offset:         34
        .size:           2
        .value_kind:     hidden_remainder_x
      - .offset:         36
        .size:           2
        .value_kind:     hidden_remainder_y
      - .offset:         38
        .size:           2
        .value_kind:     hidden_remainder_z
      - .offset:         56
        .size:           8
        .value_kind:     hidden_global_offset_x
      - .offset:         64
        .size:           8
        .value_kind:     hidden_global_offset_y
      - .offset:         72
        .size:           8
        .value_kind:     hidden_global_offset_z
      - .offset:         80
        .size:           2
        .value_kind:     hidden_grid_dims
    .group_segment_fixed_size: 4112
    .kernarg_segment_align: 8
    .kernarg_segment_size: 272
    .language:       OpenCL C
    .language_version:
      - 2
      - 0
    .max_flat_workgroup_size: 256
    .name:           _Z16sort_keys_kernelI22helper_blocked_stripedaLj256ELj3ELj10EEvPKT0_PS1_
    .private_segment_fixed_size: 0
    .sgpr_count:     38
    .sgpr_spill_count: 0
    .symbol:         _Z16sort_keys_kernelI22helper_blocked_stripedaLj256ELj3ELj10EEvPKT0_PS1_.kd
    .uniform_work_group_size: 1
    .uses_dynamic_stack: false
    .vgpr_count:     33
    .vgpr_spill_count: 0
    .wavefront_size: 64
  - .args:
      - .address_space:  global
        .offset:         0
        .size:           8
        .value_kind:     global_buffer
      - .address_space:  global
        .offset:         8
        .size:           8
        .value_kind:     global_buffer
      - .offset:         16
        .size:           4
        .value_kind:     hidden_block_count_x
      - .offset:         20
        .size:           4
        .value_kind:     hidden_block_count_y
      - .offset:         24
        .size:           4
        .value_kind:     hidden_block_count_z
      - .offset:         28
        .size:           2
        .value_kind:     hidden_group_size_x
      - .offset:         30
        .size:           2
        .value_kind:     hidden_group_size_y
      - .offset:         32
        .size:           2
        .value_kind:     hidden_group_size_z
      - .offset:         34
        .size:           2
        .value_kind:     hidden_remainder_x
      - .offset:         36
        .size:           2
        .value_kind:     hidden_remainder_y
      - .offset:         38
        .size:           2
        .value_kind:     hidden_remainder_z
      - .offset:         56
        .size:           8
        .value_kind:     hidden_global_offset_x
      - .offset:         64
        .size:           8
        .value_kind:     hidden_global_offset_y
      - .offset:         72
        .size:           8
        .value_kind:     hidden_global_offset_z
      - .offset:         80
        .size:           2
        .value_kind:     hidden_grid_dims
    .group_segment_fixed_size: 4112
    .kernarg_segment_align: 8
    .kernarg_segment_size: 272
    .language:       OpenCL C
    .language_version:
      - 2
      - 0
    .max_flat_workgroup_size: 256
    .name:           _Z17sort_pairs_kernelI22helper_blocked_stripedaLj256ELj3ELj10EEvPKT0_PS1_
    .private_segment_fixed_size: 0
    .sgpr_count:     38
    .sgpr_spill_count: 0
    .symbol:         _Z17sort_pairs_kernelI22helper_blocked_stripedaLj256ELj3ELj10EEvPKT0_PS1_.kd
    .uniform_work_group_size: 1
    .uses_dynamic_stack: false
    .vgpr_count:     35
    .vgpr_spill_count: 0
    .wavefront_size: 64
  - .args:
      - .address_space:  global
        .offset:         0
        .size:           8
        .value_kind:     global_buffer
      - .address_space:  global
        .offset:         8
        .size:           8
        .value_kind:     global_buffer
      - .offset:         16
        .size:           4
        .value_kind:     hidden_block_count_x
      - .offset:         20
        .size:           4
        .value_kind:     hidden_block_count_y
      - .offset:         24
        .size:           4
        .value_kind:     hidden_block_count_z
      - .offset:         28
        .size:           2
        .value_kind:     hidden_group_size_x
      - .offset:         30
        .size:           2
        .value_kind:     hidden_group_size_y
      - .offset:         32
        .size:           2
        .value_kind:     hidden_group_size_z
      - .offset:         34
        .size:           2
        .value_kind:     hidden_remainder_x
      - .offset:         36
        .size:           2
        .value_kind:     hidden_remainder_y
      - .offset:         38
        .size:           2
        .value_kind:     hidden_remainder_z
      - .offset:         56
        .size:           8
        .value_kind:     hidden_global_offset_x
      - .offset:         64
        .size:           8
        .value_kind:     hidden_global_offset_y
      - .offset:         72
        .size:           8
        .value_kind:     hidden_global_offset_z
      - .offset:         80
        .size:           2
        .value_kind:     hidden_grid_dims
    .group_segment_fixed_size: 4112
    .kernarg_segment_align: 8
    .kernarg_segment_size: 272
    .language:       OpenCL C
    .language_version:
      - 2
      - 0
    .max_flat_workgroup_size: 256
    .name:           _Z16sort_keys_kernelI22helper_blocked_stripedaLj256ELj4ELj10EEvPKT0_PS1_
    .private_segment_fixed_size: 0
    .sgpr_count:     48
    .sgpr_spill_count: 0
    .symbol:         _Z16sort_keys_kernelI22helper_blocked_stripedaLj256ELj4ELj10EEvPKT0_PS1_.kd
    .uniform_work_group_size: 1
    .uses_dynamic_stack: false
    .vgpr_count:     38
    .vgpr_spill_count: 0
    .wavefront_size: 64
  - .args:
      - .address_space:  global
        .offset:         0
        .size:           8
        .value_kind:     global_buffer
      - .address_space:  global
        .offset:         8
        .size:           8
        .value_kind:     global_buffer
      - .offset:         16
        .size:           4
        .value_kind:     hidden_block_count_x
      - .offset:         20
        .size:           4
        .value_kind:     hidden_block_count_y
      - .offset:         24
        .size:           4
        .value_kind:     hidden_block_count_z
      - .offset:         28
        .size:           2
        .value_kind:     hidden_group_size_x
      - .offset:         30
        .size:           2
        .value_kind:     hidden_group_size_y
      - .offset:         32
        .size:           2
        .value_kind:     hidden_group_size_z
      - .offset:         34
        .size:           2
        .value_kind:     hidden_remainder_x
      - .offset:         36
        .size:           2
        .value_kind:     hidden_remainder_y
      - .offset:         38
        .size:           2
        .value_kind:     hidden_remainder_z
      - .offset:         56
        .size:           8
        .value_kind:     hidden_global_offset_x
      - .offset:         64
        .size:           8
        .value_kind:     hidden_global_offset_y
      - .offset:         72
        .size:           8
        .value_kind:     hidden_global_offset_z
      - .offset:         80
        .size:           2
        .value_kind:     hidden_grid_dims
    .group_segment_fixed_size: 4112
    .kernarg_segment_align: 8
    .kernarg_segment_size: 272
    .language:       OpenCL C
    .language_version:
      - 2
      - 0
    .max_flat_workgroup_size: 256
    .name:           _Z17sort_pairs_kernelI22helper_blocked_stripedaLj256ELj4ELj10EEvPKT0_PS1_
    .private_segment_fixed_size: 0
    .sgpr_count:     51
    .sgpr_spill_count: 0
    .symbol:         _Z17sort_pairs_kernelI22helper_blocked_stripedaLj256ELj4ELj10EEvPKT0_PS1_.kd
    .uniform_work_group_size: 1
    .uses_dynamic_stack: false
    .vgpr_count:     54
    .vgpr_spill_count: 0
    .wavefront_size: 64
  - .args:
      - .address_space:  global
        .offset:         0
        .size:           8
        .value_kind:     global_buffer
      - .address_space:  global
        .offset:         8
        .size:           8
        .value_kind:     global_buffer
      - .offset:         16
        .size:           4
        .value_kind:     hidden_block_count_x
      - .offset:         20
        .size:           4
        .value_kind:     hidden_block_count_y
      - .offset:         24
        .size:           4
        .value_kind:     hidden_block_count_z
      - .offset:         28
        .size:           2
        .value_kind:     hidden_group_size_x
      - .offset:         30
        .size:           2
        .value_kind:     hidden_group_size_y
      - .offset:         32
        .size:           2
        .value_kind:     hidden_group_size_z
      - .offset:         34
        .size:           2
        .value_kind:     hidden_remainder_x
      - .offset:         36
        .size:           2
        .value_kind:     hidden_remainder_y
      - .offset:         38
        .size:           2
        .value_kind:     hidden_remainder_z
      - .offset:         56
        .size:           8
        .value_kind:     hidden_global_offset_x
      - .offset:         64
        .size:           8
        .value_kind:     hidden_global_offset_y
      - .offset:         72
        .size:           8
        .value_kind:     hidden_global_offset_z
      - .offset:         80
        .size:           2
        .value_kind:     hidden_grid_dims
    .group_segment_fixed_size: 4112
    .kernarg_segment_align: 8
    .kernarg_segment_size: 272
    .language:       OpenCL C
    .language_version:
      - 2
      - 0
    .max_flat_workgroup_size: 256
    .name:           _Z16sort_keys_kernelI22helper_blocked_stripedaLj256ELj8ELj10EEvPKT0_PS1_
    .private_segment_fixed_size: 0
    .sgpr_count:     40
    .sgpr_spill_count: 0
    .symbol:         _Z16sort_keys_kernelI22helper_blocked_stripedaLj256ELj8ELj10EEvPKT0_PS1_.kd
    .uniform_work_group_size: 1
    .uses_dynamic_stack: false
    .vgpr_count:     52
    .vgpr_spill_count: 0
    .wavefront_size: 64
  - .args:
      - .address_space:  global
        .offset:         0
        .size:           8
        .value_kind:     global_buffer
      - .address_space:  global
        .offset:         8
        .size:           8
        .value_kind:     global_buffer
      - .offset:         16
        .size:           4
        .value_kind:     hidden_block_count_x
      - .offset:         20
        .size:           4
        .value_kind:     hidden_block_count_y
      - .offset:         24
        .size:           4
        .value_kind:     hidden_block_count_z
      - .offset:         28
        .size:           2
        .value_kind:     hidden_group_size_x
      - .offset:         30
        .size:           2
        .value_kind:     hidden_group_size_y
      - .offset:         32
        .size:           2
        .value_kind:     hidden_group_size_z
      - .offset:         34
        .size:           2
        .value_kind:     hidden_remainder_x
      - .offset:         36
        .size:           2
        .value_kind:     hidden_remainder_y
      - .offset:         38
        .size:           2
        .value_kind:     hidden_remainder_z
      - .offset:         56
        .size:           8
        .value_kind:     hidden_global_offset_x
      - .offset:         64
        .size:           8
        .value_kind:     hidden_global_offset_y
      - .offset:         72
        .size:           8
        .value_kind:     hidden_global_offset_z
      - .offset:         80
        .size:           2
        .value_kind:     hidden_grid_dims
    .group_segment_fixed_size: 4112
    .kernarg_segment_align: 8
    .kernarg_segment_size: 272
    .language:       OpenCL C
    .language_version:
      - 2
      - 0
    .max_flat_workgroup_size: 256
    .name:           _Z17sort_pairs_kernelI22helper_blocked_stripedaLj256ELj8ELj10EEvPKT0_PS1_
    .private_segment_fixed_size: 0
    .sgpr_count:     41
    .sgpr_spill_count: 0
    .symbol:         _Z17sort_pairs_kernelI22helper_blocked_stripedaLj256ELj8ELj10EEvPKT0_PS1_.kd
    .uniform_work_group_size: 1
    .uses_dynamic_stack: false
    .vgpr_count:     60
    .vgpr_spill_count: 0
    .wavefront_size: 64
  - .args:
      - .address_space:  global
        .offset:         0
        .size:           8
        .value_kind:     global_buffer
      - .address_space:  global
        .offset:         8
        .size:           8
        .value_kind:     global_buffer
      - .offset:         16
        .size:           4
        .value_kind:     hidden_block_count_x
      - .offset:         20
        .size:           4
        .value_kind:     hidden_block_count_y
      - .offset:         24
        .size:           4
        .value_kind:     hidden_block_count_z
      - .offset:         28
        .size:           2
        .value_kind:     hidden_group_size_x
      - .offset:         30
        .size:           2
        .value_kind:     hidden_group_size_y
      - .offset:         32
        .size:           2
        .value_kind:     hidden_group_size_z
      - .offset:         34
        .size:           2
        .value_kind:     hidden_remainder_x
      - .offset:         36
        .size:           2
        .value_kind:     hidden_remainder_y
      - .offset:         38
        .size:           2
        .value_kind:     hidden_remainder_z
      - .offset:         56
        .size:           8
        .value_kind:     hidden_global_offset_x
      - .offset:         64
        .size:           8
        .value_kind:     hidden_global_offset_y
      - .offset:         72
        .size:           8
        .value_kind:     hidden_global_offset_z
      - .offset:         80
        .size:           2
        .value_kind:     hidden_grid_dims
    .group_segment_fixed_size: 5152
    .kernarg_segment_align: 8
    .kernarg_segment_size: 272
    .language:       OpenCL C
    .language_version:
      - 2
      - 0
    .max_flat_workgroup_size: 320
    .name:           _Z16sort_keys_kernelI22helper_blocked_stripedaLj320ELj1ELj10EEvPKT0_PS1_
    .private_segment_fixed_size: 0
    .sgpr_count:     39
    .sgpr_spill_count: 0
    .symbol:         _Z16sort_keys_kernelI22helper_blocked_stripedaLj320ELj1ELj10EEvPKT0_PS1_.kd
    .uniform_work_group_size: 1
    .uses_dynamic_stack: false
    .vgpr_count:     18
    .vgpr_spill_count: 0
    .wavefront_size: 64
  - .args:
      - .address_space:  global
        .offset:         0
        .size:           8
        .value_kind:     global_buffer
      - .address_space:  global
        .offset:         8
        .size:           8
        .value_kind:     global_buffer
      - .offset:         16
        .size:           4
        .value_kind:     hidden_block_count_x
      - .offset:         20
        .size:           4
        .value_kind:     hidden_block_count_y
      - .offset:         24
        .size:           4
        .value_kind:     hidden_block_count_z
      - .offset:         28
        .size:           2
        .value_kind:     hidden_group_size_x
      - .offset:         30
        .size:           2
        .value_kind:     hidden_group_size_y
      - .offset:         32
        .size:           2
        .value_kind:     hidden_group_size_z
      - .offset:         34
        .size:           2
        .value_kind:     hidden_remainder_x
      - .offset:         36
        .size:           2
        .value_kind:     hidden_remainder_y
      - .offset:         38
        .size:           2
        .value_kind:     hidden_remainder_z
      - .offset:         56
        .size:           8
        .value_kind:     hidden_global_offset_x
      - .offset:         64
        .size:           8
        .value_kind:     hidden_global_offset_y
      - .offset:         72
        .size:           8
        .value_kind:     hidden_global_offset_z
      - .offset:         80
        .size:           2
        .value_kind:     hidden_grid_dims
    .group_segment_fixed_size: 5152
    .kernarg_segment_align: 8
    .kernarg_segment_size: 272
    .language:       OpenCL C
    .language_version:
      - 2
      - 0
    .max_flat_workgroup_size: 320
    .name:           _Z17sort_pairs_kernelI22helper_blocked_stripedaLj320ELj1ELj10EEvPKT0_PS1_
    .private_segment_fixed_size: 0
    .sgpr_count:     39
    .sgpr_spill_count: 0
    .symbol:         _Z17sort_pairs_kernelI22helper_blocked_stripedaLj320ELj1ELj10EEvPKT0_PS1_.kd
    .uniform_work_group_size: 1
    .uses_dynamic_stack: false
    .vgpr_count:     19
    .vgpr_spill_count: 0
    .wavefront_size: 64
  - .args:
      - .address_space:  global
        .offset:         0
        .size:           8
        .value_kind:     global_buffer
      - .address_space:  global
        .offset:         8
        .size:           8
        .value_kind:     global_buffer
      - .offset:         16
        .size:           4
        .value_kind:     hidden_block_count_x
      - .offset:         20
        .size:           4
        .value_kind:     hidden_block_count_y
      - .offset:         24
        .size:           4
        .value_kind:     hidden_block_count_z
      - .offset:         28
        .size:           2
        .value_kind:     hidden_group_size_x
      - .offset:         30
        .size:           2
        .value_kind:     hidden_group_size_y
      - .offset:         32
        .size:           2
        .value_kind:     hidden_group_size_z
      - .offset:         34
        .size:           2
        .value_kind:     hidden_remainder_x
      - .offset:         36
        .size:           2
        .value_kind:     hidden_remainder_y
      - .offset:         38
        .size:           2
        .value_kind:     hidden_remainder_z
      - .offset:         56
        .size:           8
        .value_kind:     hidden_global_offset_x
      - .offset:         64
        .size:           8
        .value_kind:     hidden_global_offset_y
      - .offset:         72
        .size:           8
        .value_kind:     hidden_global_offset_z
      - .offset:         80
        .size:           2
        .value_kind:     hidden_grid_dims
    .group_segment_fixed_size: 5152
    .kernarg_segment_align: 8
    .kernarg_segment_size: 272
    .language:       OpenCL C
    .language_version:
      - 2
      - 0
    .max_flat_workgroup_size: 320
    .name:           _Z16sort_keys_kernelI22helper_blocked_stripedaLj320ELj3ELj10EEvPKT0_PS1_
    .private_segment_fixed_size: 0
    .sgpr_count:     39
    .sgpr_spill_count: 0
    .symbol:         _Z16sort_keys_kernelI22helper_blocked_stripedaLj320ELj3ELj10EEvPKT0_PS1_.kd
    .uniform_work_group_size: 1
    .uses_dynamic_stack: false
    .vgpr_count:     27
    .vgpr_spill_count: 0
    .wavefront_size: 64
  - .args:
      - .address_space:  global
        .offset:         0
        .size:           8
        .value_kind:     global_buffer
      - .address_space:  global
        .offset:         8
        .size:           8
        .value_kind:     global_buffer
      - .offset:         16
        .size:           4
        .value_kind:     hidden_block_count_x
      - .offset:         20
        .size:           4
        .value_kind:     hidden_block_count_y
      - .offset:         24
        .size:           4
        .value_kind:     hidden_block_count_z
      - .offset:         28
        .size:           2
        .value_kind:     hidden_group_size_x
      - .offset:         30
        .size:           2
        .value_kind:     hidden_group_size_y
      - .offset:         32
        .size:           2
        .value_kind:     hidden_group_size_z
      - .offset:         34
        .size:           2
        .value_kind:     hidden_remainder_x
      - .offset:         36
        .size:           2
        .value_kind:     hidden_remainder_y
      - .offset:         38
        .size:           2
        .value_kind:     hidden_remainder_z
      - .offset:         56
        .size:           8
        .value_kind:     hidden_global_offset_x
      - .offset:         64
        .size:           8
        .value_kind:     hidden_global_offset_y
      - .offset:         72
        .size:           8
        .value_kind:     hidden_global_offset_z
      - .offset:         80
        .size:           2
        .value_kind:     hidden_grid_dims
    .group_segment_fixed_size: 5152
    .kernarg_segment_align: 8
    .kernarg_segment_size: 272
    .language:       OpenCL C
    .language_version:
      - 2
      - 0
    .max_flat_workgroup_size: 320
    .name:           _Z17sort_pairs_kernelI22helper_blocked_stripedaLj320ELj3ELj10EEvPKT0_PS1_
    .private_segment_fixed_size: 0
    .sgpr_count:     40
    .sgpr_spill_count: 0
    .symbol:         _Z17sort_pairs_kernelI22helper_blocked_stripedaLj320ELj3ELj10EEvPKT0_PS1_.kd
    .uniform_work_group_size: 1
    .uses_dynamic_stack: false
    .vgpr_count:     31
    .vgpr_spill_count: 0
    .wavefront_size: 64
  - .args:
      - .address_space:  global
        .offset:         0
        .size:           8
        .value_kind:     global_buffer
      - .address_space:  global
        .offset:         8
        .size:           8
        .value_kind:     global_buffer
      - .offset:         16
        .size:           4
        .value_kind:     hidden_block_count_x
      - .offset:         20
        .size:           4
        .value_kind:     hidden_block_count_y
      - .offset:         24
        .size:           4
        .value_kind:     hidden_block_count_z
      - .offset:         28
        .size:           2
        .value_kind:     hidden_group_size_x
      - .offset:         30
        .size:           2
        .value_kind:     hidden_group_size_y
      - .offset:         32
        .size:           2
        .value_kind:     hidden_group_size_z
      - .offset:         34
        .size:           2
        .value_kind:     hidden_remainder_x
      - .offset:         36
        .size:           2
        .value_kind:     hidden_remainder_y
      - .offset:         38
        .size:           2
        .value_kind:     hidden_remainder_z
      - .offset:         56
        .size:           8
        .value_kind:     hidden_global_offset_x
      - .offset:         64
        .size:           8
        .value_kind:     hidden_global_offset_y
      - .offset:         72
        .size:           8
        .value_kind:     hidden_global_offset_z
      - .offset:         80
        .size:           2
        .value_kind:     hidden_grid_dims
    .group_segment_fixed_size: 5152
    .kernarg_segment_align: 8
    .kernarg_segment_size: 272
    .language:       OpenCL C
    .language_version:
      - 2
      - 0
    .max_flat_workgroup_size: 320
    .name:           _Z16sort_keys_kernelI22helper_blocked_stripedaLj320ELj4ELj10EEvPKT0_PS1_
    .private_segment_fixed_size: 0
    .sgpr_count:     52
    .sgpr_spill_count: 0
    .symbol:         _Z16sort_keys_kernelI22helper_blocked_stripedaLj320ELj4ELj10EEvPKT0_PS1_.kd
    .uniform_work_group_size: 1
    .uses_dynamic_stack: false
    .vgpr_count:     34
    .vgpr_spill_count: 0
    .wavefront_size: 64
  - .args:
      - .address_space:  global
        .offset:         0
        .size:           8
        .value_kind:     global_buffer
      - .address_space:  global
        .offset:         8
        .size:           8
        .value_kind:     global_buffer
      - .offset:         16
        .size:           4
        .value_kind:     hidden_block_count_x
      - .offset:         20
        .size:           4
        .value_kind:     hidden_block_count_y
      - .offset:         24
        .size:           4
        .value_kind:     hidden_block_count_z
      - .offset:         28
        .size:           2
        .value_kind:     hidden_group_size_x
      - .offset:         30
        .size:           2
        .value_kind:     hidden_group_size_y
      - .offset:         32
        .size:           2
        .value_kind:     hidden_group_size_z
      - .offset:         34
        .size:           2
        .value_kind:     hidden_remainder_x
      - .offset:         36
        .size:           2
        .value_kind:     hidden_remainder_y
      - .offset:         38
        .size:           2
        .value_kind:     hidden_remainder_z
      - .offset:         56
        .size:           8
        .value_kind:     hidden_global_offset_x
      - .offset:         64
        .size:           8
        .value_kind:     hidden_global_offset_y
      - .offset:         72
        .size:           8
        .value_kind:     hidden_global_offset_z
      - .offset:         80
        .size:           2
        .value_kind:     hidden_grid_dims
    .group_segment_fixed_size: 5152
    .kernarg_segment_align: 8
    .kernarg_segment_size: 272
    .language:       OpenCL C
    .language_version:
      - 2
      - 0
    .max_flat_workgroup_size: 320
    .name:           _Z17sort_pairs_kernelI22helper_blocked_stripedaLj320ELj4ELj10EEvPKT0_PS1_
    .private_segment_fixed_size: 0
    .sgpr_count:     55
    .sgpr_spill_count: 0
    .symbol:         _Z17sort_pairs_kernelI22helper_blocked_stripedaLj320ELj4ELj10EEvPKT0_PS1_.kd
    .uniform_work_group_size: 1
    .uses_dynamic_stack: false
    .vgpr_count:     50
    .vgpr_spill_count: 0
    .wavefront_size: 64
  - .args:
      - .address_space:  global
        .offset:         0
        .size:           8
        .value_kind:     global_buffer
      - .address_space:  global
        .offset:         8
        .size:           8
        .value_kind:     global_buffer
      - .offset:         16
        .size:           4
        .value_kind:     hidden_block_count_x
      - .offset:         20
        .size:           4
        .value_kind:     hidden_block_count_y
      - .offset:         24
        .size:           4
        .value_kind:     hidden_block_count_z
      - .offset:         28
        .size:           2
        .value_kind:     hidden_group_size_x
      - .offset:         30
        .size:           2
        .value_kind:     hidden_group_size_y
      - .offset:         32
        .size:           2
        .value_kind:     hidden_group_size_z
      - .offset:         34
        .size:           2
        .value_kind:     hidden_remainder_x
      - .offset:         36
        .size:           2
        .value_kind:     hidden_remainder_y
      - .offset:         38
        .size:           2
        .value_kind:     hidden_remainder_z
      - .offset:         56
        .size:           8
        .value_kind:     hidden_global_offset_x
      - .offset:         64
        .size:           8
        .value_kind:     hidden_global_offset_y
      - .offset:         72
        .size:           8
        .value_kind:     hidden_global_offset_z
      - .offset:         80
        .size:           2
        .value_kind:     hidden_grid_dims
    .group_segment_fixed_size: 5152
    .kernarg_segment_align: 8
    .kernarg_segment_size: 272
    .language:       OpenCL C
    .language_version:
      - 2
      - 0
    .max_flat_workgroup_size: 320
    .name:           _Z16sort_keys_kernelI22helper_blocked_stripedaLj320ELj8ELj10EEvPKT0_PS1_
    .private_segment_fixed_size: 0
    .sgpr_count:     42
    .sgpr_spill_count: 0
    .symbol:         _Z16sort_keys_kernelI22helper_blocked_stripedaLj320ELj8ELj10EEvPKT0_PS1_.kd
    .uniform_work_group_size: 1
    .uses_dynamic_stack: false
    .vgpr_count:     47
    .vgpr_spill_count: 0
    .wavefront_size: 64
  - .args:
      - .address_space:  global
        .offset:         0
        .size:           8
        .value_kind:     global_buffer
      - .address_space:  global
        .offset:         8
        .size:           8
        .value_kind:     global_buffer
      - .offset:         16
        .size:           4
        .value_kind:     hidden_block_count_x
      - .offset:         20
        .size:           4
        .value_kind:     hidden_block_count_y
      - .offset:         24
        .size:           4
        .value_kind:     hidden_block_count_z
      - .offset:         28
        .size:           2
        .value_kind:     hidden_group_size_x
      - .offset:         30
        .size:           2
        .value_kind:     hidden_group_size_y
      - .offset:         32
        .size:           2
        .value_kind:     hidden_group_size_z
      - .offset:         34
        .size:           2
        .value_kind:     hidden_remainder_x
      - .offset:         36
        .size:           2
        .value_kind:     hidden_remainder_y
      - .offset:         38
        .size:           2
        .value_kind:     hidden_remainder_z
      - .offset:         56
        .size:           8
        .value_kind:     hidden_global_offset_x
      - .offset:         64
        .size:           8
        .value_kind:     hidden_global_offset_y
      - .offset:         72
        .size:           8
        .value_kind:     hidden_global_offset_z
      - .offset:         80
        .size:           2
        .value_kind:     hidden_grid_dims
    .group_segment_fixed_size: 5152
    .kernarg_segment_align: 8
    .kernarg_segment_size: 272
    .language:       OpenCL C
    .language_version:
      - 2
      - 0
    .max_flat_workgroup_size: 320
    .name:           _Z17sort_pairs_kernelI22helper_blocked_stripedaLj320ELj8ELj10EEvPKT0_PS1_
    .private_segment_fixed_size: 0
    .sgpr_count:     43
    .sgpr_spill_count: 0
    .symbol:         _Z17sort_pairs_kernelI22helper_blocked_stripedaLj320ELj8ELj10EEvPKT0_PS1_.kd
    .uniform_work_group_size: 1
    .uses_dynamic_stack: false
    .vgpr_count:     56
    .vgpr_spill_count: 0
    .wavefront_size: 64
  - .args:
      - .address_space:  global
        .offset:         0
        .size:           8
        .value_kind:     global_buffer
      - .address_space:  global
        .offset:         8
        .size:           8
        .value_kind:     global_buffer
      - .offset:         16
        .size:           4
        .value_kind:     hidden_block_count_x
      - .offset:         20
        .size:           4
        .value_kind:     hidden_block_count_y
      - .offset:         24
        .size:           4
        .value_kind:     hidden_block_count_z
      - .offset:         28
        .size:           2
        .value_kind:     hidden_group_size_x
      - .offset:         30
        .size:           2
        .value_kind:     hidden_group_size_y
      - .offset:         32
        .size:           2
        .value_kind:     hidden_group_size_z
      - .offset:         34
        .size:           2
        .value_kind:     hidden_remainder_x
      - .offset:         36
        .size:           2
        .value_kind:     hidden_remainder_y
      - .offset:         38
        .size:           2
        .value_kind:     hidden_remainder_z
      - .offset:         56
        .size:           8
        .value_kind:     hidden_global_offset_x
      - .offset:         64
        .size:           8
        .value_kind:     hidden_global_offset_y
      - .offset:         72
        .size:           8
        .value_kind:     hidden_global_offset_z
      - .offset:         80
        .size:           2
        .value_kind:     hidden_grid_dims
    .group_segment_fixed_size: 8224
    .kernarg_segment_align: 8
    .kernarg_segment_size: 272
    .language:       OpenCL C
    .language_version:
      - 2
      - 0
    .max_flat_workgroup_size: 512
    .name:           _Z16sort_keys_kernelI22helper_blocked_stripedaLj512ELj1ELj10EEvPKT0_PS1_
    .private_segment_fixed_size: 0
    .sgpr_count:     39
    .sgpr_spill_count: 0
    .symbol:         _Z16sort_keys_kernelI22helper_blocked_stripedaLj512ELj1ELj10EEvPKT0_PS1_.kd
    .uniform_work_group_size: 1
    .uses_dynamic_stack: false
    .vgpr_count:     22
    .vgpr_spill_count: 0
    .wavefront_size: 64
  - .args:
      - .address_space:  global
        .offset:         0
        .size:           8
        .value_kind:     global_buffer
      - .address_space:  global
        .offset:         8
        .size:           8
        .value_kind:     global_buffer
      - .offset:         16
        .size:           4
        .value_kind:     hidden_block_count_x
      - .offset:         20
        .size:           4
        .value_kind:     hidden_block_count_y
      - .offset:         24
        .size:           4
        .value_kind:     hidden_block_count_z
      - .offset:         28
        .size:           2
        .value_kind:     hidden_group_size_x
      - .offset:         30
        .size:           2
        .value_kind:     hidden_group_size_y
      - .offset:         32
        .size:           2
        .value_kind:     hidden_group_size_z
      - .offset:         34
        .size:           2
        .value_kind:     hidden_remainder_x
      - .offset:         36
        .size:           2
        .value_kind:     hidden_remainder_y
      - .offset:         38
        .size:           2
        .value_kind:     hidden_remainder_z
      - .offset:         56
        .size:           8
        .value_kind:     hidden_global_offset_x
      - .offset:         64
        .size:           8
        .value_kind:     hidden_global_offset_y
      - .offset:         72
        .size:           8
        .value_kind:     hidden_global_offset_z
      - .offset:         80
        .size:           2
        .value_kind:     hidden_grid_dims
    .group_segment_fixed_size: 8224
    .kernarg_segment_align: 8
    .kernarg_segment_size: 272
    .language:       OpenCL C
    .language_version:
      - 2
      - 0
    .max_flat_workgroup_size: 512
    .name:           _Z17sort_pairs_kernelI22helper_blocked_stripedaLj512ELj1ELj10EEvPKT0_PS1_
    .private_segment_fixed_size: 0
    .sgpr_count:     39
    .sgpr_spill_count: 0
    .symbol:         _Z17sort_pairs_kernelI22helper_blocked_stripedaLj512ELj1ELj10EEvPKT0_PS1_.kd
    .uniform_work_group_size: 1
    .uses_dynamic_stack: false
    .vgpr_count:     23
    .vgpr_spill_count: 0
    .wavefront_size: 64
  - .args:
      - .address_space:  global
        .offset:         0
        .size:           8
        .value_kind:     global_buffer
      - .address_space:  global
        .offset:         8
        .size:           8
        .value_kind:     global_buffer
      - .offset:         16
        .size:           4
        .value_kind:     hidden_block_count_x
      - .offset:         20
        .size:           4
        .value_kind:     hidden_block_count_y
      - .offset:         24
        .size:           4
        .value_kind:     hidden_block_count_z
      - .offset:         28
        .size:           2
        .value_kind:     hidden_group_size_x
      - .offset:         30
        .size:           2
        .value_kind:     hidden_group_size_y
      - .offset:         32
        .size:           2
        .value_kind:     hidden_group_size_z
      - .offset:         34
        .size:           2
        .value_kind:     hidden_remainder_x
      - .offset:         36
        .size:           2
        .value_kind:     hidden_remainder_y
      - .offset:         38
        .size:           2
        .value_kind:     hidden_remainder_z
      - .offset:         56
        .size:           8
        .value_kind:     hidden_global_offset_x
      - .offset:         64
        .size:           8
        .value_kind:     hidden_global_offset_y
      - .offset:         72
        .size:           8
        .value_kind:     hidden_global_offset_z
      - .offset:         80
        .size:           2
        .value_kind:     hidden_grid_dims
    .group_segment_fixed_size: 8224
    .kernarg_segment_align: 8
    .kernarg_segment_size: 272
    .language:       OpenCL C
    .language_version:
      - 2
      - 0
    .max_flat_workgroup_size: 512
    .name:           _Z16sort_keys_kernelI22helper_blocked_stripedaLj512ELj3ELj10EEvPKT0_PS1_
    .private_segment_fixed_size: 0
    .sgpr_count:     40
    .sgpr_spill_count: 0
    .symbol:         _Z16sort_keys_kernelI22helper_blocked_stripedaLj512ELj3ELj10EEvPKT0_PS1_.kd
    .uniform_work_group_size: 1
    .uses_dynamic_stack: false
    .vgpr_count:     31
    .vgpr_spill_count: 0
    .wavefront_size: 64
  - .args:
      - .address_space:  global
        .offset:         0
        .size:           8
        .value_kind:     global_buffer
      - .address_space:  global
        .offset:         8
        .size:           8
        .value_kind:     global_buffer
      - .offset:         16
        .size:           4
        .value_kind:     hidden_block_count_x
      - .offset:         20
        .size:           4
        .value_kind:     hidden_block_count_y
      - .offset:         24
        .size:           4
        .value_kind:     hidden_block_count_z
      - .offset:         28
        .size:           2
        .value_kind:     hidden_group_size_x
      - .offset:         30
        .size:           2
        .value_kind:     hidden_group_size_y
      - .offset:         32
        .size:           2
        .value_kind:     hidden_group_size_z
      - .offset:         34
        .size:           2
        .value_kind:     hidden_remainder_x
      - .offset:         36
        .size:           2
        .value_kind:     hidden_remainder_y
      - .offset:         38
        .size:           2
        .value_kind:     hidden_remainder_z
      - .offset:         56
        .size:           8
        .value_kind:     hidden_global_offset_x
      - .offset:         64
        .size:           8
        .value_kind:     hidden_global_offset_y
      - .offset:         72
        .size:           8
        .value_kind:     hidden_global_offset_z
      - .offset:         80
        .size:           2
        .value_kind:     hidden_grid_dims
    .group_segment_fixed_size: 8224
    .kernarg_segment_align: 8
    .kernarg_segment_size: 272
    .language:       OpenCL C
    .language_version:
      - 2
      - 0
    .max_flat_workgroup_size: 512
    .name:           _Z17sort_pairs_kernelI22helper_blocked_stripedaLj512ELj3ELj10EEvPKT0_PS1_
    .private_segment_fixed_size: 0
    .sgpr_count:     40
    .sgpr_spill_count: 0
    .symbol:         _Z17sort_pairs_kernelI22helper_blocked_stripedaLj512ELj3ELj10EEvPKT0_PS1_.kd
    .uniform_work_group_size: 1
    .uses_dynamic_stack: false
    .vgpr_count:     35
    .vgpr_spill_count: 0
    .wavefront_size: 64
  - .args:
      - .address_space:  global
        .offset:         0
        .size:           8
        .value_kind:     global_buffer
      - .address_space:  global
        .offset:         8
        .size:           8
        .value_kind:     global_buffer
      - .offset:         16
        .size:           4
        .value_kind:     hidden_block_count_x
      - .offset:         20
        .size:           4
        .value_kind:     hidden_block_count_y
      - .offset:         24
        .size:           4
        .value_kind:     hidden_block_count_z
      - .offset:         28
        .size:           2
        .value_kind:     hidden_group_size_x
      - .offset:         30
        .size:           2
        .value_kind:     hidden_group_size_y
      - .offset:         32
        .size:           2
        .value_kind:     hidden_group_size_z
      - .offset:         34
        .size:           2
        .value_kind:     hidden_remainder_x
      - .offset:         36
        .size:           2
        .value_kind:     hidden_remainder_y
      - .offset:         38
        .size:           2
        .value_kind:     hidden_remainder_z
      - .offset:         56
        .size:           8
        .value_kind:     hidden_global_offset_x
      - .offset:         64
        .size:           8
        .value_kind:     hidden_global_offset_y
      - .offset:         72
        .size:           8
        .value_kind:     hidden_global_offset_z
      - .offset:         80
        .size:           2
        .value_kind:     hidden_grid_dims
    .group_segment_fixed_size: 8224
    .kernarg_segment_align: 8
    .kernarg_segment_size: 272
    .language:       OpenCL C
    .language_version:
      - 2
      - 0
    .max_flat_workgroup_size: 512
    .name:           _Z16sort_keys_kernelI22helper_blocked_stripedaLj512ELj4ELj10EEvPKT0_PS1_
    .private_segment_fixed_size: 0
    .sgpr_count:     52
    .sgpr_spill_count: 0
    .symbol:         _Z16sort_keys_kernelI22helper_blocked_stripedaLj512ELj4ELj10EEvPKT0_PS1_.kd
    .uniform_work_group_size: 1
    .uses_dynamic_stack: false
    .vgpr_count:     38
    .vgpr_spill_count: 0
    .wavefront_size: 64
  - .args:
      - .address_space:  global
        .offset:         0
        .size:           8
        .value_kind:     global_buffer
      - .address_space:  global
        .offset:         8
        .size:           8
        .value_kind:     global_buffer
      - .offset:         16
        .size:           4
        .value_kind:     hidden_block_count_x
      - .offset:         20
        .size:           4
        .value_kind:     hidden_block_count_y
      - .offset:         24
        .size:           4
        .value_kind:     hidden_block_count_z
      - .offset:         28
        .size:           2
        .value_kind:     hidden_group_size_x
      - .offset:         30
        .size:           2
        .value_kind:     hidden_group_size_y
      - .offset:         32
        .size:           2
        .value_kind:     hidden_group_size_z
      - .offset:         34
        .size:           2
        .value_kind:     hidden_remainder_x
      - .offset:         36
        .size:           2
        .value_kind:     hidden_remainder_y
      - .offset:         38
        .size:           2
        .value_kind:     hidden_remainder_z
      - .offset:         56
        .size:           8
        .value_kind:     hidden_global_offset_x
      - .offset:         64
        .size:           8
        .value_kind:     hidden_global_offset_y
      - .offset:         72
        .size:           8
        .value_kind:     hidden_global_offset_z
      - .offset:         80
        .size:           2
        .value_kind:     hidden_grid_dims
    .group_segment_fixed_size: 8224
    .kernarg_segment_align: 8
    .kernarg_segment_size: 272
    .language:       OpenCL C
    .language_version:
      - 2
      - 0
    .max_flat_workgroup_size: 512
    .name:           _Z17sort_pairs_kernelI22helper_blocked_stripedaLj512ELj4ELj10EEvPKT0_PS1_
    .private_segment_fixed_size: 0
    .sgpr_count:     55
    .sgpr_spill_count: 0
    .symbol:         _Z17sort_pairs_kernelI22helper_blocked_stripedaLj512ELj4ELj10EEvPKT0_PS1_.kd
    .uniform_work_group_size: 1
    .uses_dynamic_stack: false
    .vgpr_count:     54
    .vgpr_spill_count: 0
    .wavefront_size: 64
  - .args:
      - .address_space:  global
        .offset:         0
        .size:           8
        .value_kind:     global_buffer
      - .address_space:  global
        .offset:         8
        .size:           8
        .value_kind:     global_buffer
      - .offset:         16
        .size:           4
        .value_kind:     hidden_block_count_x
      - .offset:         20
        .size:           4
        .value_kind:     hidden_block_count_y
      - .offset:         24
        .size:           4
        .value_kind:     hidden_block_count_z
      - .offset:         28
        .size:           2
        .value_kind:     hidden_group_size_x
      - .offset:         30
        .size:           2
        .value_kind:     hidden_group_size_y
      - .offset:         32
        .size:           2
        .value_kind:     hidden_group_size_z
      - .offset:         34
        .size:           2
        .value_kind:     hidden_remainder_x
      - .offset:         36
        .size:           2
        .value_kind:     hidden_remainder_y
      - .offset:         38
        .size:           2
        .value_kind:     hidden_remainder_z
      - .offset:         56
        .size:           8
        .value_kind:     hidden_global_offset_x
      - .offset:         64
        .size:           8
        .value_kind:     hidden_global_offset_y
      - .offset:         72
        .size:           8
        .value_kind:     hidden_global_offset_z
      - .offset:         80
        .size:           2
        .value_kind:     hidden_grid_dims
    .group_segment_fixed_size: 8224
    .kernarg_segment_align: 8
    .kernarg_segment_size: 272
    .language:       OpenCL C
    .language_version:
      - 2
      - 0
    .max_flat_workgroup_size: 512
    .name:           _Z16sort_keys_kernelI22helper_blocked_stripedaLj512ELj8ELj10EEvPKT0_PS1_
    .private_segment_fixed_size: 0
    .sgpr_count:     42
    .sgpr_spill_count: 0
    .symbol:         _Z16sort_keys_kernelI22helper_blocked_stripedaLj512ELj8ELj10EEvPKT0_PS1_.kd
    .uniform_work_group_size: 1
    .uses_dynamic_stack: false
    .vgpr_count:     52
    .vgpr_spill_count: 0
    .wavefront_size: 64
  - .args:
      - .address_space:  global
        .offset:         0
        .size:           8
        .value_kind:     global_buffer
      - .address_space:  global
        .offset:         8
        .size:           8
        .value_kind:     global_buffer
      - .offset:         16
        .size:           4
        .value_kind:     hidden_block_count_x
      - .offset:         20
        .size:           4
        .value_kind:     hidden_block_count_y
      - .offset:         24
        .size:           4
        .value_kind:     hidden_block_count_z
      - .offset:         28
        .size:           2
        .value_kind:     hidden_group_size_x
      - .offset:         30
        .size:           2
        .value_kind:     hidden_group_size_y
      - .offset:         32
        .size:           2
        .value_kind:     hidden_group_size_z
      - .offset:         34
        .size:           2
        .value_kind:     hidden_remainder_x
      - .offset:         36
        .size:           2
        .value_kind:     hidden_remainder_y
      - .offset:         38
        .size:           2
        .value_kind:     hidden_remainder_z
      - .offset:         56
        .size:           8
        .value_kind:     hidden_global_offset_x
      - .offset:         64
        .size:           8
        .value_kind:     hidden_global_offset_y
      - .offset:         72
        .size:           8
        .value_kind:     hidden_global_offset_z
      - .offset:         80
        .size:           2
        .value_kind:     hidden_grid_dims
    .group_segment_fixed_size: 8224
    .kernarg_segment_align: 8
    .kernarg_segment_size: 272
    .language:       OpenCL C
    .language_version:
      - 2
      - 0
    .max_flat_workgroup_size: 512
    .name:           _Z17sort_pairs_kernelI22helper_blocked_stripedaLj512ELj8ELj10EEvPKT0_PS1_
    .private_segment_fixed_size: 0
    .sgpr_count:     43
    .sgpr_spill_count: 0
    .symbol:         _Z17sort_pairs_kernelI22helper_blocked_stripedaLj512ELj8ELj10EEvPKT0_PS1_.kd
    .uniform_work_group_size: 1
    .uses_dynamic_stack: false
    .vgpr_count:     60
    .vgpr_spill_count: 0
    .wavefront_size: 64
  - .args:
      - .address_space:  global
        .offset:         0
        .size:           8
        .value_kind:     global_buffer
      - .address_space:  global
        .offset:         8
        .size:           8
        .value_kind:     global_buffer
      - .offset:         16
        .size:           4
        .value_kind:     hidden_block_count_x
      - .offset:         20
        .size:           4
        .value_kind:     hidden_block_count_y
      - .offset:         24
        .size:           4
        .value_kind:     hidden_block_count_z
      - .offset:         28
        .size:           2
        .value_kind:     hidden_group_size_x
      - .offset:         30
        .size:           2
        .value_kind:     hidden_group_size_y
      - .offset:         32
        .size:           2
        .value_kind:     hidden_group_size_z
      - .offset:         34
        .size:           2
        .value_kind:     hidden_remainder_x
      - .offset:         36
        .size:           2
        .value_kind:     hidden_remainder_y
      - .offset:         38
        .size:           2
        .value_kind:     hidden_remainder_z
      - .offset:         56
        .size:           8
        .value_kind:     hidden_global_offset_x
      - .offset:         64
        .size:           8
        .value_kind:     hidden_global_offset_y
      - .offset:         72
        .size:           8
        .value_kind:     hidden_global_offset_z
      - .offset:         80
        .size:           2
        .value_kind:     hidden_grid_dims
    .group_segment_fixed_size: 1040
    .kernarg_segment_align: 8
    .kernarg_segment_size: 272
    .language:       OpenCL C
    .language_version:
      - 2
      - 0
    .max_flat_workgroup_size: 64
    .name:           _Z16sort_keys_kernelI22helper_blocked_stripedxLj64ELj1ELj10EEvPKT0_PS1_
    .private_segment_fixed_size: 0
    .sgpr_count:     30
    .sgpr_spill_count: 0
    .symbol:         _Z16sort_keys_kernelI22helper_blocked_stripedxLj64ELj1ELj10EEvPKT0_PS1_.kd
    .uniform_work_group_size: 1
    .uses_dynamic_stack: false
    .vgpr_count:     18
    .vgpr_spill_count: 0
    .wavefront_size: 64
  - .args:
      - .address_space:  global
        .offset:         0
        .size:           8
        .value_kind:     global_buffer
      - .address_space:  global
        .offset:         8
        .size:           8
        .value_kind:     global_buffer
      - .offset:         16
        .size:           4
        .value_kind:     hidden_block_count_x
      - .offset:         20
        .size:           4
        .value_kind:     hidden_block_count_y
      - .offset:         24
        .size:           4
        .value_kind:     hidden_block_count_z
      - .offset:         28
        .size:           2
        .value_kind:     hidden_group_size_x
      - .offset:         30
        .size:           2
        .value_kind:     hidden_group_size_y
      - .offset:         32
        .size:           2
        .value_kind:     hidden_group_size_z
      - .offset:         34
        .size:           2
        .value_kind:     hidden_remainder_x
      - .offset:         36
        .size:           2
        .value_kind:     hidden_remainder_y
      - .offset:         38
        .size:           2
        .value_kind:     hidden_remainder_z
      - .offset:         56
        .size:           8
        .value_kind:     hidden_global_offset_x
      - .offset:         64
        .size:           8
        .value_kind:     hidden_global_offset_y
      - .offset:         72
        .size:           8
        .value_kind:     hidden_global_offset_z
      - .offset:         80
        .size:           2
        .value_kind:     hidden_grid_dims
    .group_segment_fixed_size: 1040
    .kernarg_segment_align: 8
    .kernarg_segment_size: 272
    .language:       OpenCL C
    .language_version:
      - 2
      - 0
    .max_flat_workgroup_size: 64
    .name:           _Z17sort_pairs_kernelI22helper_blocked_stripedxLj64ELj1ELj10EEvPKT0_PS1_
    .private_segment_fixed_size: 0
    .sgpr_count:     30
    .sgpr_spill_count: 0
    .symbol:         _Z17sort_pairs_kernelI22helper_blocked_stripedxLj64ELj1ELj10EEvPKT0_PS1_.kd
    .uniform_work_group_size: 1
    .uses_dynamic_stack: false
    .vgpr_count:     20
    .vgpr_spill_count: 0
    .wavefront_size: 64
  - .args:
      - .address_space:  global
        .offset:         0
        .size:           8
        .value_kind:     global_buffer
      - .address_space:  global
        .offset:         8
        .size:           8
        .value_kind:     global_buffer
      - .offset:         16
        .size:           4
        .value_kind:     hidden_block_count_x
      - .offset:         20
        .size:           4
        .value_kind:     hidden_block_count_y
      - .offset:         24
        .size:           4
        .value_kind:     hidden_block_count_z
      - .offset:         28
        .size:           2
        .value_kind:     hidden_group_size_x
      - .offset:         30
        .size:           2
        .value_kind:     hidden_group_size_y
      - .offset:         32
        .size:           2
        .value_kind:     hidden_group_size_z
      - .offset:         34
        .size:           2
        .value_kind:     hidden_remainder_x
      - .offset:         36
        .size:           2
        .value_kind:     hidden_remainder_y
      - .offset:         38
        .size:           2
        .value_kind:     hidden_remainder_z
      - .offset:         56
        .size:           8
        .value_kind:     hidden_global_offset_x
      - .offset:         64
        .size:           8
        .value_kind:     hidden_global_offset_y
      - .offset:         72
        .size:           8
        .value_kind:     hidden_global_offset_z
      - .offset:         80
        .size:           2
        .value_kind:     hidden_grid_dims
    .group_segment_fixed_size: 1536
    .kernarg_segment_align: 8
    .kernarg_segment_size: 272
    .language:       OpenCL C
    .language_version:
      - 2
      - 0
    .max_flat_workgroup_size: 64
    .name:           _Z16sort_keys_kernelI22helper_blocked_stripedxLj64ELj3ELj10EEvPKT0_PS1_
    .private_segment_fixed_size: 0
    .sgpr_count:     30
    .sgpr_spill_count: 0
    .symbol:         _Z16sort_keys_kernelI22helper_blocked_stripedxLj64ELj3ELj10EEvPKT0_PS1_.kd
    .uniform_work_group_size: 1
    .uses_dynamic_stack: false
    .vgpr_count:     29
    .vgpr_spill_count: 0
    .wavefront_size: 64
  - .args:
      - .address_space:  global
        .offset:         0
        .size:           8
        .value_kind:     global_buffer
      - .address_space:  global
        .offset:         8
        .size:           8
        .value_kind:     global_buffer
      - .offset:         16
        .size:           4
        .value_kind:     hidden_block_count_x
      - .offset:         20
        .size:           4
        .value_kind:     hidden_block_count_y
      - .offset:         24
        .size:           4
        .value_kind:     hidden_block_count_z
      - .offset:         28
        .size:           2
        .value_kind:     hidden_group_size_x
      - .offset:         30
        .size:           2
        .value_kind:     hidden_group_size_y
      - .offset:         32
        .size:           2
        .value_kind:     hidden_group_size_z
      - .offset:         34
        .size:           2
        .value_kind:     hidden_remainder_x
      - .offset:         36
        .size:           2
        .value_kind:     hidden_remainder_y
      - .offset:         38
        .size:           2
        .value_kind:     hidden_remainder_z
      - .offset:         56
        .size:           8
        .value_kind:     hidden_global_offset_x
      - .offset:         64
        .size:           8
        .value_kind:     hidden_global_offset_y
      - .offset:         72
        .size:           8
        .value_kind:     hidden_global_offset_z
      - .offset:         80
        .size:           2
        .value_kind:     hidden_grid_dims
    .group_segment_fixed_size: 1536
    .kernarg_segment_align: 8
    .kernarg_segment_size: 272
    .language:       OpenCL C
    .language_version:
      - 2
      - 0
    .max_flat_workgroup_size: 64
    .name:           _Z17sort_pairs_kernelI22helper_blocked_stripedxLj64ELj3ELj10EEvPKT0_PS1_
    .private_segment_fixed_size: 0
    .sgpr_count:     30
    .sgpr_spill_count: 0
    .symbol:         _Z17sort_pairs_kernelI22helper_blocked_stripedxLj64ELj3ELj10EEvPKT0_PS1_.kd
    .uniform_work_group_size: 1
    .uses_dynamic_stack: false
    .vgpr_count:     37
    .vgpr_spill_count: 0
    .wavefront_size: 64
  - .args:
      - .address_space:  global
        .offset:         0
        .size:           8
        .value_kind:     global_buffer
      - .address_space:  global
        .offset:         8
        .size:           8
        .value_kind:     global_buffer
      - .offset:         16
        .size:           4
        .value_kind:     hidden_block_count_x
      - .offset:         20
        .size:           4
        .value_kind:     hidden_block_count_y
      - .offset:         24
        .size:           4
        .value_kind:     hidden_block_count_z
      - .offset:         28
        .size:           2
        .value_kind:     hidden_group_size_x
      - .offset:         30
        .size:           2
        .value_kind:     hidden_group_size_y
      - .offset:         32
        .size:           2
        .value_kind:     hidden_group_size_z
      - .offset:         34
        .size:           2
        .value_kind:     hidden_remainder_x
      - .offset:         36
        .size:           2
        .value_kind:     hidden_remainder_y
      - .offset:         38
        .size:           2
        .value_kind:     hidden_remainder_z
      - .offset:         56
        .size:           8
        .value_kind:     hidden_global_offset_x
      - .offset:         64
        .size:           8
        .value_kind:     hidden_global_offset_y
      - .offset:         72
        .size:           8
        .value_kind:     hidden_global_offset_z
      - .offset:         80
        .size:           2
        .value_kind:     hidden_grid_dims
    .group_segment_fixed_size: 2048
    .kernarg_segment_align: 8
    .kernarg_segment_size: 272
    .language:       OpenCL C
    .language_version:
      - 2
      - 0
    .max_flat_workgroup_size: 64
    .name:           _Z16sort_keys_kernelI22helper_blocked_stripedxLj64ELj4ELj10EEvPKT0_PS1_
    .private_segment_fixed_size: 0
    .sgpr_count:     40
    .sgpr_spill_count: 0
    .symbol:         _Z16sort_keys_kernelI22helper_blocked_stripedxLj64ELj4ELj10EEvPKT0_PS1_.kd
    .uniform_work_group_size: 1
    .uses_dynamic_stack: false
    .vgpr_count:     37
    .vgpr_spill_count: 0
    .wavefront_size: 64
  - .args:
      - .address_space:  global
        .offset:         0
        .size:           8
        .value_kind:     global_buffer
      - .address_space:  global
        .offset:         8
        .size:           8
        .value_kind:     global_buffer
      - .offset:         16
        .size:           4
        .value_kind:     hidden_block_count_x
      - .offset:         20
        .size:           4
        .value_kind:     hidden_block_count_y
      - .offset:         24
        .size:           4
        .value_kind:     hidden_block_count_z
      - .offset:         28
        .size:           2
        .value_kind:     hidden_group_size_x
      - .offset:         30
        .size:           2
        .value_kind:     hidden_group_size_y
      - .offset:         32
        .size:           2
        .value_kind:     hidden_group_size_z
      - .offset:         34
        .size:           2
        .value_kind:     hidden_remainder_x
      - .offset:         36
        .size:           2
        .value_kind:     hidden_remainder_y
      - .offset:         38
        .size:           2
        .value_kind:     hidden_remainder_z
      - .offset:         56
        .size:           8
        .value_kind:     hidden_global_offset_x
      - .offset:         64
        .size:           8
        .value_kind:     hidden_global_offset_y
      - .offset:         72
        .size:           8
        .value_kind:     hidden_global_offset_z
      - .offset:         80
        .size:           2
        .value_kind:     hidden_grid_dims
    .group_segment_fixed_size: 2048
    .kernarg_segment_align: 8
    .kernarg_segment_size: 272
    .language:       OpenCL C
    .language_version:
      - 2
      - 0
    .max_flat_workgroup_size: 64
    .name:           _Z17sort_pairs_kernelI22helper_blocked_stripedxLj64ELj4ELj10EEvPKT0_PS1_
    .private_segment_fixed_size: 0
    .sgpr_count:     40
    .sgpr_spill_count: 0
    .symbol:         _Z17sort_pairs_kernelI22helper_blocked_stripedxLj64ELj4ELj10EEvPKT0_PS1_.kd
    .uniform_work_group_size: 1
    .uses_dynamic_stack: false
    .vgpr_count:     49
    .vgpr_spill_count: 0
    .wavefront_size: 64
  - .args:
      - .address_space:  global
        .offset:         0
        .size:           8
        .value_kind:     global_buffer
      - .address_space:  global
        .offset:         8
        .size:           8
        .value_kind:     global_buffer
      - .offset:         16
        .size:           4
        .value_kind:     hidden_block_count_x
      - .offset:         20
        .size:           4
        .value_kind:     hidden_block_count_y
      - .offset:         24
        .size:           4
        .value_kind:     hidden_block_count_z
      - .offset:         28
        .size:           2
        .value_kind:     hidden_group_size_x
      - .offset:         30
        .size:           2
        .value_kind:     hidden_group_size_y
      - .offset:         32
        .size:           2
        .value_kind:     hidden_group_size_z
      - .offset:         34
        .size:           2
        .value_kind:     hidden_remainder_x
      - .offset:         36
        .size:           2
        .value_kind:     hidden_remainder_y
      - .offset:         38
        .size:           2
        .value_kind:     hidden_remainder_z
      - .offset:         56
        .size:           8
        .value_kind:     hidden_global_offset_x
      - .offset:         64
        .size:           8
        .value_kind:     hidden_global_offset_y
      - .offset:         72
        .size:           8
        .value_kind:     hidden_global_offset_z
      - .offset:         80
        .size:           2
        .value_kind:     hidden_grid_dims
    .group_segment_fixed_size: 4096
    .kernarg_segment_align: 8
    .kernarg_segment_size: 272
    .language:       OpenCL C
    .language_version:
      - 2
      - 0
    .max_flat_workgroup_size: 64
    .name:           _Z16sort_keys_kernelI22helper_blocked_stripedxLj64ELj8ELj10EEvPKT0_PS1_
    .private_segment_fixed_size: 0
    .sgpr_count:     30
    .sgpr_spill_count: 0
    .symbol:         _Z16sort_keys_kernelI22helper_blocked_stripedxLj64ELj8ELj10EEvPKT0_PS1_.kd
    .uniform_work_group_size: 1
    .uses_dynamic_stack: false
    .vgpr_count:     56
    .vgpr_spill_count: 0
    .wavefront_size: 64
  - .args:
      - .address_space:  global
        .offset:         0
        .size:           8
        .value_kind:     global_buffer
      - .address_space:  global
        .offset:         8
        .size:           8
        .value_kind:     global_buffer
      - .offset:         16
        .size:           4
        .value_kind:     hidden_block_count_x
      - .offset:         20
        .size:           4
        .value_kind:     hidden_block_count_y
      - .offset:         24
        .size:           4
        .value_kind:     hidden_block_count_z
      - .offset:         28
        .size:           2
        .value_kind:     hidden_group_size_x
      - .offset:         30
        .size:           2
        .value_kind:     hidden_group_size_y
      - .offset:         32
        .size:           2
        .value_kind:     hidden_group_size_z
      - .offset:         34
        .size:           2
        .value_kind:     hidden_remainder_x
      - .offset:         36
        .size:           2
        .value_kind:     hidden_remainder_y
      - .offset:         38
        .size:           2
        .value_kind:     hidden_remainder_z
      - .offset:         56
        .size:           8
        .value_kind:     hidden_global_offset_x
      - .offset:         64
        .size:           8
        .value_kind:     hidden_global_offset_y
      - .offset:         72
        .size:           8
        .value_kind:     hidden_global_offset_z
      - .offset:         80
        .size:           2
        .value_kind:     hidden_grid_dims
    .group_segment_fixed_size: 4096
    .kernarg_segment_align: 8
    .kernarg_segment_size: 272
    .language:       OpenCL C
    .language_version:
      - 2
      - 0
    .max_flat_workgroup_size: 64
    .name:           _Z17sort_pairs_kernelI22helper_blocked_stripedxLj64ELj8ELj10EEvPKT0_PS1_
    .private_segment_fixed_size: 0
    .sgpr_count:     30
    .sgpr_spill_count: 0
    .symbol:         _Z17sort_pairs_kernelI22helper_blocked_stripedxLj64ELj8ELj10EEvPKT0_PS1_.kd
    .uniform_work_group_size: 1
    .uses_dynamic_stack: false
    .vgpr_count:     82
    .vgpr_spill_count: 0
    .wavefront_size: 64
  - .args:
      - .address_space:  global
        .offset:         0
        .size:           8
        .value_kind:     global_buffer
      - .address_space:  global
        .offset:         8
        .size:           8
        .value_kind:     global_buffer
      - .offset:         16
        .size:           4
        .value_kind:     hidden_block_count_x
      - .offset:         20
        .size:           4
        .value_kind:     hidden_block_count_y
      - .offset:         24
        .size:           4
        .value_kind:     hidden_block_count_z
      - .offset:         28
        .size:           2
        .value_kind:     hidden_group_size_x
      - .offset:         30
        .size:           2
        .value_kind:     hidden_group_size_y
      - .offset:         32
        .size:           2
        .value_kind:     hidden_group_size_z
      - .offset:         34
        .size:           2
        .value_kind:     hidden_remainder_x
      - .offset:         36
        .size:           2
        .value_kind:     hidden_remainder_y
      - .offset:         38
        .size:           2
        .value_kind:     hidden_remainder_z
      - .offset:         56
        .size:           8
        .value_kind:     hidden_global_offset_x
      - .offset:         64
        .size:           8
        .value_kind:     hidden_global_offset_y
      - .offset:         72
        .size:           8
        .value_kind:     hidden_global_offset_z
      - .offset:         80
        .size:           2
        .value_kind:     hidden_grid_dims
    .group_segment_fixed_size: 2064
    .kernarg_segment_align: 8
    .kernarg_segment_size: 272
    .language:       OpenCL C
    .language_version:
      - 2
      - 0
    .max_flat_workgroup_size: 128
    .name:           _Z16sort_keys_kernelI22helper_blocked_stripedxLj128ELj1ELj10EEvPKT0_PS1_
    .private_segment_fixed_size: 0
    .sgpr_count:     40
    .sgpr_spill_count: 0
    .symbol:         _Z16sort_keys_kernelI22helper_blocked_stripedxLj128ELj1ELj10EEvPKT0_PS1_.kd
    .uniform_work_group_size: 1
    .uses_dynamic_stack: false
    .vgpr_count:     26
    .vgpr_spill_count: 0
    .wavefront_size: 64
  - .args:
      - .address_space:  global
        .offset:         0
        .size:           8
        .value_kind:     global_buffer
      - .address_space:  global
        .offset:         8
        .size:           8
        .value_kind:     global_buffer
      - .offset:         16
        .size:           4
        .value_kind:     hidden_block_count_x
      - .offset:         20
        .size:           4
        .value_kind:     hidden_block_count_y
      - .offset:         24
        .size:           4
        .value_kind:     hidden_block_count_z
      - .offset:         28
        .size:           2
        .value_kind:     hidden_group_size_x
      - .offset:         30
        .size:           2
        .value_kind:     hidden_group_size_y
      - .offset:         32
        .size:           2
        .value_kind:     hidden_group_size_z
      - .offset:         34
        .size:           2
        .value_kind:     hidden_remainder_x
      - .offset:         36
        .size:           2
        .value_kind:     hidden_remainder_y
      - .offset:         38
        .size:           2
        .value_kind:     hidden_remainder_z
      - .offset:         56
        .size:           8
        .value_kind:     hidden_global_offset_x
      - .offset:         64
        .size:           8
        .value_kind:     hidden_global_offset_y
      - .offset:         72
        .size:           8
        .value_kind:     hidden_global_offset_z
      - .offset:         80
        .size:           2
        .value_kind:     hidden_grid_dims
    .group_segment_fixed_size: 2064
    .kernarg_segment_align: 8
    .kernarg_segment_size: 272
    .language:       OpenCL C
    .language_version:
      - 2
      - 0
    .max_flat_workgroup_size: 128
    .name:           _Z17sort_pairs_kernelI22helper_blocked_stripedxLj128ELj1ELj10EEvPKT0_PS1_
    .private_segment_fixed_size: 0
    .sgpr_count:     40
    .sgpr_spill_count: 0
    .symbol:         _Z17sort_pairs_kernelI22helper_blocked_stripedxLj128ELj1ELj10EEvPKT0_PS1_.kd
    .uniform_work_group_size: 1
    .uses_dynamic_stack: false
    .vgpr_count:     28
    .vgpr_spill_count: 0
    .wavefront_size: 64
  - .args:
      - .address_space:  global
        .offset:         0
        .size:           8
        .value_kind:     global_buffer
      - .address_space:  global
        .offset:         8
        .size:           8
        .value_kind:     global_buffer
      - .offset:         16
        .size:           4
        .value_kind:     hidden_block_count_x
      - .offset:         20
        .size:           4
        .value_kind:     hidden_block_count_y
      - .offset:         24
        .size:           4
        .value_kind:     hidden_block_count_z
      - .offset:         28
        .size:           2
        .value_kind:     hidden_group_size_x
      - .offset:         30
        .size:           2
        .value_kind:     hidden_group_size_y
      - .offset:         32
        .size:           2
        .value_kind:     hidden_group_size_z
      - .offset:         34
        .size:           2
        .value_kind:     hidden_remainder_x
      - .offset:         36
        .size:           2
        .value_kind:     hidden_remainder_y
      - .offset:         38
        .size:           2
        .value_kind:     hidden_remainder_z
      - .offset:         56
        .size:           8
        .value_kind:     hidden_global_offset_x
      - .offset:         64
        .size:           8
        .value_kind:     hidden_global_offset_y
      - .offset:         72
        .size:           8
        .value_kind:     hidden_global_offset_z
      - .offset:         80
        .size:           2
        .value_kind:     hidden_grid_dims
    .group_segment_fixed_size: 3072
    .kernarg_segment_align: 8
    .kernarg_segment_size: 272
    .language:       OpenCL C
    .language_version:
      - 2
      - 0
    .max_flat_workgroup_size: 128
    .name:           _Z16sort_keys_kernelI22helper_blocked_stripedxLj128ELj3ELj10EEvPKT0_PS1_
    .private_segment_fixed_size: 0
    .sgpr_count:     42
    .sgpr_spill_count: 0
    .symbol:         _Z16sort_keys_kernelI22helper_blocked_stripedxLj128ELj3ELj10EEvPKT0_PS1_.kd
    .uniform_work_group_size: 1
    .uses_dynamic_stack: false
    .vgpr_count:     34
    .vgpr_spill_count: 0
    .wavefront_size: 64
  - .args:
      - .address_space:  global
        .offset:         0
        .size:           8
        .value_kind:     global_buffer
      - .address_space:  global
        .offset:         8
        .size:           8
        .value_kind:     global_buffer
      - .offset:         16
        .size:           4
        .value_kind:     hidden_block_count_x
      - .offset:         20
        .size:           4
        .value_kind:     hidden_block_count_y
      - .offset:         24
        .size:           4
        .value_kind:     hidden_block_count_z
      - .offset:         28
        .size:           2
        .value_kind:     hidden_group_size_x
      - .offset:         30
        .size:           2
        .value_kind:     hidden_group_size_y
      - .offset:         32
        .size:           2
        .value_kind:     hidden_group_size_z
      - .offset:         34
        .size:           2
        .value_kind:     hidden_remainder_x
      - .offset:         36
        .size:           2
        .value_kind:     hidden_remainder_y
      - .offset:         38
        .size:           2
        .value_kind:     hidden_remainder_z
      - .offset:         56
        .size:           8
        .value_kind:     hidden_global_offset_x
      - .offset:         64
        .size:           8
        .value_kind:     hidden_global_offset_y
      - .offset:         72
        .size:           8
        .value_kind:     hidden_global_offset_z
      - .offset:         80
        .size:           2
        .value_kind:     hidden_grid_dims
    .group_segment_fixed_size: 3072
    .kernarg_segment_align: 8
    .kernarg_segment_size: 272
    .language:       OpenCL C
    .language_version:
      - 2
      - 0
    .max_flat_workgroup_size: 128
    .name:           _Z17sort_pairs_kernelI22helper_blocked_stripedxLj128ELj3ELj10EEvPKT0_PS1_
    .private_segment_fixed_size: 0
    .sgpr_count:     42
    .sgpr_spill_count: 0
    .symbol:         _Z17sort_pairs_kernelI22helper_blocked_stripedxLj128ELj3ELj10EEvPKT0_PS1_.kd
    .uniform_work_group_size: 1
    .uses_dynamic_stack: false
    .vgpr_count:     41
    .vgpr_spill_count: 0
    .wavefront_size: 64
  - .args:
      - .address_space:  global
        .offset:         0
        .size:           8
        .value_kind:     global_buffer
      - .address_space:  global
        .offset:         8
        .size:           8
        .value_kind:     global_buffer
      - .offset:         16
        .size:           4
        .value_kind:     hidden_block_count_x
      - .offset:         20
        .size:           4
        .value_kind:     hidden_block_count_y
      - .offset:         24
        .size:           4
        .value_kind:     hidden_block_count_z
      - .offset:         28
        .size:           2
        .value_kind:     hidden_group_size_x
      - .offset:         30
        .size:           2
        .value_kind:     hidden_group_size_y
      - .offset:         32
        .size:           2
        .value_kind:     hidden_group_size_z
      - .offset:         34
        .size:           2
        .value_kind:     hidden_remainder_x
      - .offset:         36
        .size:           2
        .value_kind:     hidden_remainder_y
      - .offset:         38
        .size:           2
        .value_kind:     hidden_remainder_z
      - .offset:         56
        .size:           8
        .value_kind:     hidden_global_offset_x
      - .offset:         64
        .size:           8
        .value_kind:     hidden_global_offset_y
      - .offset:         72
        .size:           8
        .value_kind:     hidden_global_offset_z
      - .offset:         80
        .size:           2
        .value_kind:     hidden_grid_dims
    .group_segment_fixed_size: 4096
    .kernarg_segment_align: 8
    .kernarg_segment_size: 272
    .language:       OpenCL C
    .language_version:
      - 2
      - 0
    .max_flat_workgroup_size: 128
    .name:           _Z16sort_keys_kernelI22helper_blocked_stripedxLj128ELj4ELj10EEvPKT0_PS1_
    .private_segment_fixed_size: 0
    .sgpr_count:     50
    .sgpr_spill_count: 0
    .symbol:         _Z16sort_keys_kernelI22helper_blocked_stripedxLj128ELj4ELj10EEvPKT0_PS1_.kd
    .uniform_work_group_size: 1
    .uses_dynamic_stack: false
    .vgpr_count:     41
    .vgpr_spill_count: 0
    .wavefront_size: 64
  - .args:
      - .address_space:  global
        .offset:         0
        .size:           8
        .value_kind:     global_buffer
      - .address_space:  global
        .offset:         8
        .size:           8
        .value_kind:     global_buffer
      - .offset:         16
        .size:           4
        .value_kind:     hidden_block_count_x
      - .offset:         20
        .size:           4
        .value_kind:     hidden_block_count_y
      - .offset:         24
        .size:           4
        .value_kind:     hidden_block_count_z
      - .offset:         28
        .size:           2
        .value_kind:     hidden_group_size_x
      - .offset:         30
        .size:           2
        .value_kind:     hidden_group_size_y
      - .offset:         32
        .size:           2
        .value_kind:     hidden_group_size_z
      - .offset:         34
        .size:           2
        .value_kind:     hidden_remainder_x
      - .offset:         36
        .size:           2
        .value_kind:     hidden_remainder_y
      - .offset:         38
        .size:           2
        .value_kind:     hidden_remainder_z
      - .offset:         56
        .size:           8
        .value_kind:     hidden_global_offset_x
      - .offset:         64
        .size:           8
        .value_kind:     hidden_global_offset_y
      - .offset:         72
        .size:           8
        .value_kind:     hidden_global_offset_z
      - .offset:         80
        .size:           2
        .value_kind:     hidden_grid_dims
    .group_segment_fixed_size: 4096
    .kernarg_segment_align: 8
    .kernarg_segment_size: 272
    .language:       OpenCL C
    .language_version:
      - 2
      - 0
    .max_flat_workgroup_size: 128
    .name:           _Z17sort_pairs_kernelI22helper_blocked_stripedxLj128ELj4ELj10EEvPKT0_PS1_
    .private_segment_fixed_size: 0
    .sgpr_count:     50
    .sgpr_spill_count: 0
    .symbol:         _Z17sort_pairs_kernelI22helper_blocked_stripedxLj128ELj4ELj10EEvPKT0_PS1_.kd
    .uniform_work_group_size: 1
    .uses_dynamic_stack: false
    .vgpr_count:     52
    .vgpr_spill_count: 0
    .wavefront_size: 64
  - .args:
      - .address_space:  global
        .offset:         0
        .size:           8
        .value_kind:     global_buffer
      - .address_space:  global
        .offset:         8
        .size:           8
        .value_kind:     global_buffer
      - .offset:         16
        .size:           4
        .value_kind:     hidden_block_count_x
      - .offset:         20
        .size:           4
        .value_kind:     hidden_block_count_y
      - .offset:         24
        .size:           4
        .value_kind:     hidden_block_count_z
      - .offset:         28
        .size:           2
        .value_kind:     hidden_group_size_x
      - .offset:         30
        .size:           2
        .value_kind:     hidden_group_size_y
      - .offset:         32
        .size:           2
        .value_kind:     hidden_group_size_z
      - .offset:         34
        .size:           2
        .value_kind:     hidden_remainder_x
      - .offset:         36
        .size:           2
        .value_kind:     hidden_remainder_y
      - .offset:         38
        .size:           2
        .value_kind:     hidden_remainder_z
      - .offset:         56
        .size:           8
        .value_kind:     hidden_global_offset_x
      - .offset:         64
        .size:           8
        .value_kind:     hidden_global_offset_y
      - .offset:         72
        .size:           8
        .value_kind:     hidden_global_offset_z
      - .offset:         80
        .size:           2
        .value_kind:     hidden_grid_dims
    .group_segment_fixed_size: 8192
    .kernarg_segment_align: 8
    .kernarg_segment_size: 272
    .language:       OpenCL C
    .language_version:
      - 2
      - 0
    .max_flat_workgroup_size: 128
    .name:           _Z16sort_keys_kernelI22helper_blocked_stripedxLj128ELj8ELj10EEvPKT0_PS1_
    .private_segment_fixed_size: 0
    .sgpr_count:     40
    .sgpr_spill_count: 0
    .symbol:         _Z16sort_keys_kernelI22helper_blocked_stripedxLj128ELj8ELj10EEvPKT0_PS1_.kd
    .uniform_work_group_size: 1
    .uses_dynamic_stack: false
    .vgpr_count:     62
    .vgpr_spill_count: 0
    .wavefront_size: 64
  - .args:
      - .address_space:  global
        .offset:         0
        .size:           8
        .value_kind:     global_buffer
      - .address_space:  global
        .offset:         8
        .size:           8
        .value_kind:     global_buffer
      - .offset:         16
        .size:           4
        .value_kind:     hidden_block_count_x
      - .offset:         20
        .size:           4
        .value_kind:     hidden_block_count_y
      - .offset:         24
        .size:           4
        .value_kind:     hidden_block_count_z
      - .offset:         28
        .size:           2
        .value_kind:     hidden_group_size_x
      - .offset:         30
        .size:           2
        .value_kind:     hidden_group_size_y
      - .offset:         32
        .size:           2
        .value_kind:     hidden_group_size_z
      - .offset:         34
        .size:           2
        .value_kind:     hidden_remainder_x
      - .offset:         36
        .size:           2
        .value_kind:     hidden_remainder_y
      - .offset:         38
        .size:           2
        .value_kind:     hidden_remainder_z
      - .offset:         56
        .size:           8
        .value_kind:     hidden_global_offset_x
      - .offset:         64
        .size:           8
        .value_kind:     hidden_global_offset_y
      - .offset:         72
        .size:           8
        .value_kind:     hidden_global_offset_z
      - .offset:         80
        .size:           2
        .value_kind:     hidden_grid_dims
    .group_segment_fixed_size: 8192
    .kernarg_segment_align: 8
    .kernarg_segment_size: 272
    .language:       OpenCL C
    .language_version:
      - 2
      - 0
    .max_flat_workgroup_size: 128
    .name:           _Z17sort_pairs_kernelI22helper_blocked_stripedxLj128ELj8ELj10EEvPKT0_PS1_
    .private_segment_fixed_size: 0
    .sgpr_count:     42
    .sgpr_spill_count: 0
    .symbol:         _Z17sort_pairs_kernelI22helper_blocked_stripedxLj128ELj8ELj10EEvPKT0_PS1_.kd
    .uniform_work_group_size: 1
    .uses_dynamic_stack: false
    .vgpr_count:     85
    .vgpr_spill_count: 0
    .wavefront_size: 64
  - .args:
      - .address_space:  global
        .offset:         0
        .size:           8
        .value_kind:     global_buffer
      - .address_space:  global
        .offset:         8
        .size:           8
        .value_kind:     global_buffer
      - .offset:         16
        .size:           4
        .value_kind:     hidden_block_count_x
      - .offset:         20
        .size:           4
        .value_kind:     hidden_block_count_y
      - .offset:         24
        .size:           4
        .value_kind:     hidden_block_count_z
      - .offset:         28
        .size:           2
        .value_kind:     hidden_group_size_x
      - .offset:         30
        .size:           2
        .value_kind:     hidden_group_size_y
      - .offset:         32
        .size:           2
        .value_kind:     hidden_group_size_z
      - .offset:         34
        .size:           2
        .value_kind:     hidden_remainder_x
      - .offset:         36
        .size:           2
        .value_kind:     hidden_remainder_y
      - .offset:         38
        .size:           2
        .value_kind:     hidden_remainder_z
      - .offset:         56
        .size:           8
        .value_kind:     hidden_global_offset_x
      - .offset:         64
        .size:           8
        .value_kind:     hidden_global_offset_y
      - .offset:         72
        .size:           8
        .value_kind:     hidden_global_offset_z
      - .offset:         80
        .size:           2
        .value_kind:     hidden_grid_dims
    .group_segment_fixed_size: 3088
    .kernarg_segment_align: 8
    .kernarg_segment_size: 272
    .language:       OpenCL C
    .language_version:
      - 2
      - 0
    .max_flat_workgroup_size: 192
    .name:           _Z16sort_keys_kernelI22helper_blocked_stripedxLj192ELj1ELj10EEvPKT0_PS1_
    .private_segment_fixed_size: 0
    .sgpr_count:     42
    .sgpr_spill_count: 0
    .symbol:         _Z16sort_keys_kernelI22helper_blocked_stripedxLj192ELj1ELj10EEvPKT0_PS1_.kd
    .uniform_work_group_size: 1
    .uses_dynamic_stack: false
    .vgpr_count:     23
    .vgpr_spill_count: 0
    .wavefront_size: 64
  - .args:
      - .address_space:  global
        .offset:         0
        .size:           8
        .value_kind:     global_buffer
      - .address_space:  global
        .offset:         8
        .size:           8
        .value_kind:     global_buffer
      - .offset:         16
        .size:           4
        .value_kind:     hidden_block_count_x
      - .offset:         20
        .size:           4
        .value_kind:     hidden_block_count_y
      - .offset:         24
        .size:           4
        .value_kind:     hidden_block_count_z
      - .offset:         28
        .size:           2
        .value_kind:     hidden_group_size_x
      - .offset:         30
        .size:           2
        .value_kind:     hidden_group_size_y
      - .offset:         32
        .size:           2
        .value_kind:     hidden_group_size_z
      - .offset:         34
        .size:           2
        .value_kind:     hidden_remainder_x
      - .offset:         36
        .size:           2
        .value_kind:     hidden_remainder_y
      - .offset:         38
        .size:           2
        .value_kind:     hidden_remainder_z
      - .offset:         56
        .size:           8
        .value_kind:     hidden_global_offset_x
      - .offset:         64
        .size:           8
        .value_kind:     hidden_global_offset_y
      - .offset:         72
        .size:           8
        .value_kind:     hidden_global_offset_z
      - .offset:         80
        .size:           2
        .value_kind:     hidden_grid_dims
    .group_segment_fixed_size: 3088
    .kernarg_segment_align: 8
    .kernarg_segment_size: 272
    .language:       OpenCL C
    .language_version:
      - 2
      - 0
    .max_flat_workgroup_size: 192
    .name:           _Z17sort_pairs_kernelI22helper_blocked_stripedxLj192ELj1ELj10EEvPKT0_PS1_
    .private_segment_fixed_size: 0
    .sgpr_count:     42
    .sgpr_spill_count: 0
    .symbol:         _Z17sort_pairs_kernelI22helper_blocked_stripedxLj192ELj1ELj10EEvPKT0_PS1_.kd
    .uniform_work_group_size: 1
    .uses_dynamic_stack: false
    .vgpr_count:     23
    .vgpr_spill_count: 0
    .wavefront_size: 64
  - .args:
      - .address_space:  global
        .offset:         0
        .size:           8
        .value_kind:     global_buffer
      - .address_space:  global
        .offset:         8
        .size:           8
        .value_kind:     global_buffer
      - .offset:         16
        .size:           4
        .value_kind:     hidden_block_count_x
      - .offset:         20
        .size:           4
        .value_kind:     hidden_block_count_y
      - .offset:         24
        .size:           4
        .value_kind:     hidden_block_count_z
      - .offset:         28
        .size:           2
        .value_kind:     hidden_group_size_x
      - .offset:         30
        .size:           2
        .value_kind:     hidden_group_size_y
      - .offset:         32
        .size:           2
        .value_kind:     hidden_group_size_z
      - .offset:         34
        .size:           2
        .value_kind:     hidden_remainder_x
      - .offset:         36
        .size:           2
        .value_kind:     hidden_remainder_y
      - .offset:         38
        .size:           2
        .value_kind:     hidden_remainder_z
      - .offset:         56
        .size:           8
        .value_kind:     hidden_global_offset_x
      - .offset:         64
        .size:           8
        .value_kind:     hidden_global_offset_y
      - .offset:         72
        .size:           8
        .value_kind:     hidden_global_offset_z
      - .offset:         80
        .size:           2
        .value_kind:     hidden_grid_dims
    .group_segment_fixed_size: 4608
    .kernarg_segment_align: 8
    .kernarg_segment_size: 272
    .language:       OpenCL C
    .language_version:
      - 2
      - 0
    .max_flat_workgroup_size: 192
    .name:           _Z16sort_keys_kernelI22helper_blocked_stripedxLj192ELj3ELj10EEvPKT0_PS1_
    .private_segment_fixed_size: 0
    .sgpr_count:     42
    .sgpr_spill_count: 0
    .symbol:         _Z16sort_keys_kernelI22helper_blocked_stripedxLj192ELj3ELj10EEvPKT0_PS1_.kd
    .uniform_work_group_size: 1
    .uses_dynamic_stack: false
    .vgpr_count:     35
    .vgpr_spill_count: 0
    .wavefront_size: 64
  - .args:
      - .address_space:  global
        .offset:         0
        .size:           8
        .value_kind:     global_buffer
      - .address_space:  global
        .offset:         8
        .size:           8
        .value_kind:     global_buffer
      - .offset:         16
        .size:           4
        .value_kind:     hidden_block_count_x
      - .offset:         20
        .size:           4
        .value_kind:     hidden_block_count_y
      - .offset:         24
        .size:           4
        .value_kind:     hidden_block_count_z
      - .offset:         28
        .size:           2
        .value_kind:     hidden_group_size_x
      - .offset:         30
        .size:           2
        .value_kind:     hidden_group_size_y
      - .offset:         32
        .size:           2
        .value_kind:     hidden_group_size_z
      - .offset:         34
        .size:           2
        .value_kind:     hidden_remainder_x
      - .offset:         36
        .size:           2
        .value_kind:     hidden_remainder_y
      - .offset:         38
        .size:           2
        .value_kind:     hidden_remainder_z
      - .offset:         56
        .size:           8
        .value_kind:     hidden_global_offset_x
      - .offset:         64
        .size:           8
        .value_kind:     hidden_global_offset_y
      - .offset:         72
        .size:           8
        .value_kind:     hidden_global_offset_z
      - .offset:         80
        .size:           2
        .value_kind:     hidden_grid_dims
    .group_segment_fixed_size: 4608
    .kernarg_segment_align: 8
    .kernarg_segment_size: 272
    .language:       OpenCL C
    .language_version:
      - 2
      - 0
    .max_flat_workgroup_size: 192
    .name:           _Z17sort_pairs_kernelI22helper_blocked_stripedxLj192ELj3ELj10EEvPKT0_PS1_
    .private_segment_fixed_size: 0
    .sgpr_count:     42
    .sgpr_spill_count: 0
    .symbol:         _Z17sort_pairs_kernelI22helper_blocked_stripedxLj192ELj3ELj10EEvPKT0_PS1_.kd
    .uniform_work_group_size: 1
    .uses_dynamic_stack: false
    .vgpr_count:     42
    .vgpr_spill_count: 0
    .wavefront_size: 64
  - .args:
      - .address_space:  global
        .offset:         0
        .size:           8
        .value_kind:     global_buffer
      - .address_space:  global
        .offset:         8
        .size:           8
        .value_kind:     global_buffer
      - .offset:         16
        .size:           4
        .value_kind:     hidden_block_count_x
      - .offset:         20
        .size:           4
        .value_kind:     hidden_block_count_y
      - .offset:         24
        .size:           4
        .value_kind:     hidden_block_count_z
      - .offset:         28
        .size:           2
        .value_kind:     hidden_group_size_x
      - .offset:         30
        .size:           2
        .value_kind:     hidden_group_size_y
      - .offset:         32
        .size:           2
        .value_kind:     hidden_group_size_z
      - .offset:         34
        .size:           2
        .value_kind:     hidden_remainder_x
      - .offset:         36
        .size:           2
        .value_kind:     hidden_remainder_y
      - .offset:         38
        .size:           2
        .value_kind:     hidden_remainder_z
      - .offset:         56
        .size:           8
        .value_kind:     hidden_global_offset_x
      - .offset:         64
        .size:           8
        .value_kind:     hidden_global_offset_y
      - .offset:         72
        .size:           8
        .value_kind:     hidden_global_offset_z
      - .offset:         80
        .size:           2
        .value_kind:     hidden_grid_dims
    .group_segment_fixed_size: 6336
    .kernarg_segment_align: 8
    .kernarg_segment_size: 272
    .language:       OpenCL C
    .language_version:
      - 2
      - 0
    .max_flat_workgroup_size: 192
    .name:           _Z16sort_keys_kernelI22helper_blocked_stripedxLj192ELj4ELj10EEvPKT0_PS1_
    .private_segment_fixed_size: 0
    .sgpr_count:     48
    .sgpr_spill_count: 0
    .symbol:         _Z16sort_keys_kernelI22helper_blocked_stripedxLj192ELj4ELj10EEvPKT0_PS1_.kd
    .uniform_work_group_size: 1
    .uses_dynamic_stack: false
    .vgpr_count:     45
    .vgpr_spill_count: 0
    .wavefront_size: 64
  - .args:
      - .address_space:  global
        .offset:         0
        .size:           8
        .value_kind:     global_buffer
      - .address_space:  global
        .offset:         8
        .size:           8
        .value_kind:     global_buffer
      - .offset:         16
        .size:           4
        .value_kind:     hidden_block_count_x
      - .offset:         20
        .size:           4
        .value_kind:     hidden_block_count_y
      - .offset:         24
        .size:           4
        .value_kind:     hidden_block_count_z
      - .offset:         28
        .size:           2
        .value_kind:     hidden_group_size_x
      - .offset:         30
        .size:           2
        .value_kind:     hidden_group_size_y
      - .offset:         32
        .size:           2
        .value_kind:     hidden_group_size_z
      - .offset:         34
        .size:           2
        .value_kind:     hidden_remainder_x
      - .offset:         36
        .size:           2
        .value_kind:     hidden_remainder_y
      - .offset:         38
        .size:           2
        .value_kind:     hidden_remainder_z
      - .offset:         56
        .size:           8
        .value_kind:     hidden_global_offset_x
      - .offset:         64
        .size:           8
        .value_kind:     hidden_global_offset_y
      - .offset:         72
        .size:           8
        .value_kind:     hidden_global_offset_z
      - .offset:         80
        .size:           2
        .value_kind:     hidden_grid_dims
    .group_segment_fixed_size: 6336
    .kernarg_segment_align: 8
    .kernarg_segment_size: 272
    .language:       OpenCL C
    .language_version:
      - 2
      - 0
    .max_flat_workgroup_size: 192
    .name:           _Z17sort_pairs_kernelI22helper_blocked_stripedxLj192ELj4ELj10EEvPKT0_PS1_
    .private_segment_fixed_size: 0
    .sgpr_count:     48
    .sgpr_spill_count: 0
    .symbol:         _Z17sort_pairs_kernelI22helper_blocked_stripedxLj192ELj4ELj10EEvPKT0_PS1_.kd
    .uniform_work_group_size: 1
    .uses_dynamic_stack: false
    .vgpr_count:     56
    .vgpr_spill_count: 0
    .wavefront_size: 64
  - .args:
      - .address_space:  global
        .offset:         0
        .size:           8
        .value_kind:     global_buffer
      - .address_space:  global
        .offset:         8
        .size:           8
        .value_kind:     global_buffer
      - .offset:         16
        .size:           4
        .value_kind:     hidden_block_count_x
      - .offset:         20
        .size:           4
        .value_kind:     hidden_block_count_y
      - .offset:         24
        .size:           4
        .value_kind:     hidden_block_count_z
      - .offset:         28
        .size:           2
        .value_kind:     hidden_group_size_x
      - .offset:         30
        .size:           2
        .value_kind:     hidden_group_size_y
      - .offset:         32
        .size:           2
        .value_kind:     hidden_group_size_z
      - .offset:         34
        .size:           2
        .value_kind:     hidden_remainder_x
      - .offset:         36
        .size:           2
        .value_kind:     hidden_remainder_y
      - .offset:         38
        .size:           2
        .value_kind:     hidden_remainder_z
      - .offset:         56
        .size:           8
        .value_kind:     hidden_global_offset_x
      - .offset:         64
        .size:           8
        .value_kind:     hidden_global_offset_y
      - .offset:         72
        .size:           8
        .value_kind:     hidden_global_offset_z
      - .offset:         80
        .size:           2
        .value_kind:     hidden_grid_dims
    .group_segment_fixed_size: 12672
    .kernarg_segment_align: 8
    .kernarg_segment_size: 272
    .language:       OpenCL C
    .language_version:
      - 2
      - 0
    .max_flat_workgroup_size: 192
    .name:           _Z16sort_keys_kernelI22helper_blocked_stripedxLj192ELj8ELj10EEvPKT0_PS1_
    .private_segment_fixed_size: 0
    .sgpr_count:     42
    .sgpr_spill_count: 0
    .symbol:         _Z16sort_keys_kernelI22helper_blocked_stripedxLj192ELj8ELj10EEvPKT0_PS1_.kd
    .uniform_work_group_size: 1
    .uses_dynamic_stack: false
    .vgpr_count:     67
    .vgpr_spill_count: 0
    .wavefront_size: 64
  - .args:
      - .address_space:  global
        .offset:         0
        .size:           8
        .value_kind:     global_buffer
      - .address_space:  global
        .offset:         8
        .size:           8
        .value_kind:     global_buffer
      - .offset:         16
        .size:           4
        .value_kind:     hidden_block_count_x
      - .offset:         20
        .size:           4
        .value_kind:     hidden_block_count_y
      - .offset:         24
        .size:           4
        .value_kind:     hidden_block_count_z
      - .offset:         28
        .size:           2
        .value_kind:     hidden_group_size_x
      - .offset:         30
        .size:           2
        .value_kind:     hidden_group_size_y
      - .offset:         32
        .size:           2
        .value_kind:     hidden_group_size_z
      - .offset:         34
        .size:           2
        .value_kind:     hidden_remainder_x
      - .offset:         36
        .size:           2
        .value_kind:     hidden_remainder_y
      - .offset:         38
        .size:           2
        .value_kind:     hidden_remainder_z
      - .offset:         56
        .size:           8
        .value_kind:     hidden_global_offset_x
      - .offset:         64
        .size:           8
        .value_kind:     hidden_global_offset_y
      - .offset:         72
        .size:           8
        .value_kind:     hidden_global_offset_z
      - .offset:         80
        .size:           2
        .value_kind:     hidden_grid_dims
    .group_segment_fixed_size: 12672
    .kernarg_segment_align: 8
    .kernarg_segment_size: 272
    .language:       OpenCL C
    .language_version:
      - 2
      - 0
    .max_flat_workgroup_size: 192
    .name:           _Z17sort_pairs_kernelI22helper_blocked_stripedxLj192ELj8ELj10EEvPKT0_PS1_
    .private_segment_fixed_size: 0
    .sgpr_count:     42
    .sgpr_spill_count: 0
    .symbol:         _Z17sort_pairs_kernelI22helper_blocked_stripedxLj192ELj8ELj10EEvPKT0_PS1_.kd
    .uniform_work_group_size: 1
    .uses_dynamic_stack: false
    .vgpr_count:     93
    .vgpr_spill_count: 0
    .wavefront_size: 64
  - .args:
      - .address_space:  global
        .offset:         0
        .size:           8
        .value_kind:     global_buffer
      - .address_space:  global
        .offset:         8
        .size:           8
        .value_kind:     global_buffer
      - .offset:         16
        .size:           4
        .value_kind:     hidden_block_count_x
      - .offset:         20
        .size:           4
        .value_kind:     hidden_block_count_y
      - .offset:         24
        .size:           4
        .value_kind:     hidden_block_count_z
      - .offset:         28
        .size:           2
        .value_kind:     hidden_group_size_x
      - .offset:         30
        .size:           2
        .value_kind:     hidden_group_size_y
      - .offset:         32
        .size:           2
        .value_kind:     hidden_group_size_z
      - .offset:         34
        .size:           2
        .value_kind:     hidden_remainder_x
      - .offset:         36
        .size:           2
        .value_kind:     hidden_remainder_y
      - .offset:         38
        .size:           2
        .value_kind:     hidden_remainder_z
      - .offset:         56
        .size:           8
        .value_kind:     hidden_global_offset_x
      - .offset:         64
        .size:           8
        .value_kind:     hidden_global_offset_y
      - .offset:         72
        .size:           8
        .value_kind:     hidden_global_offset_z
      - .offset:         80
        .size:           2
        .value_kind:     hidden_grid_dims
    .group_segment_fixed_size: 4112
    .kernarg_segment_align: 8
    .kernarg_segment_size: 272
    .language:       OpenCL C
    .language_version:
      - 2
      - 0
    .max_flat_workgroup_size: 256
    .name:           _Z16sort_keys_kernelI22helper_blocked_stripedxLj256ELj1ELj10EEvPKT0_PS1_
    .private_segment_fixed_size: 0
    .sgpr_count:     42
    .sgpr_spill_count: 0
    .symbol:         _Z16sort_keys_kernelI22helper_blocked_stripedxLj256ELj1ELj10EEvPKT0_PS1_.kd
    .uniform_work_group_size: 1
    .uses_dynamic_stack: false
    .vgpr_count:     26
    .vgpr_spill_count: 0
    .wavefront_size: 64
  - .args:
      - .address_space:  global
        .offset:         0
        .size:           8
        .value_kind:     global_buffer
      - .address_space:  global
        .offset:         8
        .size:           8
        .value_kind:     global_buffer
      - .offset:         16
        .size:           4
        .value_kind:     hidden_block_count_x
      - .offset:         20
        .size:           4
        .value_kind:     hidden_block_count_y
      - .offset:         24
        .size:           4
        .value_kind:     hidden_block_count_z
      - .offset:         28
        .size:           2
        .value_kind:     hidden_group_size_x
      - .offset:         30
        .size:           2
        .value_kind:     hidden_group_size_y
      - .offset:         32
        .size:           2
        .value_kind:     hidden_group_size_z
      - .offset:         34
        .size:           2
        .value_kind:     hidden_remainder_x
      - .offset:         36
        .size:           2
        .value_kind:     hidden_remainder_y
      - .offset:         38
        .size:           2
        .value_kind:     hidden_remainder_z
      - .offset:         56
        .size:           8
        .value_kind:     hidden_global_offset_x
      - .offset:         64
        .size:           8
        .value_kind:     hidden_global_offset_y
      - .offset:         72
        .size:           8
        .value_kind:     hidden_global_offset_z
      - .offset:         80
        .size:           2
        .value_kind:     hidden_grid_dims
    .group_segment_fixed_size: 4112
    .kernarg_segment_align: 8
    .kernarg_segment_size: 272
    .language:       OpenCL C
    .language_version:
      - 2
      - 0
    .max_flat_workgroup_size: 256
    .name:           _Z17sort_pairs_kernelI22helper_blocked_stripedxLj256ELj1ELj10EEvPKT0_PS1_
    .private_segment_fixed_size: 0
    .sgpr_count:     42
    .sgpr_spill_count: 0
    .symbol:         _Z17sort_pairs_kernelI22helper_blocked_stripedxLj256ELj1ELj10EEvPKT0_PS1_.kd
    .uniform_work_group_size: 1
    .uses_dynamic_stack: false
    .vgpr_count:     27
    .vgpr_spill_count: 0
    .wavefront_size: 64
  - .args:
      - .address_space:  global
        .offset:         0
        .size:           8
        .value_kind:     global_buffer
      - .address_space:  global
        .offset:         8
        .size:           8
        .value_kind:     global_buffer
      - .offset:         16
        .size:           4
        .value_kind:     hidden_block_count_x
      - .offset:         20
        .size:           4
        .value_kind:     hidden_block_count_y
      - .offset:         24
        .size:           4
        .value_kind:     hidden_block_count_z
      - .offset:         28
        .size:           2
        .value_kind:     hidden_group_size_x
      - .offset:         30
        .size:           2
        .value_kind:     hidden_group_size_y
      - .offset:         32
        .size:           2
        .value_kind:     hidden_group_size_z
      - .offset:         34
        .size:           2
        .value_kind:     hidden_remainder_x
      - .offset:         36
        .size:           2
        .value_kind:     hidden_remainder_y
      - .offset:         38
        .size:           2
        .value_kind:     hidden_remainder_z
      - .offset:         56
        .size:           8
        .value_kind:     hidden_global_offset_x
      - .offset:         64
        .size:           8
        .value_kind:     hidden_global_offset_y
      - .offset:         72
        .size:           8
        .value_kind:     hidden_global_offset_z
      - .offset:         80
        .size:           2
        .value_kind:     hidden_grid_dims
    .group_segment_fixed_size: 6144
    .kernarg_segment_align: 8
    .kernarg_segment_size: 272
    .language:       OpenCL C
    .language_version:
      - 2
      - 0
    .max_flat_workgroup_size: 256
    .name:           _Z16sort_keys_kernelI22helper_blocked_stripedxLj256ELj3ELj10EEvPKT0_PS1_
    .private_segment_fixed_size: 0
    .sgpr_count:     42
    .sgpr_spill_count: 0
    .symbol:         _Z16sort_keys_kernelI22helper_blocked_stripedxLj256ELj3ELj10EEvPKT0_PS1_.kd
    .uniform_work_group_size: 1
    .uses_dynamic_stack: false
    .vgpr_count:     38
    .vgpr_spill_count: 0
    .wavefront_size: 64
  - .args:
      - .address_space:  global
        .offset:         0
        .size:           8
        .value_kind:     global_buffer
      - .address_space:  global
        .offset:         8
        .size:           8
        .value_kind:     global_buffer
      - .offset:         16
        .size:           4
        .value_kind:     hidden_block_count_x
      - .offset:         20
        .size:           4
        .value_kind:     hidden_block_count_y
      - .offset:         24
        .size:           4
        .value_kind:     hidden_block_count_z
      - .offset:         28
        .size:           2
        .value_kind:     hidden_group_size_x
      - .offset:         30
        .size:           2
        .value_kind:     hidden_group_size_y
      - .offset:         32
        .size:           2
        .value_kind:     hidden_group_size_z
      - .offset:         34
        .size:           2
        .value_kind:     hidden_remainder_x
      - .offset:         36
        .size:           2
        .value_kind:     hidden_remainder_y
      - .offset:         38
        .size:           2
        .value_kind:     hidden_remainder_z
      - .offset:         56
        .size:           8
        .value_kind:     hidden_global_offset_x
      - .offset:         64
        .size:           8
        .value_kind:     hidden_global_offset_y
      - .offset:         72
        .size:           8
        .value_kind:     hidden_global_offset_z
      - .offset:         80
        .size:           2
        .value_kind:     hidden_grid_dims
    .group_segment_fixed_size: 6144
    .kernarg_segment_align: 8
    .kernarg_segment_size: 272
    .language:       OpenCL C
    .language_version:
      - 2
      - 0
    .max_flat_workgroup_size: 256
    .name:           _Z17sort_pairs_kernelI22helper_blocked_stripedxLj256ELj3ELj10EEvPKT0_PS1_
    .private_segment_fixed_size: 0
    .sgpr_count:     42
    .sgpr_spill_count: 0
    .symbol:         _Z17sort_pairs_kernelI22helper_blocked_stripedxLj256ELj3ELj10EEvPKT0_PS1_.kd
    .uniform_work_group_size: 1
    .uses_dynamic_stack: false
    .vgpr_count:     45
    .vgpr_spill_count: 0
    .wavefront_size: 64
  - .args:
      - .address_space:  global
        .offset:         0
        .size:           8
        .value_kind:     global_buffer
      - .address_space:  global
        .offset:         8
        .size:           8
        .value_kind:     global_buffer
      - .offset:         16
        .size:           4
        .value_kind:     hidden_block_count_x
      - .offset:         20
        .size:           4
        .value_kind:     hidden_block_count_y
      - .offset:         24
        .size:           4
        .value_kind:     hidden_block_count_z
      - .offset:         28
        .size:           2
        .value_kind:     hidden_group_size_x
      - .offset:         30
        .size:           2
        .value_kind:     hidden_group_size_y
      - .offset:         32
        .size:           2
        .value_kind:     hidden_group_size_z
      - .offset:         34
        .size:           2
        .value_kind:     hidden_remainder_x
      - .offset:         36
        .size:           2
        .value_kind:     hidden_remainder_y
      - .offset:         38
        .size:           2
        .value_kind:     hidden_remainder_z
      - .offset:         56
        .size:           8
        .value_kind:     hidden_global_offset_x
      - .offset:         64
        .size:           8
        .value_kind:     hidden_global_offset_y
      - .offset:         72
        .size:           8
        .value_kind:     hidden_global_offset_z
      - .offset:         80
        .size:           2
        .value_kind:     hidden_grid_dims
    .group_segment_fixed_size: 8192
    .kernarg_segment_align: 8
    .kernarg_segment_size: 272
    .language:       OpenCL C
    .language_version:
      - 2
      - 0
    .max_flat_workgroup_size: 256
    .name:           _Z16sort_keys_kernelI22helper_blocked_stripedxLj256ELj4ELj10EEvPKT0_PS1_
    .private_segment_fixed_size: 0
    .sgpr_count:     48
    .sgpr_spill_count: 0
    .symbol:         _Z16sort_keys_kernelI22helper_blocked_stripedxLj256ELj4ELj10EEvPKT0_PS1_.kd
    .uniform_work_group_size: 1
    .uses_dynamic_stack: false
    .vgpr_count:     45
    .vgpr_spill_count: 0
    .wavefront_size: 64
  - .args:
      - .address_space:  global
        .offset:         0
        .size:           8
        .value_kind:     global_buffer
      - .address_space:  global
        .offset:         8
        .size:           8
        .value_kind:     global_buffer
      - .offset:         16
        .size:           4
        .value_kind:     hidden_block_count_x
      - .offset:         20
        .size:           4
        .value_kind:     hidden_block_count_y
      - .offset:         24
        .size:           4
        .value_kind:     hidden_block_count_z
      - .offset:         28
        .size:           2
        .value_kind:     hidden_group_size_x
      - .offset:         30
        .size:           2
        .value_kind:     hidden_group_size_y
      - .offset:         32
        .size:           2
        .value_kind:     hidden_group_size_z
      - .offset:         34
        .size:           2
        .value_kind:     hidden_remainder_x
      - .offset:         36
        .size:           2
        .value_kind:     hidden_remainder_y
      - .offset:         38
        .size:           2
        .value_kind:     hidden_remainder_z
      - .offset:         56
        .size:           8
        .value_kind:     hidden_global_offset_x
      - .offset:         64
        .size:           8
        .value_kind:     hidden_global_offset_y
      - .offset:         72
        .size:           8
        .value_kind:     hidden_global_offset_z
      - .offset:         80
        .size:           2
        .value_kind:     hidden_grid_dims
    .group_segment_fixed_size: 8192
    .kernarg_segment_align: 8
    .kernarg_segment_size: 272
    .language:       OpenCL C
    .language_version:
      - 2
      - 0
    .max_flat_workgroup_size: 256
    .name:           _Z17sort_pairs_kernelI22helper_blocked_stripedxLj256ELj4ELj10EEvPKT0_PS1_
    .private_segment_fixed_size: 0
    .sgpr_count:     48
    .sgpr_spill_count: 0
    .symbol:         _Z17sort_pairs_kernelI22helper_blocked_stripedxLj256ELj4ELj10EEvPKT0_PS1_.kd
    .uniform_work_group_size: 1
    .uses_dynamic_stack: false
    .vgpr_count:     56
    .vgpr_spill_count: 0
    .wavefront_size: 64
  - .args:
      - .address_space:  global
        .offset:         0
        .size:           8
        .value_kind:     global_buffer
      - .address_space:  global
        .offset:         8
        .size:           8
        .value_kind:     global_buffer
      - .offset:         16
        .size:           4
        .value_kind:     hidden_block_count_x
      - .offset:         20
        .size:           4
        .value_kind:     hidden_block_count_y
      - .offset:         24
        .size:           4
        .value_kind:     hidden_block_count_z
      - .offset:         28
        .size:           2
        .value_kind:     hidden_group_size_x
      - .offset:         30
        .size:           2
        .value_kind:     hidden_group_size_y
      - .offset:         32
        .size:           2
        .value_kind:     hidden_group_size_z
      - .offset:         34
        .size:           2
        .value_kind:     hidden_remainder_x
      - .offset:         36
        .size:           2
        .value_kind:     hidden_remainder_y
      - .offset:         38
        .size:           2
        .value_kind:     hidden_remainder_z
      - .offset:         56
        .size:           8
        .value_kind:     hidden_global_offset_x
      - .offset:         64
        .size:           8
        .value_kind:     hidden_global_offset_y
      - .offset:         72
        .size:           8
        .value_kind:     hidden_global_offset_z
      - .offset:         80
        .size:           2
        .value_kind:     hidden_grid_dims
    .group_segment_fixed_size: 16384
    .kernarg_segment_align: 8
    .kernarg_segment_size: 272
    .language:       OpenCL C
    .language_version:
      - 2
      - 0
    .max_flat_workgroup_size: 256
    .name:           _Z16sort_keys_kernelI22helper_blocked_stripedxLj256ELj8ELj10EEvPKT0_PS1_
    .private_segment_fixed_size: 0
    .sgpr_count:     42
    .sgpr_spill_count: 0
    .symbol:         _Z16sort_keys_kernelI22helper_blocked_stripedxLj256ELj8ELj10EEvPKT0_PS1_.kd
    .uniform_work_group_size: 1
    .uses_dynamic_stack: false
    .vgpr_count:     62
    .vgpr_spill_count: 0
    .wavefront_size: 64
  - .args:
      - .address_space:  global
        .offset:         0
        .size:           8
        .value_kind:     global_buffer
      - .address_space:  global
        .offset:         8
        .size:           8
        .value_kind:     global_buffer
      - .offset:         16
        .size:           4
        .value_kind:     hidden_block_count_x
      - .offset:         20
        .size:           4
        .value_kind:     hidden_block_count_y
      - .offset:         24
        .size:           4
        .value_kind:     hidden_block_count_z
      - .offset:         28
        .size:           2
        .value_kind:     hidden_group_size_x
      - .offset:         30
        .size:           2
        .value_kind:     hidden_group_size_y
      - .offset:         32
        .size:           2
        .value_kind:     hidden_group_size_z
      - .offset:         34
        .size:           2
        .value_kind:     hidden_remainder_x
      - .offset:         36
        .size:           2
        .value_kind:     hidden_remainder_y
      - .offset:         38
        .size:           2
        .value_kind:     hidden_remainder_z
      - .offset:         56
        .size:           8
        .value_kind:     hidden_global_offset_x
      - .offset:         64
        .size:           8
        .value_kind:     hidden_global_offset_y
      - .offset:         72
        .size:           8
        .value_kind:     hidden_global_offset_z
      - .offset:         80
        .size:           2
        .value_kind:     hidden_grid_dims
    .group_segment_fixed_size: 16384
    .kernarg_segment_align: 8
    .kernarg_segment_size: 272
    .language:       OpenCL C
    .language_version:
      - 2
      - 0
    .max_flat_workgroup_size: 256
    .name:           _Z17sort_pairs_kernelI22helper_blocked_stripedxLj256ELj8ELj10EEvPKT0_PS1_
    .private_segment_fixed_size: 0
    .sgpr_count:     42
    .sgpr_spill_count: 0
    .symbol:         _Z17sort_pairs_kernelI22helper_blocked_stripedxLj256ELj8ELj10EEvPKT0_PS1_.kd
    .uniform_work_group_size: 1
    .uses_dynamic_stack: false
    .vgpr_count:     89
    .vgpr_spill_count: 0
    .wavefront_size: 64
  - .args:
      - .address_space:  global
        .offset:         0
        .size:           8
        .value_kind:     global_buffer
      - .address_space:  global
        .offset:         8
        .size:           8
        .value_kind:     global_buffer
      - .offset:         16
        .size:           4
        .value_kind:     hidden_block_count_x
      - .offset:         20
        .size:           4
        .value_kind:     hidden_block_count_y
      - .offset:         24
        .size:           4
        .value_kind:     hidden_block_count_z
      - .offset:         28
        .size:           2
        .value_kind:     hidden_group_size_x
      - .offset:         30
        .size:           2
        .value_kind:     hidden_group_size_y
      - .offset:         32
        .size:           2
        .value_kind:     hidden_group_size_z
      - .offset:         34
        .size:           2
        .value_kind:     hidden_remainder_x
      - .offset:         36
        .size:           2
        .value_kind:     hidden_remainder_y
      - .offset:         38
        .size:           2
        .value_kind:     hidden_remainder_z
      - .offset:         56
        .size:           8
        .value_kind:     hidden_global_offset_x
      - .offset:         64
        .size:           8
        .value_kind:     hidden_global_offset_y
      - .offset:         72
        .size:           8
        .value_kind:     hidden_global_offset_z
      - .offset:         80
        .size:           2
        .value_kind:     hidden_grid_dims
    .group_segment_fixed_size: 5152
    .kernarg_segment_align: 8
    .kernarg_segment_size: 272
    .language:       OpenCL C
    .language_version:
      - 2
      - 0
    .max_flat_workgroup_size: 320
    .name:           _Z16sort_keys_kernelI22helper_blocked_stripedxLj320ELj1ELj10EEvPKT0_PS1_
    .private_segment_fixed_size: 0
    .sgpr_count:     44
    .sgpr_spill_count: 0
    .symbol:         _Z16sort_keys_kernelI22helper_blocked_stripedxLj320ELj1ELj10EEvPKT0_PS1_.kd
    .uniform_work_group_size: 1
    .uses_dynamic_stack: false
    .vgpr_count:     23
    .vgpr_spill_count: 0
    .wavefront_size: 64
  - .args:
      - .address_space:  global
        .offset:         0
        .size:           8
        .value_kind:     global_buffer
      - .address_space:  global
        .offset:         8
        .size:           8
        .value_kind:     global_buffer
      - .offset:         16
        .size:           4
        .value_kind:     hidden_block_count_x
      - .offset:         20
        .size:           4
        .value_kind:     hidden_block_count_y
      - .offset:         24
        .size:           4
        .value_kind:     hidden_block_count_z
      - .offset:         28
        .size:           2
        .value_kind:     hidden_group_size_x
      - .offset:         30
        .size:           2
        .value_kind:     hidden_group_size_y
      - .offset:         32
        .size:           2
        .value_kind:     hidden_group_size_z
      - .offset:         34
        .size:           2
        .value_kind:     hidden_remainder_x
      - .offset:         36
        .size:           2
        .value_kind:     hidden_remainder_y
      - .offset:         38
        .size:           2
        .value_kind:     hidden_remainder_z
      - .offset:         56
        .size:           8
        .value_kind:     hidden_global_offset_x
      - .offset:         64
        .size:           8
        .value_kind:     hidden_global_offset_y
      - .offset:         72
        .size:           8
        .value_kind:     hidden_global_offset_z
      - .offset:         80
        .size:           2
        .value_kind:     hidden_grid_dims
    .group_segment_fixed_size: 5152
    .kernarg_segment_align: 8
    .kernarg_segment_size: 272
    .language:       OpenCL C
    .language_version:
      - 2
      - 0
    .max_flat_workgroup_size: 320
    .name:           _Z17sort_pairs_kernelI22helper_blocked_stripedxLj320ELj1ELj10EEvPKT0_PS1_
    .private_segment_fixed_size: 0
    .sgpr_count:     44
    .sgpr_spill_count: 0
    .symbol:         _Z17sort_pairs_kernelI22helper_blocked_stripedxLj320ELj1ELj10EEvPKT0_PS1_.kd
    .uniform_work_group_size: 1
    .uses_dynamic_stack: false
    .vgpr_count:     23
    .vgpr_spill_count: 0
    .wavefront_size: 64
  - .args:
      - .address_space:  global
        .offset:         0
        .size:           8
        .value_kind:     global_buffer
      - .address_space:  global
        .offset:         8
        .size:           8
        .value_kind:     global_buffer
      - .offset:         16
        .size:           4
        .value_kind:     hidden_block_count_x
      - .offset:         20
        .size:           4
        .value_kind:     hidden_block_count_y
      - .offset:         24
        .size:           4
        .value_kind:     hidden_block_count_z
      - .offset:         28
        .size:           2
        .value_kind:     hidden_group_size_x
      - .offset:         30
        .size:           2
        .value_kind:     hidden_group_size_y
      - .offset:         32
        .size:           2
        .value_kind:     hidden_group_size_z
      - .offset:         34
        .size:           2
        .value_kind:     hidden_remainder_x
      - .offset:         36
        .size:           2
        .value_kind:     hidden_remainder_y
      - .offset:         38
        .size:           2
        .value_kind:     hidden_remainder_z
      - .offset:         56
        .size:           8
        .value_kind:     hidden_global_offset_x
      - .offset:         64
        .size:           8
        .value_kind:     hidden_global_offset_y
      - .offset:         72
        .size:           8
        .value_kind:     hidden_global_offset_z
      - .offset:         80
        .size:           2
        .value_kind:     hidden_grid_dims
    .group_segment_fixed_size: 7680
    .kernarg_segment_align: 8
    .kernarg_segment_size: 272
    .language:       OpenCL C
    .language_version:
      - 2
      - 0
    .max_flat_workgroup_size: 320
    .name:           _Z16sort_keys_kernelI22helper_blocked_stripedxLj320ELj3ELj10EEvPKT0_PS1_
    .private_segment_fixed_size: 0
    .sgpr_count:     44
    .sgpr_spill_count: 0
    .symbol:         _Z16sort_keys_kernelI22helper_blocked_stripedxLj320ELj3ELj10EEvPKT0_PS1_.kd
    .uniform_work_group_size: 1
    .uses_dynamic_stack: false
    .vgpr_count:     35
    .vgpr_spill_count: 0
    .wavefront_size: 64
  - .args:
      - .address_space:  global
        .offset:         0
        .size:           8
        .value_kind:     global_buffer
      - .address_space:  global
        .offset:         8
        .size:           8
        .value_kind:     global_buffer
      - .offset:         16
        .size:           4
        .value_kind:     hidden_block_count_x
      - .offset:         20
        .size:           4
        .value_kind:     hidden_block_count_y
      - .offset:         24
        .size:           4
        .value_kind:     hidden_block_count_z
      - .offset:         28
        .size:           2
        .value_kind:     hidden_group_size_x
      - .offset:         30
        .size:           2
        .value_kind:     hidden_group_size_y
      - .offset:         32
        .size:           2
        .value_kind:     hidden_group_size_z
      - .offset:         34
        .size:           2
        .value_kind:     hidden_remainder_x
      - .offset:         36
        .size:           2
        .value_kind:     hidden_remainder_y
      - .offset:         38
        .size:           2
        .value_kind:     hidden_remainder_z
      - .offset:         56
        .size:           8
        .value_kind:     hidden_global_offset_x
      - .offset:         64
        .size:           8
        .value_kind:     hidden_global_offset_y
      - .offset:         72
        .size:           8
        .value_kind:     hidden_global_offset_z
      - .offset:         80
        .size:           2
        .value_kind:     hidden_grid_dims
    .group_segment_fixed_size: 7680
    .kernarg_segment_align: 8
    .kernarg_segment_size: 272
    .language:       OpenCL C
    .language_version:
      - 2
      - 0
    .max_flat_workgroup_size: 320
    .name:           _Z17sort_pairs_kernelI22helper_blocked_stripedxLj320ELj3ELj10EEvPKT0_PS1_
    .private_segment_fixed_size: 0
    .sgpr_count:     44
    .sgpr_spill_count: 0
    .symbol:         _Z17sort_pairs_kernelI22helper_blocked_stripedxLj320ELj3ELj10EEvPKT0_PS1_.kd
    .uniform_work_group_size: 1
    .uses_dynamic_stack: false
    .vgpr_count:     42
    .vgpr_spill_count: 0
    .wavefront_size: 64
  - .args:
      - .address_space:  global
        .offset:         0
        .size:           8
        .value_kind:     global_buffer
      - .address_space:  global
        .offset:         8
        .size:           8
        .value_kind:     global_buffer
      - .offset:         16
        .size:           4
        .value_kind:     hidden_block_count_x
      - .offset:         20
        .size:           4
        .value_kind:     hidden_block_count_y
      - .offset:         24
        .size:           4
        .value_kind:     hidden_block_count_z
      - .offset:         28
        .size:           2
        .value_kind:     hidden_group_size_x
      - .offset:         30
        .size:           2
        .value_kind:     hidden_group_size_y
      - .offset:         32
        .size:           2
        .value_kind:     hidden_group_size_z
      - .offset:         34
        .size:           2
        .value_kind:     hidden_remainder_x
      - .offset:         36
        .size:           2
        .value_kind:     hidden_remainder_y
      - .offset:         38
        .size:           2
        .value_kind:     hidden_remainder_z
      - .offset:         56
        .size:           8
        .value_kind:     hidden_global_offset_x
      - .offset:         64
        .size:           8
        .value_kind:     hidden_global_offset_y
      - .offset:         72
        .size:           8
        .value_kind:     hidden_global_offset_z
      - .offset:         80
        .size:           2
        .value_kind:     hidden_grid_dims
    .group_segment_fixed_size: 10560
    .kernarg_segment_align: 8
    .kernarg_segment_size: 272
    .language:       OpenCL C
    .language_version:
      - 2
      - 0
    .max_flat_workgroup_size: 320
    .name:           _Z16sort_keys_kernelI22helper_blocked_stripedxLj320ELj4ELj10EEvPKT0_PS1_
    .private_segment_fixed_size: 0
    .sgpr_count:     52
    .sgpr_spill_count: 0
    .symbol:         _Z16sort_keys_kernelI22helper_blocked_stripedxLj320ELj4ELj10EEvPKT0_PS1_.kd
    .uniform_work_group_size: 1
    .uses_dynamic_stack: false
    .vgpr_count:     45
    .vgpr_spill_count: 0
    .wavefront_size: 64
  - .args:
      - .address_space:  global
        .offset:         0
        .size:           8
        .value_kind:     global_buffer
      - .address_space:  global
        .offset:         8
        .size:           8
        .value_kind:     global_buffer
      - .offset:         16
        .size:           4
        .value_kind:     hidden_block_count_x
      - .offset:         20
        .size:           4
        .value_kind:     hidden_block_count_y
      - .offset:         24
        .size:           4
        .value_kind:     hidden_block_count_z
      - .offset:         28
        .size:           2
        .value_kind:     hidden_group_size_x
      - .offset:         30
        .size:           2
        .value_kind:     hidden_group_size_y
      - .offset:         32
        .size:           2
        .value_kind:     hidden_group_size_z
      - .offset:         34
        .size:           2
        .value_kind:     hidden_remainder_x
      - .offset:         36
        .size:           2
        .value_kind:     hidden_remainder_y
      - .offset:         38
        .size:           2
        .value_kind:     hidden_remainder_z
      - .offset:         56
        .size:           8
        .value_kind:     hidden_global_offset_x
      - .offset:         64
        .size:           8
        .value_kind:     hidden_global_offset_y
      - .offset:         72
        .size:           8
        .value_kind:     hidden_global_offset_z
      - .offset:         80
        .size:           2
        .value_kind:     hidden_grid_dims
    .group_segment_fixed_size: 10560
    .kernarg_segment_align: 8
    .kernarg_segment_size: 272
    .language:       OpenCL C
    .language_version:
      - 2
      - 0
    .max_flat_workgroup_size: 320
    .name:           _Z17sort_pairs_kernelI22helper_blocked_stripedxLj320ELj4ELj10EEvPKT0_PS1_
    .private_segment_fixed_size: 0
    .sgpr_count:     52
    .sgpr_spill_count: 0
    .symbol:         _Z17sort_pairs_kernelI22helper_blocked_stripedxLj320ELj4ELj10EEvPKT0_PS1_.kd
    .uniform_work_group_size: 1
    .uses_dynamic_stack: false
    .vgpr_count:     56
    .vgpr_spill_count: 0
    .wavefront_size: 64
  - .args:
      - .address_space:  global
        .offset:         0
        .size:           8
        .value_kind:     global_buffer
      - .address_space:  global
        .offset:         8
        .size:           8
        .value_kind:     global_buffer
      - .offset:         16
        .size:           4
        .value_kind:     hidden_block_count_x
      - .offset:         20
        .size:           4
        .value_kind:     hidden_block_count_y
      - .offset:         24
        .size:           4
        .value_kind:     hidden_block_count_z
      - .offset:         28
        .size:           2
        .value_kind:     hidden_group_size_x
      - .offset:         30
        .size:           2
        .value_kind:     hidden_group_size_y
      - .offset:         32
        .size:           2
        .value_kind:     hidden_group_size_z
      - .offset:         34
        .size:           2
        .value_kind:     hidden_remainder_x
      - .offset:         36
        .size:           2
        .value_kind:     hidden_remainder_y
      - .offset:         38
        .size:           2
        .value_kind:     hidden_remainder_z
      - .offset:         56
        .size:           8
        .value_kind:     hidden_global_offset_x
      - .offset:         64
        .size:           8
        .value_kind:     hidden_global_offset_y
      - .offset:         72
        .size:           8
        .value_kind:     hidden_global_offset_z
      - .offset:         80
        .size:           2
        .value_kind:     hidden_grid_dims
    .group_segment_fixed_size: 21120
    .kernarg_segment_align: 8
    .kernarg_segment_size: 272
    .language:       OpenCL C
    .language_version:
      - 2
      - 0
    .max_flat_workgroup_size: 320
    .name:           _Z16sort_keys_kernelI22helper_blocked_stripedxLj320ELj8ELj10EEvPKT0_PS1_
    .private_segment_fixed_size: 0
    .sgpr_count:     44
    .sgpr_spill_count: 0
    .symbol:         _Z16sort_keys_kernelI22helper_blocked_stripedxLj320ELj8ELj10EEvPKT0_PS1_.kd
    .uniform_work_group_size: 1
    .uses_dynamic_stack: false
    .vgpr_count:     67
    .vgpr_spill_count: 0
    .wavefront_size: 64
  - .args:
      - .address_space:  global
        .offset:         0
        .size:           8
        .value_kind:     global_buffer
      - .address_space:  global
        .offset:         8
        .size:           8
        .value_kind:     global_buffer
      - .offset:         16
        .size:           4
        .value_kind:     hidden_block_count_x
      - .offset:         20
        .size:           4
        .value_kind:     hidden_block_count_y
      - .offset:         24
        .size:           4
        .value_kind:     hidden_block_count_z
      - .offset:         28
        .size:           2
        .value_kind:     hidden_group_size_x
      - .offset:         30
        .size:           2
        .value_kind:     hidden_group_size_y
      - .offset:         32
        .size:           2
        .value_kind:     hidden_group_size_z
      - .offset:         34
        .size:           2
        .value_kind:     hidden_remainder_x
      - .offset:         36
        .size:           2
        .value_kind:     hidden_remainder_y
      - .offset:         38
        .size:           2
        .value_kind:     hidden_remainder_z
      - .offset:         56
        .size:           8
        .value_kind:     hidden_global_offset_x
      - .offset:         64
        .size:           8
        .value_kind:     hidden_global_offset_y
      - .offset:         72
        .size:           8
        .value_kind:     hidden_global_offset_z
      - .offset:         80
        .size:           2
        .value_kind:     hidden_grid_dims
    .group_segment_fixed_size: 21120
    .kernarg_segment_align: 8
    .kernarg_segment_size: 272
    .language:       OpenCL C
    .language_version:
      - 2
      - 0
    .max_flat_workgroup_size: 320
    .name:           _Z17sort_pairs_kernelI22helper_blocked_stripedxLj320ELj8ELj10EEvPKT0_PS1_
    .private_segment_fixed_size: 0
    .sgpr_count:     44
    .sgpr_spill_count: 0
    .symbol:         _Z17sort_pairs_kernelI22helper_blocked_stripedxLj320ELj8ELj10EEvPKT0_PS1_.kd
    .uniform_work_group_size: 1
    .uses_dynamic_stack: false
    .vgpr_count:     93
    .vgpr_spill_count: 0
    .wavefront_size: 64
  - .args:
      - .address_space:  global
        .offset:         0
        .size:           8
        .value_kind:     global_buffer
      - .address_space:  global
        .offset:         8
        .size:           8
        .value_kind:     global_buffer
      - .offset:         16
        .size:           4
        .value_kind:     hidden_block_count_x
      - .offset:         20
        .size:           4
        .value_kind:     hidden_block_count_y
      - .offset:         24
        .size:           4
        .value_kind:     hidden_block_count_z
      - .offset:         28
        .size:           2
        .value_kind:     hidden_group_size_x
      - .offset:         30
        .size:           2
        .value_kind:     hidden_group_size_y
      - .offset:         32
        .size:           2
        .value_kind:     hidden_group_size_z
      - .offset:         34
        .size:           2
        .value_kind:     hidden_remainder_x
      - .offset:         36
        .size:           2
        .value_kind:     hidden_remainder_y
      - .offset:         38
        .size:           2
        .value_kind:     hidden_remainder_z
      - .offset:         56
        .size:           8
        .value_kind:     hidden_global_offset_x
      - .offset:         64
        .size:           8
        .value_kind:     hidden_global_offset_y
      - .offset:         72
        .size:           8
        .value_kind:     hidden_global_offset_z
      - .offset:         80
        .size:           2
        .value_kind:     hidden_grid_dims
    .group_segment_fixed_size: 8224
    .kernarg_segment_align: 8
    .kernarg_segment_size: 272
    .language:       OpenCL C
    .language_version:
      - 2
      - 0
    .max_flat_workgroup_size: 512
    .name:           _Z16sort_keys_kernelI22helper_blocked_stripedxLj512ELj1ELj10EEvPKT0_PS1_
    .private_segment_fixed_size: 0
    .sgpr_count:     44
    .sgpr_spill_count: 0
    .symbol:         _Z16sort_keys_kernelI22helper_blocked_stripedxLj512ELj1ELj10EEvPKT0_PS1_.kd
    .uniform_work_group_size: 1
    .uses_dynamic_stack: false
    .vgpr_count:     26
    .vgpr_spill_count: 0
    .wavefront_size: 64
  - .args:
      - .address_space:  global
        .offset:         0
        .size:           8
        .value_kind:     global_buffer
      - .address_space:  global
        .offset:         8
        .size:           8
        .value_kind:     global_buffer
      - .offset:         16
        .size:           4
        .value_kind:     hidden_block_count_x
      - .offset:         20
        .size:           4
        .value_kind:     hidden_block_count_y
      - .offset:         24
        .size:           4
        .value_kind:     hidden_block_count_z
      - .offset:         28
        .size:           2
        .value_kind:     hidden_group_size_x
      - .offset:         30
        .size:           2
        .value_kind:     hidden_group_size_y
      - .offset:         32
        .size:           2
        .value_kind:     hidden_group_size_z
      - .offset:         34
        .size:           2
        .value_kind:     hidden_remainder_x
      - .offset:         36
        .size:           2
        .value_kind:     hidden_remainder_y
      - .offset:         38
        .size:           2
        .value_kind:     hidden_remainder_z
      - .offset:         56
        .size:           8
        .value_kind:     hidden_global_offset_x
      - .offset:         64
        .size:           8
        .value_kind:     hidden_global_offset_y
      - .offset:         72
        .size:           8
        .value_kind:     hidden_global_offset_z
      - .offset:         80
        .size:           2
        .value_kind:     hidden_grid_dims
    .group_segment_fixed_size: 8224
    .kernarg_segment_align: 8
    .kernarg_segment_size: 272
    .language:       OpenCL C
    .language_version:
      - 2
      - 0
    .max_flat_workgroup_size: 512
    .name:           _Z17sort_pairs_kernelI22helper_blocked_stripedxLj512ELj1ELj10EEvPKT0_PS1_
    .private_segment_fixed_size: 0
    .sgpr_count:     44
    .sgpr_spill_count: 0
    .symbol:         _Z17sort_pairs_kernelI22helper_blocked_stripedxLj512ELj1ELj10EEvPKT0_PS1_.kd
    .uniform_work_group_size: 1
    .uses_dynamic_stack: false
    .vgpr_count:     27
    .vgpr_spill_count: 0
    .wavefront_size: 64
  - .args:
      - .address_space:  global
        .offset:         0
        .size:           8
        .value_kind:     global_buffer
      - .address_space:  global
        .offset:         8
        .size:           8
        .value_kind:     global_buffer
      - .offset:         16
        .size:           4
        .value_kind:     hidden_block_count_x
      - .offset:         20
        .size:           4
        .value_kind:     hidden_block_count_y
      - .offset:         24
        .size:           4
        .value_kind:     hidden_block_count_z
      - .offset:         28
        .size:           2
        .value_kind:     hidden_group_size_x
      - .offset:         30
        .size:           2
        .value_kind:     hidden_group_size_y
      - .offset:         32
        .size:           2
        .value_kind:     hidden_group_size_z
      - .offset:         34
        .size:           2
        .value_kind:     hidden_remainder_x
      - .offset:         36
        .size:           2
        .value_kind:     hidden_remainder_y
      - .offset:         38
        .size:           2
        .value_kind:     hidden_remainder_z
      - .offset:         56
        .size:           8
        .value_kind:     hidden_global_offset_x
      - .offset:         64
        .size:           8
        .value_kind:     hidden_global_offset_y
      - .offset:         72
        .size:           8
        .value_kind:     hidden_global_offset_z
      - .offset:         80
        .size:           2
        .value_kind:     hidden_grid_dims
    .group_segment_fixed_size: 12288
    .kernarg_segment_align: 8
    .kernarg_segment_size: 272
    .language:       OpenCL C
    .language_version:
      - 2
      - 0
    .max_flat_workgroup_size: 512
    .name:           _Z16sort_keys_kernelI22helper_blocked_stripedxLj512ELj3ELj10EEvPKT0_PS1_
    .private_segment_fixed_size: 0
    .sgpr_count:     44
    .sgpr_spill_count: 0
    .symbol:         _Z16sort_keys_kernelI22helper_blocked_stripedxLj512ELj3ELj10EEvPKT0_PS1_.kd
    .uniform_work_group_size: 1
    .uses_dynamic_stack: false
    .vgpr_count:     38
    .vgpr_spill_count: 0
    .wavefront_size: 64
  - .args:
      - .address_space:  global
        .offset:         0
        .size:           8
        .value_kind:     global_buffer
      - .address_space:  global
        .offset:         8
        .size:           8
        .value_kind:     global_buffer
      - .offset:         16
        .size:           4
        .value_kind:     hidden_block_count_x
      - .offset:         20
        .size:           4
        .value_kind:     hidden_block_count_y
      - .offset:         24
        .size:           4
        .value_kind:     hidden_block_count_z
      - .offset:         28
        .size:           2
        .value_kind:     hidden_group_size_x
      - .offset:         30
        .size:           2
        .value_kind:     hidden_group_size_y
      - .offset:         32
        .size:           2
        .value_kind:     hidden_group_size_z
      - .offset:         34
        .size:           2
        .value_kind:     hidden_remainder_x
      - .offset:         36
        .size:           2
        .value_kind:     hidden_remainder_y
      - .offset:         38
        .size:           2
        .value_kind:     hidden_remainder_z
      - .offset:         56
        .size:           8
        .value_kind:     hidden_global_offset_x
      - .offset:         64
        .size:           8
        .value_kind:     hidden_global_offset_y
      - .offset:         72
        .size:           8
        .value_kind:     hidden_global_offset_z
      - .offset:         80
        .size:           2
        .value_kind:     hidden_grid_dims
    .group_segment_fixed_size: 12288
    .kernarg_segment_align: 8
    .kernarg_segment_size: 272
    .language:       OpenCL C
    .language_version:
      - 2
      - 0
    .max_flat_workgroup_size: 512
    .name:           _Z17sort_pairs_kernelI22helper_blocked_stripedxLj512ELj3ELj10EEvPKT0_PS1_
    .private_segment_fixed_size: 0
    .sgpr_count:     44
    .sgpr_spill_count: 0
    .symbol:         _Z17sort_pairs_kernelI22helper_blocked_stripedxLj512ELj3ELj10EEvPKT0_PS1_.kd
    .uniform_work_group_size: 1
    .uses_dynamic_stack: false
    .vgpr_count:     45
    .vgpr_spill_count: 0
    .wavefront_size: 64
  - .args:
      - .address_space:  global
        .offset:         0
        .size:           8
        .value_kind:     global_buffer
      - .address_space:  global
        .offset:         8
        .size:           8
        .value_kind:     global_buffer
      - .offset:         16
        .size:           4
        .value_kind:     hidden_block_count_x
      - .offset:         20
        .size:           4
        .value_kind:     hidden_block_count_y
      - .offset:         24
        .size:           4
        .value_kind:     hidden_block_count_z
      - .offset:         28
        .size:           2
        .value_kind:     hidden_group_size_x
      - .offset:         30
        .size:           2
        .value_kind:     hidden_group_size_y
      - .offset:         32
        .size:           2
        .value_kind:     hidden_group_size_z
      - .offset:         34
        .size:           2
        .value_kind:     hidden_remainder_x
      - .offset:         36
        .size:           2
        .value_kind:     hidden_remainder_y
      - .offset:         38
        .size:           2
        .value_kind:     hidden_remainder_z
      - .offset:         56
        .size:           8
        .value_kind:     hidden_global_offset_x
      - .offset:         64
        .size:           8
        .value_kind:     hidden_global_offset_y
      - .offset:         72
        .size:           8
        .value_kind:     hidden_global_offset_z
      - .offset:         80
        .size:           2
        .value_kind:     hidden_grid_dims
    .group_segment_fixed_size: 16384
    .kernarg_segment_align: 8
    .kernarg_segment_size: 272
    .language:       OpenCL C
    .language_version:
      - 2
      - 0
    .max_flat_workgroup_size: 512
    .name:           _Z16sort_keys_kernelI22helper_blocked_stripedxLj512ELj4ELj10EEvPKT0_PS1_
    .private_segment_fixed_size: 0
    .sgpr_count:     52
    .sgpr_spill_count: 0
    .symbol:         _Z16sort_keys_kernelI22helper_blocked_stripedxLj512ELj4ELj10EEvPKT0_PS1_.kd
    .uniform_work_group_size: 1
    .uses_dynamic_stack: false
    .vgpr_count:     45
    .vgpr_spill_count: 0
    .wavefront_size: 64
  - .args:
      - .address_space:  global
        .offset:         0
        .size:           8
        .value_kind:     global_buffer
      - .address_space:  global
        .offset:         8
        .size:           8
        .value_kind:     global_buffer
      - .offset:         16
        .size:           4
        .value_kind:     hidden_block_count_x
      - .offset:         20
        .size:           4
        .value_kind:     hidden_block_count_y
      - .offset:         24
        .size:           4
        .value_kind:     hidden_block_count_z
      - .offset:         28
        .size:           2
        .value_kind:     hidden_group_size_x
      - .offset:         30
        .size:           2
        .value_kind:     hidden_group_size_y
      - .offset:         32
        .size:           2
        .value_kind:     hidden_group_size_z
      - .offset:         34
        .size:           2
        .value_kind:     hidden_remainder_x
      - .offset:         36
        .size:           2
        .value_kind:     hidden_remainder_y
      - .offset:         38
        .size:           2
        .value_kind:     hidden_remainder_z
      - .offset:         56
        .size:           8
        .value_kind:     hidden_global_offset_x
      - .offset:         64
        .size:           8
        .value_kind:     hidden_global_offset_y
      - .offset:         72
        .size:           8
        .value_kind:     hidden_global_offset_z
      - .offset:         80
        .size:           2
        .value_kind:     hidden_grid_dims
    .group_segment_fixed_size: 16384
    .kernarg_segment_align: 8
    .kernarg_segment_size: 272
    .language:       OpenCL C
    .language_version:
      - 2
      - 0
    .max_flat_workgroup_size: 512
    .name:           _Z17sort_pairs_kernelI22helper_blocked_stripedxLj512ELj4ELj10EEvPKT0_PS1_
    .private_segment_fixed_size: 0
    .sgpr_count:     52
    .sgpr_spill_count: 0
    .symbol:         _Z17sort_pairs_kernelI22helper_blocked_stripedxLj512ELj4ELj10EEvPKT0_PS1_.kd
    .uniform_work_group_size: 1
    .uses_dynamic_stack: false
    .vgpr_count:     56
    .vgpr_spill_count: 0
    .wavefront_size: 64
  - .args:
      - .address_space:  global
        .offset:         0
        .size:           8
        .value_kind:     global_buffer
      - .address_space:  global
        .offset:         8
        .size:           8
        .value_kind:     global_buffer
      - .offset:         16
        .size:           4
        .value_kind:     hidden_block_count_x
      - .offset:         20
        .size:           4
        .value_kind:     hidden_block_count_y
      - .offset:         24
        .size:           4
        .value_kind:     hidden_block_count_z
      - .offset:         28
        .size:           2
        .value_kind:     hidden_group_size_x
      - .offset:         30
        .size:           2
        .value_kind:     hidden_group_size_y
      - .offset:         32
        .size:           2
        .value_kind:     hidden_group_size_z
      - .offset:         34
        .size:           2
        .value_kind:     hidden_remainder_x
      - .offset:         36
        .size:           2
        .value_kind:     hidden_remainder_y
      - .offset:         38
        .size:           2
        .value_kind:     hidden_remainder_z
      - .offset:         56
        .size:           8
        .value_kind:     hidden_global_offset_x
      - .offset:         64
        .size:           8
        .value_kind:     hidden_global_offset_y
      - .offset:         72
        .size:           8
        .value_kind:     hidden_global_offset_z
      - .offset:         80
        .size:           2
        .value_kind:     hidden_grid_dims
    .group_segment_fixed_size: 32768
    .kernarg_segment_align: 8
    .kernarg_segment_size: 272
    .language:       OpenCL C
    .language_version:
      - 2
      - 0
    .max_flat_workgroup_size: 512
    .name:           _Z16sort_keys_kernelI22helper_blocked_stripedxLj512ELj8ELj10EEvPKT0_PS1_
    .private_segment_fixed_size: 0
    .sgpr_count:     44
    .sgpr_spill_count: 0
    .symbol:         _Z16sort_keys_kernelI22helper_blocked_stripedxLj512ELj8ELj10EEvPKT0_PS1_.kd
    .uniform_work_group_size: 1
    .uses_dynamic_stack: false
    .vgpr_count:     62
    .vgpr_spill_count: 0
    .wavefront_size: 64
  - .args:
      - .address_space:  global
        .offset:         0
        .size:           8
        .value_kind:     global_buffer
      - .address_space:  global
        .offset:         8
        .size:           8
        .value_kind:     global_buffer
      - .offset:         16
        .size:           4
        .value_kind:     hidden_block_count_x
      - .offset:         20
        .size:           4
        .value_kind:     hidden_block_count_y
      - .offset:         24
        .size:           4
        .value_kind:     hidden_block_count_z
      - .offset:         28
        .size:           2
        .value_kind:     hidden_group_size_x
      - .offset:         30
        .size:           2
        .value_kind:     hidden_group_size_y
      - .offset:         32
        .size:           2
        .value_kind:     hidden_group_size_z
      - .offset:         34
        .size:           2
        .value_kind:     hidden_remainder_x
      - .offset:         36
        .size:           2
        .value_kind:     hidden_remainder_y
      - .offset:         38
        .size:           2
        .value_kind:     hidden_remainder_z
      - .offset:         56
        .size:           8
        .value_kind:     hidden_global_offset_x
      - .offset:         64
        .size:           8
        .value_kind:     hidden_global_offset_y
      - .offset:         72
        .size:           8
        .value_kind:     hidden_global_offset_z
      - .offset:         80
        .size:           2
        .value_kind:     hidden_grid_dims
    .group_segment_fixed_size: 32768
    .kernarg_segment_align: 8
    .kernarg_segment_size: 272
    .language:       OpenCL C
    .language_version:
      - 2
      - 0
    .max_flat_workgroup_size: 512
    .name:           _Z17sort_pairs_kernelI22helper_blocked_stripedxLj512ELj8ELj10EEvPKT0_PS1_
    .private_segment_fixed_size: 0
    .sgpr_count:     46
    .sgpr_spill_count: 0
    .symbol:         _Z17sort_pairs_kernelI22helper_blocked_stripedxLj512ELj8ELj10EEvPKT0_PS1_.kd
    .uniform_work_group_size: 1
    .uses_dynamic_stack: false
    .vgpr_count:     85
    .vgpr_spill_count: 0
    .wavefront_size: 64
  - .args:
      - .address_space:  global
        .offset:         0
        .size:           8
        .value_kind:     global_buffer
      - .address_space:  global
        .offset:         8
        .size:           8
        .value_kind:     global_buffer
      - .offset:         16
        .size:           4
        .value_kind:     hidden_block_count_x
      - .offset:         20
        .size:           4
        .value_kind:     hidden_block_count_y
      - .offset:         24
        .size:           4
        .value_kind:     hidden_block_count_z
      - .offset:         28
        .size:           2
        .value_kind:     hidden_group_size_x
      - .offset:         30
        .size:           2
        .value_kind:     hidden_group_size_y
      - .offset:         32
        .size:           2
        .value_kind:     hidden_group_size_z
      - .offset:         34
        .size:           2
        .value_kind:     hidden_remainder_x
      - .offset:         36
        .size:           2
        .value_kind:     hidden_remainder_y
      - .offset:         38
        .size:           2
        .value_kind:     hidden_remainder_z
      - .offset:         56
        .size:           8
        .value_kind:     hidden_global_offset_x
      - .offset:         64
        .size:           8
        .value_kind:     hidden_global_offset_y
      - .offset:         72
        .size:           8
        .value_kind:     hidden_global_offset_z
      - .offset:         80
        .size:           2
        .value_kind:     hidden_grid_dims
    .group_segment_fixed_size: 1040
    .kernarg_segment_align: 8
    .kernarg_segment_size: 272
    .language:       OpenCL C
    .language_version:
      - 2
      - 0
    .max_flat_workgroup_size: 64
    .name:           _Z16sort_keys_kernelI22helper_blocked_stripedN15benchmark_utils11custom_typeIiiEELj64ELj1ELj10EEvPKT0_PS4_
    .private_segment_fixed_size: 0
    .sgpr_count:     30
    .sgpr_spill_count: 0
    .symbol:         _Z16sort_keys_kernelI22helper_blocked_stripedN15benchmark_utils11custom_typeIiiEELj64ELj1ELj10EEvPKT0_PS4_.kd
    .uniform_work_group_size: 1
    .uses_dynamic_stack: false
    .vgpr_count:     24
    .vgpr_spill_count: 0
    .wavefront_size: 64
  - .args:
      - .address_space:  global
        .offset:         0
        .size:           8
        .value_kind:     global_buffer
      - .address_space:  global
        .offset:         8
        .size:           8
        .value_kind:     global_buffer
      - .offset:         16
        .size:           4
        .value_kind:     hidden_block_count_x
      - .offset:         20
        .size:           4
        .value_kind:     hidden_block_count_y
      - .offset:         24
        .size:           4
        .value_kind:     hidden_block_count_z
      - .offset:         28
        .size:           2
        .value_kind:     hidden_group_size_x
      - .offset:         30
        .size:           2
        .value_kind:     hidden_group_size_y
      - .offset:         32
        .size:           2
        .value_kind:     hidden_group_size_z
      - .offset:         34
        .size:           2
        .value_kind:     hidden_remainder_x
      - .offset:         36
        .size:           2
        .value_kind:     hidden_remainder_y
      - .offset:         38
        .size:           2
        .value_kind:     hidden_remainder_z
      - .offset:         56
        .size:           8
        .value_kind:     hidden_global_offset_x
      - .offset:         64
        .size:           8
        .value_kind:     hidden_global_offset_y
      - .offset:         72
        .size:           8
        .value_kind:     hidden_global_offset_z
      - .offset:         80
        .size:           2
        .value_kind:     hidden_grid_dims
    .group_segment_fixed_size: 1040
    .kernarg_segment_align: 8
    .kernarg_segment_size: 272
    .language:       OpenCL C
    .language_version:
      - 2
      - 0
    .max_flat_workgroup_size: 64
    .name:           _Z17sort_pairs_kernelI22helper_blocked_stripedN15benchmark_utils11custom_typeIiiEELj64ELj1ELj10EEvPKT0_PS4_
    .private_segment_fixed_size: 0
    .sgpr_count:     30
    .sgpr_spill_count: 0
    .symbol:         _Z17sort_pairs_kernelI22helper_blocked_stripedN15benchmark_utils11custom_typeIiiEELj64ELj1ELj10EEvPKT0_PS4_.kd
    .uniform_work_group_size: 1
    .uses_dynamic_stack: false
    .vgpr_count:     26
    .vgpr_spill_count: 0
    .wavefront_size: 64
  - .args:
      - .address_space:  global
        .offset:         0
        .size:           8
        .value_kind:     global_buffer
      - .address_space:  global
        .offset:         8
        .size:           8
        .value_kind:     global_buffer
      - .offset:         16
        .size:           4
        .value_kind:     hidden_block_count_x
      - .offset:         20
        .size:           4
        .value_kind:     hidden_block_count_y
      - .offset:         24
        .size:           4
        .value_kind:     hidden_block_count_z
      - .offset:         28
        .size:           2
        .value_kind:     hidden_group_size_x
      - .offset:         30
        .size:           2
        .value_kind:     hidden_group_size_y
      - .offset:         32
        .size:           2
        .value_kind:     hidden_group_size_z
      - .offset:         34
        .size:           2
        .value_kind:     hidden_remainder_x
      - .offset:         36
        .size:           2
        .value_kind:     hidden_remainder_y
      - .offset:         38
        .size:           2
        .value_kind:     hidden_remainder_z
      - .offset:         56
        .size:           8
        .value_kind:     hidden_global_offset_x
      - .offset:         64
        .size:           8
        .value_kind:     hidden_global_offset_y
      - .offset:         72
        .size:           8
        .value_kind:     hidden_global_offset_z
      - .offset:         80
        .size:           2
        .value_kind:     hidden_grid_dims
    .group_segment_fixed_size: 1536
    .kernarg_segment_align: 8
    .kernarg_segment_size: 272
    .language:       OpenCL C
    .language_version:
      - 2
      - 0
    .max_flat_workgroup_size: 64
    .name:           _Z16sort_keys_kernelI22helper_blocked_stripedN15benchmark_utils11custom_typeIiiEELj64ELj3ELj10EEvPKT0_PS4_
    .private_segment_fixed_size: 0
    .sgpr_count:     39
    .sgpr_spill_count: 0
    .symbol:         _Z16sort_keys_kernelI22helper_blocked_stripedN15benchmark_utils11custom_typeIiiEELj64ELj3ELj10EEvPKT0_PS4_.kd
    .uniform_work_group_size: 1
    .uses_dynamic_stack: false
    .vgpr_count:     27
    .vgpr_spill_count: 0
    .wavefront_size: 64
  - .args:
      - .address_space:  global
        .offset:         0
        .size:           8
        .value_kind:     global_buffer
      - .address_space:  global
        .offset:         8
        .size:           8
        .value_kind:     global_buffer
      - .offset:         16
        .size:           4
        .value_kind:     hidden_block_count_x
      - .offset:         20
        .size:           4
        .value_kind:     hidden_block_count_y
      - .offset:         24
        .size:           4
        .value_kind:     hidden_block_count_z
      - .offset:         28
        .size:           2
        .value_kind:     hidden_group_size_x
      - .offset:         30
        .size:           2
        .value_kind:     hidden_group_size_y
      - .offset:         32
        .size:           2
        .value_kind:     hidden_group_size_z
      - .offset:         34
        .size:           2
        .value_kind:     hidden_remainder_x
      - .offset:         36
        .size:           2
        .value_kind:     hidden_remainder_y
      - .offset:         38
        .size:           2
        .value_kind:     hidden_remainder_z
      - .offset:         56
        .size:           8
        .value_kind:     hidden_global_offset_x
      - .offset:         64
        .size:           8
        .value_kind:     hidden_global_offset_y
      - .offset:         72
        .size:           8
        .value_kind:     hidden_global_offset_z
      - .offset:         80
        .size:           2
        .value_kind:     hidden_grid_dims
    .group_segment_fixed_size: 1536
    .kernarg_segment_align: 8
    .kernarg_segment_size: 272
    .language:       OpenCL C
    .language_version:
      - 2
      - 0
    .max_flat_workgroup_size: 64
    .name:           _Z17sort_pairs_kernelI22helper_blocked_stripedN15benchmark_utils11custom_typeIiiEELj64ELj3ELj10EEvPKT0_PS4_
    .private_segment_fixed_size: 0
    .sgpr_count:     39
    .sgpr_spill_count: 0
    .symbol:         _Z17sort_pairs_kernelI22helper_blocked_stripedN15benchmark_utils11custom_typeIiiEELj64ELj3ELj10EEvPKT0_PS4_.kd
    .uniform_work_group_size: 1
    .uses_dynamic_stack: false
    .vgpr_count:     35
    .vgpr_spill_count: 0
    .wavefront_size: 64
  - .args:
      - .address_space:  global
        .offset:         0
        .size:           8
        .value_kind:     global_buffer
      - .address_space:  global
        .offset:         8
        .size:           8
        .value_kind:     global_buffer
      - .offset:         16
        .size:           4
        .value_kind:     hidden_block_count_x
      - .offset:         20
        .size:           4
        .value_kind:     hidden_block_count_y
      - .offset:         24
        .size:           4
        .value_kind:     hidden_block_count_z
      - .offset:         28
        .size:           2
        .value_kind:     hidden_group_size_x
      - .offset:         30
        .size:           2
        .value_kind:     hidden_group_size_y
      - .offset:         32
        .size:           2
        .value_kind:     hidden_group_size_z
      - .offset:         34
        .size:           2
        .value_kind:     hidden_remainder_x
      - .offset:         36
        .size:           2
        .value_kind:     hidden_remainder_y
      - .offset:         38
        .size:           2
        .value_kind:     hidden_remainder_z
      - .offset:         56
        .size:           8
        .value_kind:     hidden_global_offset_x
      - .offset:         64
        .size:           8
        .value_kind:     hidden_global_offset_y
      - .offset:         72
        .size:           8
        .value_kind:     hidden_global_offset_z
      - .offset:         80
        .size:           2
        .value_kind:     hidden_grid_dims
    .group_segment_fixed_size: 2048
    .kernarg_segment_align: 8
    .kernarg_segment_size: 272
    .language:       OpenCL C
    .language_version:
      - 2
      - 0
    .max_flat_workgroup_size: 64
    .name:           _Z16sort_keys_kernelI22helper_blocked_stripedN15benchmark_utils11custom_typeIiiEELj64ELj4ELj10EEvPKT0_PS4_
    .private_segment_fixed_size: 0
    .sgpr_count:     47
    .sgpr_spill_count: 0
    .symbol:         _Z16sort_keys_kernelI22helper_blocked_stripedN15benchmark_utils11custom_typeIiiEELj64ELj4ELj10EEvPKT0_PS4_.kd
    .uniform_work_group_size: 1
    .uses_dynamic_stack: false
    .vgpr_count:     35
    .vgpr_spill_count: 0
    .wavefront_size: 64
  - .args:
      - .address_space:  global
        .offset:         0
        .size:           8
        .value_kind:     global_buffer
      - .address_space:  global
        .offset:         8
        .size:           8
        .value_kind:     global_buffer
      - .offset:         16
        .size:           4
        .value_kind:     hidden_block_count_x
      - .offset:         20
        .size:           4
        .value_kind:     hidden_block_count_y
      - .offset:         24
        .size:           4
        .value_kind:     hidden_block_count_z
      - .offset:         28
        .size:           2
        .value_kind:     hidden_group_size_x
      - .offset:         30
        .size:           2
        .value_kind:     hidden_group_size_y
      - .offset:         32
        .size:           2
        .value_kind:     hidden_group_size_z
      - .offset:         34
        .size:           2
        .value_kind:     hidden_remainder_x
      - .offset:         36
        .size:           2
        .value_kind:     hidden_remainder_y
      - .offset:         38
        .size:           2
        .value_kind:     hidden_remainder_z
      - .offset:         56
        .size:           8
        .value_kind:     hidden_global_offset_x
      - .offset:         64
        .size:           8
        .value_kind:     hidden_global_offset_y
      - .offset:         72
        .size:           8
        .value_kind:     hidden_global_offset_z
      - .offset:         80
        .size:           2
        .value_kind:     hidden_grid_dims
    .group_segment_fixed_size: 2048
    .kernarg_segment_align: 8
    .kernarg_segment_size: 272
    .language:       OpenCL C
    .language_version:
      - 2
      - 0
    .max_flat_workgroup_size: 64
    .name:           _Z17sort_pairs_kernelI22helper_blocked_stripedN15benchmark_utils11custom_typeIiiEELj64ELj4ELj10EEvPKT0_PS4_
    .private_segment_fixed_size: 0
    .sgpr_count:     47
    .sgpr_spill_count: 0
    .symbol:         _Z17sort_pairs_kernelI22helper_blocked_stripedN15benchmark_utils11custom_typeIiiEELj64ELj4ELj10EEvPKT0_PS4_.kd
    .uniform_work_group_size: 1
    .uses_dynamic_stack: false
    .vgpr_count:     61
    .vgpr_spill_count: 0
    .wavefront_size: 64
  - .args:
      - .address_space:  global
        .offset:         0
        .size:           8
        .value_kind:     global_buffer
      - .address_space:  global
        .offset:         8
        .size:           8
        .value_kind:     global_buffer
      - .offset:         16
        .size:           4
        .value_kind:     hidden_block_count_x
      - .offset:         20
        .size:           4
        .value_kind:     hidden_block_count_y
      - .offset:         24
        .size:           4
        .value_kind:     hidden_block_count_z
      - .offset:         28
        .size:           2
        .value_kind:     hidden_group_size_x
      - .offset:         30
        .size:           2
        .value_kind:     hidden_group_size_y
      - .offset:         32
        .size:           2
        .value_kind:     hidden_group_size_z
      - .offset:         34
        .size:           2
        .value_kind:     hidden_remainder_x
      - .offset:         36
        .size:           2
        .value_kind:     hidden_remainder_y
      - .offset:         38
        .size:           2
        .value_kind:     hidden_remainder_z
      - .offset:         56
        .size:           8
        .value_kind:     hidden_global_offset_x
      - .offset:         64
        .size:           8
        .value_kind:     hidden_global_offset_y
      - .offset:         72
        .size:           8
        .value_kind:     hidden_global_offset_z
      - .offset:         80
        .size:           2
        .value_kind:     hidden_grid_dims
    .group_segment_fixed_size: 4096
    .kernarg_segment_align: 8
    .kernarg_segment_size: 272
    .language:       OpenCL C
    .language_version:
      - 2
      - 0
    .max_flat_workgroup_size: 64
    .name:           _Z16sort_keys_kernelI22helper_blocked_stripedN15benchmark_utils11custom_typeIiiEELj64ELj8ELj10EEvPKT0_PS4_
    .private_segment_fixed_size: 0
    .sgpr_count:     39
    .sgpr_spill_count: 0
    .symbol:         _Z16sort_keys_kernelI22helper_blocked_stripedN15benchmark_utils11custom_typeIiiEELj64ELj8ELj10EEvPKT0_PS4_.kd
    .uniform_work_group_size: 1
    .uses_dynamic_stack: false
    .vgpr_count:     52
    .vgpr_spill_count: 0
    .wavefront_size: 64
  - .args:
      - .address_space:  global
        .offset:         0
        .size:           8
        .value_kind:     global_buffer
      - .address_space:  global
        .offset:         8
        .size:           8
        .value_kind:     global_buffer
      - .offset:         16
        .size:           4
        .value_kind:     hidden_block_count_x
      - .offset:         20
        .size:           4
        .value_kind:     hidden_block_count_y
      - .offset:         24
        .size:           4
        .value_kind:     hidden_block_count_z
      - .offset:         28
        .size:           2
        .value_kind:     hidden_group_size_x
      - .offset:         30
        .size:           2
        .value_kind:     hidden_group_size_y
      - .offset:         32
        .size:           2
        .value_kind:     hidden_group_size_z
      - .offset:         34
        .size:           2
        .value_kind:     hidden_remainder_x
      - .offset:         36
        .size:           2
        .value_kind:     hidden_remainder_y
      - .offset:         38
        .size:           2
        .value_kind:     hidden_remainder_z
      - .offset:         56
        .size:           8
        .value_kind:     hidden_global_offset_x
      - .offset:         64
        .size:           8
        .value_kind:     hidden_global_offset_y
      - .offset:         72
        .size:           8
        .value_kind:     hidden_global_offset_z
      - .offset:         80
        .size:           2
        .value_kind:     hidden_grid_dims
    .group_segment_fixed_size: 4096
    .kernarg_segment_align: 8
    .kernarg_segment_size: 272
    .language:       OpenCL C
    .language_version:
      - 2
      - 0
    .max_flat_workgroup_size: 64
    .name:           _Z17sort_pairs_kernelI22helper_blocked_stripedN15benchmark_utils11custom_typeIiiEELj64ELj8ELj10EEvPKT0_PS4_
    .private_segment_fixed_size: 0
    .sgpr_count:     39
    .sgpr_spill_count: 0
    .symbol:         _Z17sort_pairs_kernelI22helper_blocked_stripedN15benchmark_utils11custom_typeIiiEELj64ELj8ELj10EEvPKT0_PS4_.kd
    .uniform_work_group_size: 1
    .uses_dynamic_stack: false
    .vgpr_count:     80
    .vgpr_spill_count: 0
    .wavefront_size: 64
  - .args:
      - .address_space:  global
        .offset:         0
        .size:           8
        .value_kind:     global_buffer
      - .address_space:  global
        .offset:         8
        .size:           8
        .value_kind:     global_buffer
      - .offset:         16
        .size:           4
        .value_kind:     hidden_block_count_x
      - .offset:         20
        .size:           4
        .value_kind:     hidden_block_count_y
      - .offset:         24
        .size:           4
        .value_kind:     hidden_block_count_z
      - .offset:         28
        .size:           2
        .value_kind:     hidden_group_size_x
      - .offset:         30
        .size:           2
        .value_kind:     hidden_group_size_y
      - .offset:         32
        .size:           2
        .value_kind:     hidden_group_size_z
      - .offset:         34
        .size:           2
        .value_kind:     hidden_remainder_x
      - .offset:         36
        .size:           2
        .value_kind:     hidden_remainder_y
      - .offset:         38
        .size:           2
        .value_kind:     hidden_remainder_z
      - .offset:         56
        .size:           8
        .value_kind:     hidden_global_offset_x
      - .offset:         64
        .size:           8
        .value_kind:     hidden_global_offset_y
      - .offset:         72
        .size:           8
        .value_kind:     hidden_global_offset_z
      - .offset:         80
        .size:           2
        .value_kind:     hidden_grid_dims
    .group_segment_fixed_size: 2064
    .kernarg_segment_align: 8
    .kernarg_segment_size: 272
    .language:       OpenCL C
    .language_version:
      - 2
      - 0
    .max_flat_workgroup_size: 128
    .name:           _Z16sort_keys_kernelI22helper_blocked_stripedN15benchmark_utils11custom_typeIiiEELj128ELj1ELj10EEvPKT0_PS4_
    .private_segment_fixed_size: 0
    .sgpr_count:     41
    .sgpr_spill_count: 0
    .symbol:         _Z16sort_keys_kernelI22helper_blocked_stripedN15benchmark_utils11custom_typeIiiEELj128ELj1ELj10EEvPKT0_PS4_.kd
    .uniform_work_group_size: 1
    .uses_dynamic_stack: false
    .vgpr_count:     33
    .vgpr_spill_count: 0
    .wavefront_size: 64
  - .args:
      - .address_space:  global
        .offset:         0
        .size:           8
        .value_kind:     global_buffer
      - .address_space:  global
        .offset:         8
        .size:           8
        .value_kind:     global_buffer
      - .offset:         16
        .size:           4
        .value_kind:     hidden_block_count_x
      - .offset:         20
        .size:           4
        .value_kind:     hidden_block_count_y
      - .offset:         24
        .size:           4
        .value_kind:     hidden_block_count_z
      - .offset:         28
        .size:           2
        .value_kind:     hidden_group_size_x
      - .offset:         30
        .size:           2
        .value_kind:     hidden_group_size_y
      - .offset:         32
        .size:           2
        .value_kind:     hidden_group_size_z
      - .offset:         34
        .size:           2
        .value_kind:     hidden_remainder_x
      - .offset:         36
        .size:           2
        .value_kind:     hidden_remainder_y
      - .offset:         38
        .size:           2
        .value_kind:     hidden_remainder_z
      - .offset:         56
        .size:           8
        .value_kind:     hidden_global_offset_x
      - .offset:         64
        .size:           8
        .value_kind:     hidden_global_offset_y
      - .offset:         72
        .size:           8
        .value_kind:     hidden_global_offset_z
      - .offset:         80
        .size:           2
        .value_kind:     hidden_grid_dims
    .group_segment_fixed_size: 2064
    .kernarg_segment_align: 8
    .kernarg_segment_size: 272
    .language:       OpenCL C
    .language_version:
      - 2
      - 0
    .max_flat_workgroup_size: 128
    .name:           _Z17sort_pairs_kernelI22helper_blocked_stripedN15benchmark_utils11custom_typeIiiEELj128ELj1ELj10EEvPKT0_PS4_
    .private_segment_fixed_size: 0
    .sgpr_count:     47
    .sgpr_spill_count: 0
    .symbol:         _Z17sort_pairs_kernelI22helper_blocked_stripedN15benchmark_utils11custom_typeIiiEELj128ELj1ELj10EEvPKT0_PS4_.kd
    .uniform_work_group_size: 1
    .uses_dynamic_stack: false
    .vgpr_count:     31
    .vgpr_spill_count: 0
    .wavefront_size: 64
  - .args:
      - .address_space:  global
        .offset:         0
        .size:           8
        .value_kind:     global_buffer
      - .address_space:  global
        .offset:         8
        .size:           8
        .value_kind:     global_buffer
      - .offset:         16
        .size:           4
        .value_kind:     hidden_block_count_x
      - .offset:         20
        .size:           4
        .value_kind:     hidden_block_count_y
      - .offset:         24
        .size:           4
        .value_kind:     hidden_block_count_z
      - .offset:         28
        .size:           2
        .value_kind:     hidden_group_size_x
      - .offset:         30
        .size:           2
        .value_kind:     hidden_group_size_y
      - .offset:         32
        .size:           2
        .value_kind:     hidden_group_size_z
      - .offset:         34
        .size:           2
        .value_kind:     hidden_remainder_x
      - .offset:         36
        .size:           2
        .value_kind:     hidden_remainder_y
      - .offset:         38
        .size:           2
        .value_kind:     hidden_remainder_z
      - .offset:         56
        .size:           8
        .value_kind:     hidden_global_offset_x
      - .offset:         64
        .size:           8
        .value_kind:     hidden_global_offset_y
      - .offset:         72
        .size:           8
        .value_kind:     hidden_global_offset_z
      - .offset:         80
        .size:           2
        .value_kind:     hidden_grid_dims
    .group_segment_fixed_size: 3072
    .kernarg_segment_align: 8
    .kernarg_segment_size: 272
    .language:       OpenCL C
    .language_version:
      - 2
      - 0
    .max_flat_workgroup_size: 128
    .name:           _Z16sort_keys_kernelI22helper_blocked_stripedN15benchmark_utils11custom_typeIiiEELj128ELj3ELj10EEvPKT0_PS4_
    .private_segment_fixed_size: 0
    .sgpr_count:     51
    .sgpr_spill_count: 0
    .symbol:         _Z16sort_keys_kernelI22helper_blocked_stripedN15benchmark_utils11custom_typeIiiEELj128ELj3ELj10EEvPKT0_PS4_.kd
    .uniform_work_group_size: 1
    .uses_dynamic_stack: false
    .vgpr_count:     31
    .vgpr_spill_count: 0
    .wavefront_size: 64
  - .args:
      - .address_space:  global
        .offset:         0
        .size:           8
        .value_kind:     global_buffer
      - .address_space:  global
        .offset:         8
        .size:           8
        .value_kind:     global_buffer
      - .offset:         16
        .size:           4
        .value_kind:     hidden_block_count_x
      - .offset:         20
        .size:           4
        .value_kind:     hidden_block_count_y
      - .offset:         24
        .size:           4
        .value_kind:     hidden_block_count_z
      - .offset:         28
        .size:           2
        .value_kind:     hidden_group_size_x
      - .offset:         30
        .size:           2
        .value_kind:     hidden_group_size_y
      - .offset:         32
        .size:           2
        .value_kind:     hidden_group_size_z
      - .offset:         34
        .size:           2
        .value_kind:     hidden_remainder_x
      - .offset:         36
        .size:           2
        .value_kind:     hidden_remainder_y
      - .offset:         38
        .size:           2
        .value_kind:     hidden_remainder_z
      - .offset:         56
        .size:           8
        .value_kind:     hidden_global_offset_x
      - .offset:         64
        .size:           8
        .value_kind:     hidden_global_offset_y
      - .offset:         72
        .size:           8
        .value_kind:     hidden_global_offset_z
      - .offset:         80
        .size:           2
        .value_kind:     hidden_grid_dims
    .group_segment_fixed_size: 3072
    .kernarg_segment_align: 8
    .kernarg_segment_size: 272
    .language:       OpenCL C
    .language_version:
      - 2
      - 0
    .max_flat_workgroup_size: 128
    .name:           _Z17sort_pairs_kernelI22helper_blocked_stripedN15benchmark_utils11custom_typeIiiEELj128ELj3ELj10EEvPKT0_PS4_
    .private_segment_fixed_size: 0
    .sgpr_count:     51
    .sgpr_spill_count: 0
    .symbol:         _Z17sort_pairs_kernelI22helper_blocked_stripedN15benchmark_utils11custom_typeIiiEELj128ELj3ELj10EEvPKT0_PS4_.kd
    .uniform_work_group_size: 1
    .uses_dynamic_stack: false
    .vgpr_count:     39
    .vgpr_spill_count: 0
    .wavefront_size: 64
  - .args:
      - .address_space:  global
        .offset:         0
        .size:           8
        .value_kind:     global_buffer
      - .address_space:  global
        .offset:         8
        .size:           8
        .value_kind:     global_buffer
      - .offset:         16
        .size:           4
        .value_kind:     hidden_block_count_x
      - .offset:         20
        .size:           4
        .value_kind:     hidden_block_count_y
      - .offset:         24
        .size:           4
        .value_kind:     hidden_block_count_z
      - .offset:         28
        .size:           2
        .value_kind:     hidden_group_size_x
      - .offset:         30
        .size:           2
        .value_kind:     hidden_group_size_y
      - .offset:         32
        .size:           2
        .value_kind:     hidden_group_size_z
      - .offset:         34
        .size:           2
        .value_kind:     hidden_remainder_x
      - .offset:         36
        .size:           2
        .value_kind:     hidden_remainder_y
      - .offset:         38
        .size:           2
        .value_kind:     hidden_remainder_z
      - .offset:         56
        .size:           8
        .value_kind:     hidden_global_offset_x
      - .offset:         64
        .size:           8
        .value_kind:     hidden_global_offset_y
      - .offset:         72
        .size:           8
        .value_kind:     hidden_global_offset_z
      - .offset:         80
        .size:           2
        .value_kind:     hidden_grid_dims
    .group_segment_fixed_size: 4096
    .kernarg_segment_align: 8
    .kernarg_segment_size: 272
    .language:       OpenCL C
    .language_version:
      - 2
      - 0
    .max_flat_workgroup_size: 128
    .name:           _Z16sort_keys_kernelI22helper_blocked_stripedN15benchmark_utils11custom_typeIiiEELj128ELj4ELj10EEvPKT0_PS4_
    .private_segment_fixed_size: 0
    .sgpr_count:     59
    .sgpr_spill_count: 0
    .symbol:         _Z16sort_keys_kernelI22helper_blocked_stripedN15benchmark_utils11custom_typeIiiEELj128ELj4ELj10EEvPKT0_PS4_.kd
    .uniform_work_group_size: 1
    .uses_dynamic_stack: false
    .vgpr_count:     39
    .vgpr_spill_count: 0
    .wavefront_size: 64
  - .args:
      - .address_space:  global
        .offset:         0
        .size:           8
        .value_kind:     global_buffer
      - .address_space:  global
        .offset:         8
        .size:           8
        .value_kind:     global_buffer
      - .offset:         16
        .size:           4
        .value_kind:     hidden_block_count_x
      - .offset:         20
        .size:           4
        .value_kind:     hidden_block_count_y
      - .offset:         24
        .size:           4
        .value_kind:     hidden_block_count_z
      - .offset:         28
        .size:           2
        .value_kind:     hidden_group_size_x
      - .offset:         30
        .size:           2
        .value_kind:     hidden_group_size_y
      - .offset:         32
        .size:           2
        .value_kind:     hidden_group_size_z
      - .offset:         34
        .size:           2
        .value_kind:     hidden_remainder_x
      - .offset:         36
        .size:           2
        .value_kind:     hidden_remainder_y
      - .offset:         38
        .size:           2
        .value_kind:     hidden_remainder_z
      - .offset:         56
        .size:           8
        .value_kind:     hidden_global_offset_x
      - .offset:         64
        .size:           8
        .value_kind:     hidden_global_offset_y
      - .offset:         72
        .size:           8
        .value_kind:     hidden_global_offset_z
      - .offset:         80
        .size:           2
        .value_kind:     hidden_grid_dims
    .group_segment_fixed_size: 4096
    .kernarg_segment_align: 8
    .kernarg_segment_size: 272
    .language:       OpenCL C
    .language_version:
      - 2
      - 0
    .max_flat_workgroup_size: 128
    .name:           _Z17sort_pairs_kernelI22helper_blocked_stripedN15benchmark_utils11custom_typeIiiEELj128ELj4ELj10EEvPKT0_PS4_
    .private_segment_fixed_size: 0
    .sgpr_count:     59
    .sgpr_spill_count: 0
    .symbol:         _Z17sort_pairs_kernelI22helper_blocked_stripedN15benchmark_utils11custom_typeIiiEELj128ELj4ELj10EEvPKT0_PS4_.kd
    .uniform_work_group_size: 1
    .uses_dynamic_stack: false
    .vgpr_count:     62
    .vgpr_spill_count: 0
    .wavefront_size: 64
  - .args:
      - .address_space:  global
        .offset:         0
        .size:           8
        .value_kind:     global_buffer
      - .address_space:  global
        .offset:         8
        .size:           8
        .value_kind:     global_buffer
      - .offset:         16
        .size:           4
        .value_kind:     hidden_block_count_x
      - .offset:         20
        .size:           4
        .value_kind:     hidden_block_count_y
      - .offset:         24
        .size:           4
        .value_kind:     hidden_block_count_z
      - .offset:         28
        .size:           2
        .value_kind:     hidden_group_size_x
      - .offset:         30
        .size:           2
        .value_kind:     hidden_group_size_y
      - .offset:         32
        .size:           2
        .value_kind:     hidden_group_size_z
      - .offset:         34
        .size:           2
        .value_kind:     hidden_remainder_x
      - .offset:         36
        .size:           2
        .value_kind:     hidden_remainder_y
      - .offset:         38
        .size:           2
        .value_kind:     hidden_remainder_z
      - .offset:         56
        .size:           8
        .value_kind:     hidden_global_offset_x
      - .offset:         64
        .size:           8
        .value_kind:     hidden_global_offset_y
      - .offset:         72
        .size:           8
        .value_kind:     hidden_global_offset_z
      - .offset:         80
        .size:           2
        .value_kind:     hidden_grid_dims
    .group_segment_fixed_size: 8192
    .kernarg_segment_align: 8
    .kernarg_segment_size: 272
    .language:       OpenCL C
    .language_version:
      - 2
      - 0
    .max_flat_workgroup_size: 128
    .name:           _Z16sort_keys_kernelI22helper_blocked_stripedN15benchmark_utils11custom_typeIiiEELj128ELj8ELj10EEvPKT0_PS4_
    .private_segment_fixed_size: 0
    .sgpr_count:     47
    .sgpr_spill_count: 0
    .symbol:         _Z16sort_keys_kernelI22helper_blocked_stripedN15benchmark_utils11custom_typeIiiEELj128ELj8ELj10EEvPKT0_PS4_.kd
    .uniform_work_group_size: 1
    .uses_dynamic_stack: false
    .vgpr_count:     60
    .vgpr_spill_count: 0
    .wavefront_size: 64
  - .args:
      - .address_space:  global
        .offset:         0
        .size:           8
        .value_kind:     global_buffer
      - .address_space:  global
        .offset:         8
        .size:           8
        .value_kind:     global_buffer
      - .offset:         16
        .size:           4
        .value_kind:     hidden_block_count_x
      - .offset:         20
        .size:           4
        .value_kind:     hidden_block_count_y
      - .offset:         24
        .size:           4
        .value_kind:     hidden_block_count_z
      - .offset:         28
        .size:           2
        .value_kind:     hidden_group_size_x
      - .offset:         30
        .size:           2
        .value_kind:     hidden_group_size_y
      - .offset:         32
        .size:           2
        .value_kind:     hidden_group_size_z
      - .offset:         34
        .size:           2
        .value_kind:     hidden_remainder_x
      - .offset:         36
        .size:           2
        .value_kind:     hidden_remainder_y
      - .offset:         38
        .size:           2
        .value_kind:     hidden_remainder_z
      - .offset:         56
        .size:           8
        .value_kind:     hidden_global_offset_x
      - .offset:         64
        .size:           8
        .value_kind:     hidden_global_offset_y
      - .offset:         72
        .size:           8
        .value_kind:     hidden_global_offset_z
      - .offset:         80
        .size:           2
        .value_kind:     hidden_grid_dims
    .group_segment_fixed_size: 8192
    .kernarg_segment_align: 8
    .kernarg_segment_size: 272
    .language:       OpenCL C
    .language_version:
      - 2
      - 0
    .max_flat_workgroup_size: 128
    .name:           _Z17sort_pairs_kernelI22helper_blocked_stripedN15benchmark_utils11custom_typeIiiEELj128ELj8ELj10EEvPKT0_PS4_
    .private_segment_fixed_size: 0
    .sgpr_count:     51
    .sgpr_spill_count: 0
    .symbol:         _Z17sort_pairs_kernelI22helper_blocked_stripedN15benchmark_utils11custom_typeIiiEELj128ELj8ELj10EEvPKT0_PS4_.kd
    .uniform_work_group_size: 1
    .uses_dynamic_stack: false
    .vgpr_count:     83
    .vgpr_spill_count: 0
    .wavefront_size: 64
  - .args:
      - .address_space:  global
        .offset:         0
        .size:           8
        .value_kind:     global_buffer
      - .address_space:  global
        .offset:         8
        .size:           8
        .value_kind:     global_buffer
      - .offset:         16
        .size:           4
        .value_kind:     hidden_block_count_x
      - .offset:         20
        .size:           4
        .value_kind:     hidden_block_count_y
      - .offset:         24
        .size:           4
        .value_kind:     hidden_block_count_z
      - .offset:         28
        .size:           2
        .value_kind:     hidden_group_size_x
      - .offset:         30
        .size:           2
        .value_kind:     hidden_group_size_y
      - .offset:         32
        .size:           2
        .value_kind:     hidden_group_size_z
      - .offset:         34
        .size:           2
        .value_kind:     hidden_remainder_x
      - .offset:         36
        .size:           2
        .value_kind:     hidden_remainder_y
      - .offset:         38
        .size:           2
        .value_kind:     hidden_remainder_z
      - .offset:         56
        .size:           8
        .value_kind:     hidden_global_offset_x
      - .offset:         64
        .size:           8
        .value_kind:     hidden_global_offset_y
      - .offset:         72
        .size:           8
        .value_kind:     hidden_global_offset_z
      - .offset:         80
        .size:           2
        .value_kind:     hidden_grid_dims
    .group_segment_fixed_size: 3088
    .kernarg_segment_align: 8
    .kernarg_segment_size: 272
    .language:       OpenCL C
    .language_version:
      - 2
      - 0
    .max_flat_workgroup_size: 192
    .name:           _Z16sort_keys_kernelI22helper_blocked_stripedN15benchmark_utils11custom_typeIiiEELj192ELj1ELj10EEvPKT0_PS4_
    .private_segment_fixed_size: 0
    .sgpr_count:     40
    .sgpr_spill_count: 0
    .symbol:         _Z16sort_keys_kernelI22helper_blocked_stripedN15benchmark_utils11custom_typeIiiEELj192ELj1ELj10EEvPKT0_PS4_.kd
    .uniform_work_group_size: 1
    .uses_dynamic_stack: false
    .vgpr_count:     29
    .vgpr_spill_count: 0
    .wavefront_size: 64
  - .args:
      - .address_space:  global
        .offset:         0
        .size:           8
        .value_kind:     global_buffer
      - .address_space:  global
        .offset:         8
        .size:           8
        .value_kind:     global_buffer
      - .offset:         16
        .size:           4
        .value_kind:     hidden_block_count_x
      - .offset:         20
        .size:           4
        .value_kind:     hidden_block_count_y
      - .offset:         24
        .size:           4
        .value_kind:     hidden_block_count_z
      - .offset:         28
        .size:           2
        .value_kind:     hidden_group_size_x
      - .offset:         30
        .size:           2
        .value_kind:     hidden_group_size_y
      - .offset:         32
        .size:           2
        .value_kind:     hidden_group_size_z
      - .offset:         34
        .size:           2
        .value_kind:     hidden_remainder_x
      - .offset:         36
        .size:           2
        .value_kind:     hidden_remainder_y
      - .offset:         38
        .size:           2
        .value_kind:     hidden_remainder_z
      - .offset:         56
        .size:           8
        .value_kind:     hidden_global_offset_x
      - .offset:         64
        .size:           8
        .value_kind:     hidden_global_offset_y
      - .offset:         72
        .size:           8
        .value_kind:     hidden_global_offset_z
      - .offset:         80
        .size:           2
        .value_kind:     hidden_grid_dims
    .group_segment_fixed_size: 3088
    .kernarg_segment_align: 8
    .kernarg_segment_size: 272
    .language:       OpenCL C
    .language_version:
      - 2
      - 0
    .max_flat_workgroup_size: 192
    .name:           _Z17sort_pairs_kernelI22helper_blocked_stripedN15benchmark_utils11custom_typeIiiEELj192ELj1ELj10EEvPKT0_PS4_
    .private_segment_fixed_size: 0
    .sgpr_count:     45
    .sgpr_spill_count: 0
    .symbol:         _Z17sort_pairs_kernelI22helper_blocked_stripedN15benchmark_utils11custom_typeIiiEELj192ELj1ELj10EEvPKT0_PS4_.kd
    .uniform_work_group_size: 1
    .uses_dynamic_stack: false
    .vgpr_count:     27
    .vgpr_spill_count: 0
    .wavefront_size: 64
  - .args:
      - .address_space:  global
        .offset:         0
        .size:           8
        .value_kind:     global_buffer
      - .address_space:  global
        .offset:         8
        .size:           8
        .value_kind:     global_buffer
      - .offset:         16
        .size:           4
        .value_kind:     hidden_block_count_x
      - .offset:         20
        .size:           4
        .value_kind:     hidden_block_count_y
      - .offset:         24
        .size:           4
        .value_kind:     hidden_block_count_z
      - .offset:         28
        .size:           2
        .value_kind:     hidden_group_size_x
      - .offset:         30
        .size:           2
        .value_kind:     hidden_group_size_y
      - .offset:         32
        .size:           2
        .value_kind:     hidden_group_size_z
      - .offset:         34
        .size:           2
        .value_kind:     hidden_remainder_x
      - .offset:         36
        .size:           2
        .value_kind:     hidden_remainder_y
      - .offset:         38
        .size:           2
        .value_kind:     hidden_remainder_z
      - .offset:         56
        .size:           8
        .value_kind:     hidden_global_offset_x
      - .offset:         64
        .size:           8
        .value_kind:     hidden_global_offset_y
      - .offset:         72
        .size:           8
        .value_kind:     hidden_global_offset_z
      - .offset:         80
        .size:           2
        .value_kind:     hidden_grid_dims
    .group_segment_fixed_size: 4608
    .kernarg_segment_align: 8
    .kernarg_segment_size: 272
    .language:       OpenCL C
    .language_version:
      - 2
      - 0
    .max_flat_workgroup_size: 192
    .name:           _Z16sort_keys_kernelI22helper_blocked_stripedN15benchmark_utils11custom_typeIiiEELj192ELj3ELj10EEvPKT0_PS4_
    .private_segment_fixed_size: 0
    .sgpr_count:     49
    .sgpr_spill_count: 0
    .symbol:         _Z16sort_keys_kernelI22helper_blocked_stripedN15benchmark_utils11custom_typeIiiEELj192ELj3ELj10EEvPKT0_PS4_.kd
    .uniform_work_group_size: 1
    .uses_dynamic_stack: false
    .vgpr_count:     31
    .vgpr_spill_count: 0
    .wavefront_size: 64
  - .args:
      - .address_space:  global
        .offset:         0
        .size:           8
        .value_kind:     global_buffer
      - .address_space:  global
        .offset:         8
        .size:           8
        .value_kind:     global_buffer
      - .offset:         16
        .size:           4
        .value_kind:     hidden_block_count_x
      - .offset:         20
        .size:           4
        .value_kind:     hidden_block_count_y
      - .offset:         24
        .size:           4
        .value_kind:     hidden_block_count_z
      - .offset:         28
        .size:           2
        .value_kind:     hidden_group_size_x
      - .offset:         30
        .size:           2
        .value_kind:     hidden_group_size_y
      - .offset:         32
        .size:           2
        .value_kind:     hidden_group_size_z
      - .offset:         34
        .size:           2
        .value_kind:     hidden_remainder_x
      - .offset:         36
        .size:           2
        .value_kind:     hidden_remainder_y
      - .offset:         38
        .size:           2
        .value_kind:     hidden_remainder_z
      - .offset:         56
        .size:           8
        .value_kind:     hidden_global_offset_x
      - .offset:         64
        .size:           8
        .value_kind:     hidden_global_offset_y
      - .offset:         72
        .size:           8
        .value_kind:     hidden_global_offset_z
      - .offset:         80
        .size:           2
        .value_kind:     hidden_grid_dims
    .group_segment_fixed_size: 4608
    .kernarg_segment_align: 8
    .kernarg_segment_size: 272
    .language:       OpenCL C
    .language_version:
      - 2
      - 0
    .max_flat_workgroup_size: 192
    .name:           _Z17sort_pairs_kernelI22helper_blocked_stripedN15benchmark_utils11custom_typeIiiEELj192ELj3ELj10EEvPKT0_PS4_
    .private_segment_fixed_size: 0
    .sgpr_count:     49
    .sgpr_spill_count: 0
    .symbol:         _Z17sort_pairs_kernelI22helper_blocked_stripedN15benchmark_utils11custom_typeIiiEELj192ELj3ELj10EEvPKT0_PS4_.kd
    .uniform_work_group_size: 1
    .uses_dynamic_stack: false
    .vgpr_count:     39
    .vgpr_spill_count: 0
    .wavefront_size: 64
  - .args:
      - .address_space:  global
        .offset:         0
        .size:           8
        .value_kind:     global_buffer
      - .address_space:  global
        .offset:         8
        .size:           8
        .value_kind:     global_buffer
      - .offset:         16
        .size:           4
        .value_kind:     hidden_block_count_x
      - .offset:         20
        .size:           4
        .value_kind:     hidden_block_count_y
      - .offset:         24
        .size:           4
        .value_kind:     hidden_block_count_z
      - .offset:         28
        .size:           2
        .value_kind:     hidden_group_size_x
      - .offset:         30
        .size:           2
        .value_kind:     hidden_group_size_y
      - .offset:         32
        .size:           2
        .value_kind:     hidden_group_size_z
      - .offset:         34
        .size:           2
        .value_kind:     hidden_remainder_x
      - .offset:         36
        .size:           2
        .value_kind:     hidden_remainder_y
      - .offset:         38
        .size:           2
        .value_kind:     hidden_remainder_z
      - .offset:         56
        .size:           8
        .value_kind:     hidden_global_offset_x
      - .offset:         64
        .size:           8
        .value_kind:     hidden_global_offset_y
      - .offset:         72
        .size:           8
        .value_kind:     hidden_global_offset_z
      - .offset:         80
        .size:           2
        .value_kind:     hidden_grid_dims
    .group_segment_fixed_size: 6336
    .kernarg_segment_align: 8
    .kernarg_segment_size: 272
    .language:       OpenCL C
    .language_version:
      - 2
      - 0
    .max_flat_workgroup_size: 192
    .name:           _Z16sort_keys_kernelI22helper_blocked_stripedN15benchmark_utils11custom_typeIiiEELj192ELj4ELj10EEvPKT0_PS4_
    .private_segment_fixed_size: 0
    .sgpr_count:     55
    .sgpr_spill_count: 0
    .symbol:         _Z16sort_keys_kernelI22helper_blocked_stripedN15benchmark_utils11custom_typeIiiEELj192ELj4ELj10EEvPKT0_PS4_.kd
    .uniform_work_group_size: 1
    .uses_dynamic_stack: false
    .vgpr_count:     42
    .vgpr_spill_count: 0
    .wavefront_size: 64
  - .args:
      - .address_space:  global
        .offset:         0
        .size:           8
        .value_kind:     global_buffer
      - .address_space:  global
        .offset:         8
        .size:           8
        .value_kind:     global_buffer
      - .offset:         16
        .size:           4
        .value_kind:     hidden_block_count_x
      - .offset:         20
        .size:           4
        .value_kind:     hidden_block_count_y
      - .offset:         24
        .size:           4
        .value_kind:     hidden_block_count_z
      - .offset:         28
        .size:           2
        .value_kind:     hidden_group_size_x
      - .offset:         30
        .size:           2
        .value_kind:     hidden_group_size_y
      - .offset:         32
        .size:           2
        .value_kind:     hidden_group_size_z
      - .offset:         34
        .size:           2
        .value_kind:     hidden_remainder_x
      - .offset:         36
        .size:           2
        .value_kind:     hidden_remainder_y
      - .offset:         38
        .size:           2
        .value_kind:     hidden_remainder_z
      - .offset:         56
        .size:           8
        .value_kind:     hidden_global_offset_x
      - .offset:         64
        .size:           8
        .value_kind:     hidden_global_offset_y
      - .offset:         72
        .size:           8
        .value_kind:     hidden_global_offset_z
      - .offset:         80
        .size:           2
        .value_kind:     hidden_grid_dims
    .group_segment_fixed_size: 6336
    .kernarg_segment_align: 8
    .kernarg_segment_size: 272
    .language:       OpenCL C
    .language_version:
      - 2
      - 0
    .max_flat_workgroup_size: 192
    .name:           _Z17sort_pairs_kernelI22helper_blocked_stripedN15benchmark_utils11custom_typeIiiEELj192ELj4ELj10EEvPKT0_PS4_
    .private_segment_fixed_size: 0
    .sgpr_count:     55
    .sgpr_spill_count: 0
    .symbol:         _Z17sort_pairs_kernelI22helper_blocked_stripedN15benchmark_utils11custom_typeIiiEELj192ELj4ELj10EEvPKT0_PS4_.kd
    .uniform_work_group_size: 1
    .uses_dynamic_stack: false
    .vgpr_count:     53
    .vgpr_spill_count: 0
    .wavefront_size: 64
  - .args:
      - .address_space:  global
        .offset:         0
        .size:           8
        .value_kind:     global_buffer
      - .address_space:  global
        .offset:         8
        .size:           8
        .value_kind:     global_buffer
      - .offset:         16
        .size:           4
        .value_kind:     hidden_block_count_x
      - .offset:         20
        .size:           4
        .value_kind:     hidden_block_count_y
      - .offset:         24
        .size:           4
        .value_kind:     hidden_block_count_z
      - .offset:         28
        .size:           2
        .value_kind:     hidden_group_size_x
      - .offset:         30
        .size:           2
        .value_kind:     hidden_group_size_y
      - .offset:         32
        .size:           2
        .value_kind:     hidden_group_size_z
      - .offset:         34
        .size:           2
        .value_kind:     hidden_remainder_x
      - .offset:         36
        .size:           2
        .value_kind:     hidden_remainder_y
      - .offset:         38
        .size:           2
        .value_kind:     hidden_remainder_z
      - .offset:         56
        .size:           8
        .value_kind:     hidden_global_offset_x
      - .offset:         64
        .size:           8
        .value_kind:     hidden_global_offset_y
      - .offset:         72
        .size:           8
        .value_kind:     hidden_global_offset_z
      - .offset:         80
        .size:           2
        .value_kind:     hidden_grid_dims
    .group_segment_fixed_size: 12672
    .kernarg_segment_align: 8
    .kernarg_segment_size: 272
    .language:       OpenCL C
    .language_version:
      - 2
      - 0
    .max_flat_workgroup_size: 192
    .name:           _Z16sort_keys_kernelI22helper_blocked_stripedN15benchmark_utils11custom_typeIiiEELj192ELj8ELj10EEvPKT0_PS4_
    .private_segment_fixed_size: 0
    .sgpr_count:     49
    .sgpr_spill_count: 0
    .symbol:         _Z16sort_keys_kernelI22helper_blocked_stripedN15benchmark_utils11custom_typeIiiEELj192ELj8ELj10EEvPKT0_PS4_.kd
    .uniform_work_group_size: 1
    .uses_dynamic_stack: false
    .vgpr_count:     63
    .vgpr_spill_count: 0
    .wavefront_size: 64
  - .args:
      - .address_space:  global
        .offset:         0
        .size:           8
        .value_kind:     global_buffer
      - .address_space:  global
        .offset:         8
        .size:           8
        .value_kind:     global_buffer
      - .offset:         16
        .size:           4
        .value_kind:     hidden_block_count_x
      - .offset:         20
        .size:           4
        .value_kind:     hidden_block_count_y
      - .offset:         24
        .size:           4
        .value_kind:     hidden_block_count_z
      - .offset:         28
        .size:           2
        .value_kind:     hidden_group_size_x
      - .offset:         30
        .size:           2
        .value_kind:     hidden_group_size_y
      - .offset:         32
        .size:           2
        .value_kind:     hidden_group_size_z
      - .offset:         34
        .size:           2
        .value_kind:     hidden_remainder_x
      - .offset:         36
        .size:           2
        .value_kind:     hidden_remainder_y
      - .offset:         38
        .size:           2
        .value_kind:     hidden_remainder_z
      - .offset:         56
        .size:           8
        .value_kind:     hidden_global_offset_x
      - .offset:         64
        .size:           8
        .value_kind:     hidden_global_offset_y
      - .offset:         72
        .size:           8
        .value_kind:     hidden_global_offset_z
      - .offset:         80
        .size:           2
        .value_kind:     hidden_grid_dims
    .group_segment_fixed_size: 12672
    .kernarg_segment_align: 8
    .kernarg_segment_size: 272
    .language:       OpenCL C
    .language_version:
      - 2
      - 0
    .max_flat_workgroup_size: 192
    .name:           _Z17sort_pairs_kernelI22helper_blocked_stripedN15benchmark_utils11custom_typeIiiEELj192ELj8ELj10EEvPKT0_PS4_
    .private_segment_fixed_size: 0
    .sgpr_count:     49
    .sgpr_spill_count: 0
    .symbol:         _Z17sort_pairs_kernelI22helper_blocked_stripedN15benchmark_utils11custom_typeIiiEELj192ELj8ELj10EEvPKT0_PS4_.kd
    .uniform_work_group_size: 1
    .uses_dynamic_stack: false
    .vgpr_count:     90
    .vgpr_spill_count: 0
    .wavefront_size: 64
  - .args:
      - .address_space:  global
        .offset:         0
        .size:           8
        .value_kind:     global_buffer
      - .address_space:  global
        .offset:         8
        .size:           8
        .value_kind:     global_buffer
      - .offset:         16
        .size:           4
        .value_kind:     hidden_block_count_x
      - .offset:         20
        .size:           4
        .value_kind:     hidden_block_count_y
      - .offset:         24
        .size:           4
        .value_kind:     hidden_block_count_z
      - .offset:         28
        .size:           2
        .value_kind:     hidden_group_size_x
      - .offset:         30
        .size:           2
        .value_kind:     hidden_group_size_y
      - .offset:         32
        .size:           2
        .value_kind:     hidden_group_size_z
      - .offset:         34
        .size:           2
        .value_kind:     hidden_remainder_x
      - .offset:         36
        .size:           2
        .value_kind:     hidden_remainder_y
      - .offset:         38
        .size:           2
        .value_kind:     hidden_remainder_z
      - .offset:         56
        .size:           8
        .value_kind:     hidden_global_offset_x
      - .offset:         64
        .size:           8
        .value_kind:     hidden_global_offset_y
      - .offset:         72
        .size:           8
        .value_kind:     hidden_global_offset_z
      - .offset:         80
        .size:           2
        .value_kind:     hidden_grid_dims
    .group_segment_fixed_size: 4112
    .kernarg_segment_align: 8
    .kernarg_segment_size: 272
    .language:       OpenCL C
    .language_version:
      - 2
      - 0
    .max_flat_workgroup_size: 256
    .name:           _Z16sort_keys_kernelI22helper_blocked_stripedN15benchmark_utils11custom_typeIiiEELj256ELj1ELj10EEvPKT0_PS4_
    .private_segment_fixed_size: 0
    .sgpr_count:     43
    .sgpr_spill_count: 0
    .symbol:         _Z16sort_keys_kernelI22helper_blocked_stripedN15benchmark_utils11custom_typeIiiEELj256ELj1ELj10EEvPKT0_PS4_.kd
    .uniform_work_group_size: 1
    .uses_dynamic_stack: false
    .vgpr_count:     33
    .vgpr_spill_count: 0
    .wavefront_size: 64
  - .args:
      - .address_space:  global
        .offset:         0
        .size:           8
        .value_kind:     global_buffer
      - .address_space:  global
        .offset:         8
        .size:           8
        .value_kind:     global_buffer
      - .offset:         16
        .size:           4
        .value_kind:     hidden_block_count_x
      - .offset:         20
        .size:           4
        .value_kind:     hidden_block_count_y
      - .offset:         24
        .size:           4
        .value_kind:     hidden_block_count_z
      - .offset:         28
        .size:           2
        .value_kind:     hidden_group_size_x
      - .offset:         30
        .size:           2
        .value_kind:     hidden_group_size_y
      - .offset:         32
        .size:           2
        .value_kind:     hidden_group_size_z
      - .offset:         34
        .size:           2
        .value_kind:     hidden_remainder_x
      - .offset:         36
        .size:           2
        .value_kind:     hidden_remainder_y
      - .offset:         38
        .size:           2
        .value_kind:     hidden_remainder_z
      - .offset:         56
        .size:           8
        .value_kind:     hidden_global_offset_x
      - .offset:         64
        .size:           8
        .value_kind:     hidden_global_offset_y
      - .offset:         72
        .size:           8
        .value_kind:     hidden_global_offset_z
      - .offset:         80
        .size:           2
        .value_kind:     hidden_grid_dims
    .group_segment_fixed_size: 4112
    .kernarg_segment_align: 8
    .kernarg_segment_size: 272
    .language:       OpenCL C
    .language_version:
      - 2
      - 0
    .max_flat_workgroup_size: 256
    .name:           _Z17sort_pairs_kernelI22helper_blocked_stripedN15benchmark_utils11custom_typeIiiEELj256ELj1ELj10EEvPKT0_PS4_
    .private_segment_fixed_size: 0
    .sgpr_count:     49
    .sgpr_spill_count: 0
    .symbol:         _Z17sort_pairs_kernelI22helper_blocked_stripedN15benchmark_utils11custom_typeIiiEELj256ELj1ELj10EEvPKT0_PS4_.kd
    .uniform_work_group_size: 1
    .uses_dynamic_stack: false
    .vgpr_count:     31
    .vgpr_spill_count: 0
    .wavefront_size: 64
  - .args:
      - .address_space:  global
        .offset:         0
        .size:           8
        .value_kind:     global_buffer
      - .address_space:  global
        .offset:         8
        .size:           8
        .value_kind:     global_buffer
      - .offset:         16
        .size:           4
        .value_kind:     hidden_block_count_x
      - .offset:         20
        .size:           4
        .value_kind:     hidden_block_count_y
      - .offset:         24
        .size:           4
        .value_kind:     hidden_block_count_z
      - .offset:         28
        .size:           2
        .value_kind:     hidden_group_size_x
      - .offset:         30
        .size:           2
        .value_kind:     hidden_group_size_y
      - .offset:         32
        .size:           2
        .value_kind:     hidden_group_size_z
      - .offset:         34
        .size:           2
        .value_kind:     hidden_remainder_x
      - .offset:         36
        .size:           2
        .value_kind:     hidden_remainder_y
      - .offset:         38
        .size:           2
        .value_kind:     hidden_remainder_z
      - .offset:         56
        .size:           8
        .value_kind:     hidden_global_offset_x
      - .offset:         64
        .size:           8
        .value_kind:     hidden_global_offset_y
      - .offset:         72
        .size:           8
        .value_kind:     hidden_global_offset_z
      - .offset:         80
        .size:           2
        .value_kind:     hidden_grid_dims
    .group_segment_fixed_size: 6144
    .kernarg_segment_align: 8
    .kernarg_segment_size: 272
    .language:       OpenCL C
    .language_version:
      - 2
      - 0
    .max_flat_workgroup_size: 256
    .name:           _Z16sort_keys_kernelI22helper_blocked_stripedN15benchmark_utils11custom_typeIiiEELj256ELj3ELj10EEvPKT0_PS4_
    .private_segment_fixed_size: 0
    .sgpr_count:     49
    .sgpr_spill_count: 0
    .symbol:         _Z16sort_keys_kernelI22helper_blocked_stripedN15benchmark_utils11custom_typeIiiEELj256ELj3ELj10EEvPKT0_PS4_.kd
    .uniform_work_group_size: 1
    .uses_dynamic_stack: false
    .vgpr_count:     35
    .vgpr_spill_count: 0
    .wavefront_size: 64
  - .args:
      - .address_space:  global
        .offset:         0
        .size:           8
        .value_kind:     global_buffer
      - .address_space:  global
        .offset:         8
        .size:           8
        .value_kind:     global_buffer
      - .offset:         16
        .size:           4
        .value_kind:     hidden_block_count_x
      - .offset:         20
        .size:           4
        .value_kind:     hidden_block_count_y
      - .offset:         24
        .size:           4
        .value_kind:     hidden_block_count_z
      - .offset:         28
        .size:           2
        .value_kind:     hidden_group_size_x
      - .offset:         30
        .size:           2
        .value_kind:     hidden_group_size_y
      - .offset:         32
        .size:           2
        .value_kind:     hidden_group_size_z
      - .offset:         34
        .size:           2
        .value_kind:     hidden_remainder_x
      - .offset:         36
        .size:           2
        .value_kind:     hidden_remainder_y
      - .offset:         38
        .size:           2
        .value_kind:     hidden_remainder_z
      - .offset:         56
        .size:           8
        .value_kind:     hidden_global_offset_x
      - .offset:         64
        .size:           8
        .value_kind:     hidden_global_offset_y
      - .offset:         72
        .size:           8
        .value_kind:     hidden_global_offset_z
      - .offset:         80
        .size:           2
        .value_kind:     hidden_grid_dims
    .group_segment_fixed_size: 6144
    .kernarg_segment_align: 8
    .kernarg_segment_size: 272
    .language:       OpenCL C
    .language_version:
      - 2
      - 0
    .max_flat_workgroup_size: 256
    .name:           _Z17sort_pairs_kernelI22helper_blocked_stripedN15benchmark_utils11custom_typeIiiEELj256ELj3ELj10EEvPKT0_PS4_
    .private_segment_fixed_size: 0
    .sgpr_count:     49
    .sgpr_spill_count: 0
    .symbol:         _Z17sort_pairs_kernelI22helper_blocked_stripedN15benchmark_utils11custom_typeIiiEELj256ELj3ELj10EEvPKT0_PS4_.kd
    .uniform_work_group_size: 1
    .uses_dynamic_stack: false
    .vgpr_count:     43
    .vgpr_spill_count: 0
    .wavefront_size: 64
  - .args:
      - .address_space:  global
        .offset:         0
        .size:           8
        .value_kind:     global_buffer
      - .address_space:  global
        .offset:         8
        .size:           8
        .value_kind:     global_buffer
      - .offset:         16
        .size:           4
        .value_kind:     hidden_block_count_x
      - .offset:         20
        .size:           4
        .value_kind:     hidden_block_count_y
      - .offset:         24
        .size:           4
        .value_kind:     hidden_block_count_z
      - .offset:         28
        .size:           2
        .value_kind:     hidden_group_size_x
      - .offset:         30
        .size:           2
        .value_kind:     hidden_group_size_y
      - .offset:         32
        .size:           2
        .value_kind:     hidden_group_size_z
      - .offset:         34
        .size:           2
        .value_kind:     hidden_remainder_x
      - .offset:         36
        .size:           2
        .value_kind:     hidden_remainder_y
      - .offset:         38
        .size:           2
        .value_kind:     hidden_remainder_z
      - .offset:         56
        .size:           8
        .value_kind:     hidden_global_offset_x
      - .offset:         64
        .size:           8
        .value_kind:     hidden_global_offset_y
      - .offset:         72
        .size:           8
        .value_kind:     hidden_global_offset_z
      - .offset:         80
        .size:           2
        .value_kind:     hidden_grid_dims
    .group_segment_fixed_size: 8192
    .kernarg_segment_align: 8
    .kernarg_segment_size: 272
    .language:       OpenCL C
    .language_version:
      - 2
      - 0
    .max_flat_workgroup_size: 256
    .name:           _Z16sort_keys_kernelI22helper_blocked_stripedN15benchmark_utils11custom_typeIiiEELj256ELj4ELj10EEvPKT0_PS4_
    .private_segment_fixed_size: 0
    .sgpr_count:     55
    .sgpr_spill_count: 0
    .symbol:         _Z16sort_keys_kernelI22helper_blocked_stripedN15benchmark_utils11custom_typeIiiEELj256ELj4ELj10EEvPKT0_PS4_.kd
    .uniform_work_group_size: 1
    .uses_dynamic_stack: false
    .vgpr_count:     43
    .vgpr_spill_count: 0
    .wavefront_size: 64
  - .args:
      - .address_space:  global
        .offset:         0
        .size:           8
        .value_kind:     global_buffer
      - .address_space:  global
        .offset:         8
        .size:           8
        .value_kind:     global_buffer
      - .offset:         16
        .size:           4
        .value_kind:     hidden_block_count_x
      - .offset:         20
        .size:           4
        .value_kind:     hidden_block_count_y
      - .offset:         24
        .size:           4
        .value_kind:     hidden_block_count_z
      - .offset:         28
        .size:           2
        .value_kind:     hidden_group_size_x
      - .offset:         30
        .size:           2
        .value_kind:     hidden_group_size_y
      - .offset:         32
        .size:           2
        .value_kind:     hidden_group_size_z
      - .offset:         34
        .size:           2
        .value_kind:     hidden_remainder_x
      - .offset:         36
        .size:           2
        .value_kind:     hidden_remainder_y
      - .offset:         38
        .size:           2
        .value_kind:     hidden_remainder_z
      - .offset:         56
        .size:           8
        .value_kind:     hidden_global_offset_x
      - .offset:         64
        .size:           8
        .value_kind:     hidden_global_offset_y
      - .offset:         72
        .size:           8
        .value_kind:     hidden_global_offset_z
      - .offset:         80
        .size:           2
        .value_kind:     hidden_grid_dims
    .group_segment_fixed_size: 8192
    .kernarg_segment_align: 8
    .kernarg_segment_size: 272
    .language:       OpenCL C
    .language_version:
      - 2
      - 0
    .max_flat_workgroup_size: 256
    .name:           _Z17sort_pairs_kernelI22helper_blocked_stripedN15benchmark_utils11custom_typeIiiEELj256ELj4ELj10EEvPKT0_PS4_
    .private_segment_fixed_size: 0
    .sgpr_count:     55
    .sgpr_spill_count: 0
    .symbol:         _Z17sort_pairs_kernelI22helper_blocked_stripedN15benchmark_utils11custom_typeIiiEELj256ELj4ELj10EEvPKT0_PS4_.kd
    .uniform_work_group_size: 1
    .uses_dynamic_stack: false
    .vgpr_count:     54
    .vgpr_spill_count: 0
    .wavefront_size: 64
  - .args:
      - .address_space:  global
        .offset:         0
        .size:           8
        .value_kind:     global_buffer
      - .address_space:  global
        .offset:         8
        .size:           8
        .value_kind:     global_buffer
      - .offset:         16
        .size:           4
        .value_kind:     hidden_block_count_x
      - .offset:         20
        .size:           4
        .value_kind:     hidden_block_count_y
      - .offset:         24
        .size:           4
        .value_kind:     hidden_block_count_z
      - .offset:         28
        .size:           2
        .value_kind:     hidden_group_size_x
      - .offset:         30
        .size:           2
        .value_kind:     hidden_group_size_y
      - .offset:         32
        .size:           2
        .value_kind:     hidden_group_size_z
      - .offset:         34
        .size:           2
        .value_kind:     hidden_remainder_x
      - .offset:         36
        .size:           2
        .value_kind:     hidden_remainder_y
      - .offset:         38
        .size:           2
        .value_kind:     hidden_remainder_z
      - .offset:         56
        .size:           8
        .value_kind:     hidden_global_offset_x
      - .offset:         64
        .size:           8
        .value_kind:     hidden_global_offset_y
      - .offset:         72
        .size:           8
        .value_kind:     hidden_global_offset_z
      - .offset:         80
        .size:           2
        .value_kind:     hidden_grid_dims
    .group_segment_fixed_size: 16384
    .kernarg_segment_align: 8
    .kernarg_segment_size: 272
    .language:       OpenCL C
    .language_version:
      - 2
      - 0
    .max_flat_workgroup_size: 256
    .name:           _Z16sort_keys_kernelI22helper_blocked_stripedN15benchmark_utils11custom_typeIiiEELj256ELj8ELj10EEvPKT0_PS4_
    .private_segment_fixed_size: 0
    .sgpr_count:     49
    .sgpr_spill_count: 0
    .symbol:         _Z16sort_keys_kernelI22helper_blocked_stripedN15benchmark_utils11custom_typeIiiEELj256ELj8ELj10EEvPKT0_PS4_.kd
    .uniform_work_group_size: 1
    .uses_dynamic_stack: false
    .vgpr_count:     60
    .vgpr_spill_count: 0
    .wavefront_size: 64
  - .args:
      - .address_space:  global
        .offset:         0
        .size:           8
        .value_kind:     global_buffer
      - .address_space:  global
        .offset:         8
        .size:           8
        .value_kind:     global_buffer
      - .offset:         16
        .size:           4
        .value_kind:     hidden_block_count_x
      - .offset:         20
        .size:           4
        .value_kind:     hidden_block_count_y
      - .offset:         24
        .size:           4
        .value_kind:     hidden_block_count_z
      - .offset:         28
        .size:           2
        .value_kind:     hidden_group_size_x
      - .offset:         30
        .size:           2
        .value_kind:     hidden_group_size_y
      - .offset:         32
        .size:           2
        .value_kind:     hidden_group_size_z
      - .offset:         34
        .size:           2
        .value_kind:     hidden_remainder_x
      - .offset:         36
        .size:           2
        .value_kind:     hidden_remainder_y
      - .offset:         38
        .size:           2
        .value_kind:     hidden_remainder_z
      - .offset:         56
        .size:           8
        .value_kind:     hidden_global_offset_x
      - .offset:         64
        .size:           8
        .value_kind:     hidden_global_offset_y
      - .offset:         72
        .size:           8
        .value_kind:     hidden_global_offset_z
      - .offset:         80
        .size:           2
        .value_kind:     hidden_grid_dims
    .group_segment_fixed_size: 16384
    .kernarg_segment_align: 8
    .kernarg_segment_size: 272
    .language:       OpenCL C
    .language_version:
      - 2
      - 0
    .max_flat_workgroup_size: 256
    .name:           _Z17sort_pairs_kernelI22helper_blocked_stripedN15benchmark_utils11custom_typeIiiEELj256ELj8ELj10EEvPKT0_PS4_
    .private_segment_fixed_size: 0
    .sgpr_count:     49
    .sgpr_spill_count: 0
    .symbol:         _Z17sort_pairs_kernelI22helper_blocked_stripedN15benchmark_utils11custom_typeIiiEELj256ELj8ELj10EEvPKT0_PS4_.kd
    .uniform_work_group_size: 1
    .uses_dynamic_stack: false
    .vgpr_count:     87
    .vgpr_spill_count: 0
    .wavefront_size: 64
  - .args:
      - .address_space:  global
        .offset:         0
        .size:           8
        .value_kind:     global_buffer
      - .address_space:  global
        .offset:         8
        .size:           8
        .value_kind:     global_buffer
      - .offset:         16
        .size:           4
        .value_kind:     hidden_block_count_x
      - .offset:         20
        .size:           4
        .value_kind:     hidden_block_count_y
      - .offset:         24
        .size:           4
        .value_kind:     hidden_block_count_z
      - .offset:         28
        .size:           2
        .value_kind:     hidden_group_size_x
      - .offset:         30
        .size:           2
        .value_kind:     hidden_group_size_y
      - .offset:         32
        .size:           2
        .value_kind:     hidden_group_size_z
      - .offset:         34
        .size:           2
        .value_kind:     hidden_remainder_x
      - .offset:         36
        .size:           2
        .value_kind:     hidden_remainder_y
      - .offset:         38
        .size:           2
        .value_kind:     hidden_remainder_z
      - .offset:         56
        .size:           8
        .value_kind:     hidden_global_offset_x
      - .offset:         64
        .size:           8
        .value_kind:     hidden_global_offset_y
      - .offset:         72
        .size:           8
        .value_kind:     hidden_global_offset_z
      - .offset:         80
        .size:           2
        .value_kind:     hidden_grid_dims
    .group_segment_fixed_size: 5152
    .kernarg_segment_align: 8
    .kernarg_segment_size: 272
    .language:       OpenCL C
    .language_version:
      - 2
      - 0
    .max_flat_workgroup_size: 320
    .name:           _Z16sort_keys_kernelI22helper_blocked_stripedN15benchmark_utils11custom_typeIiiEELj320ELj1ELj10EEvPKT0_PS4_
    .private_segment_fixed_size: 0
    .sgpr_count:     41
    .sgpr_spill_count: 0
    .symbol:         _Z16sort_keys_kernelI22helper_blocked_stripedN15benchmark_utils11custom_typeIiiEELj320ELj1ELj10EEvPKT0_PS4_.kd
    .uniform_work_group_size: 1
    .uses_dynamic_stack: false
    .vgpr_count:     29
    .vgpr_spill_count: 0
    .wavefront_size: 64
  - .args:
      - .address_space:  global
        .offset:         0
        .size:           8
        .value_kind:     global_buffer
      - .address_space:  global
        .offset:         8
        .size:           8
        .value_kind:     global_buffer
      - .offset:         16
        .size:           4
        .value_kind:     hidden_block_count_x
      - .offset:         20
        .size:           4
        .value_kind:     hidden_block_count_y
      - .offset:         24
        .size:           4
        .value_kind:     hidden_block_count_z
      - .offset:         28
        .size:           2
        .value_kind:     hidden_group_size_x
      - .offset:         30
        .size:           2
        .value_kind:     hidden_group_size_y
      - .offset:         32
        .size:           2
        .value_kind:     hidden_group_size_z
      - .offset:         34
        .size:           2
        .value_kind:     hidden_remainder_x
      - .offset:         36
        .size:           2
        .value_kind:     hidden_remainder_y
      - .offset:         38
        .size:           2
        .value_kind:     hidden_remainder_z
      - .offset:         56
        .size:           8
        .value_kind:     hidden_global_offset_x
      - .offset:         64
        .size:           8
        .value_kind:     hidden_global_offset_y
      - .offset:         72
        .size:           8
        .value_kind:     hidden_global_offset_z
      - .offset:         80
        .size:           2
        .value_kind:     hidden_grid_dims
    .group_segment_fixed_size: 5152
    .kernarg_segment_align: 8
    .kernarg_segment_size: 272
    .language:       OpenCL C
    .language_version:
      - 2
      - 0
    .max_flat_workgroup_size: 320
    .name:           _Z17sort_pairs_kernelI22helper_blocked_stripedN15benchmark_utils11custom_typeIiiEELj320ELj1ELj10EEvPKT0_PS4_
    .private_segment_fixed_size: 0
    .sgpr_count:     47
    .sgpr_spill_count: 0
    .symbol:         _Z17sort_pairs_kernelI22helper_blocked_stripedN15benchmark_utils11custom_typeIiiEELj320ELj1ELj10EEvPKT0_PS4_.kd
    .uniform_work_group_size: 1
    .uses_dynamic_stack: false
    .vgpr_count:     27
    .vgpr_spill_count: 0
    .wavefront_size: 64
  - .args:
      - .address_space:  global
        .offset:         0
        .size:           8
        .value_kind:     global_buffer
      - .address_space:  global
        .offset:         8
        .size:           8
        .value_kind:     global_buffer
      - .offset:         16
        .size:           4
        .value_kind:     hidden_block_count_x
      - .offset:         20
        .size:           4
        .value_kind:     hidden_block_count_y
      - .offset:         24
        .size:           4
        .value_kind:     hidden_block_count_z
      - .offset:         28
        .size:           2
        .value_kind:     hidden_group_size_x
      - .offset:         30
        .size:           2
        .value_kind:     hidden_group_size_y
      - .offset:         32
        .size:           2
        .value_kind:     hidden_group_size_z
      - .offset:         34
        .size:           2
        .value_kind:     hidden_remainder_x
      - .offset:         36
        .size:           2
        .value_kind:     hidden_remainder_y
      - .offset:         38
        .size:           2
        .value_kind:     hidden_remainder_z
      - .offset:         56
        .size:           8
        .value_kind:     hidden_global_offset_x
      - .offset:         64
        .size:           8
        .value_kind:     hidden_global_offset_y
      - .offset:         72
        .size:           8
        .value_kind:     hidden_global_offset_z
      - .offset:         80
        .size:           2
        .value_kind:     hidden_grid_dims
    .group_segment_fixed_size: 7680
    .kernarg_segment_align: 8
    .kernarg_segment_size: 272
    .language:       OpenCL C
    .language_version:
      - 2
      - 0
    .max_flat_workgroup_size: 320
    .name:           _Z16sort_keys_kernelI22helper_blocked_stripedN15benchmark_utils11custom_typeIiiEELj320ELj3ELj10EEvPKT0_PS4_
    .private_segment_fixed_size: 0
    .sgpr_count:     51
    .sgpr_spill_count: 0
    .symbol:         _Z16sort_keys_kernelI22helper_blocked_stripedN15benchmark_utils11custom_typeIiiEELj320ELj3ELj10EEvPKT0_PS4_.kd
    .uniform_work_group_size: 1
    .uses_dynamic_stack: false
    .vgpr_count:     31
    .vgpr_spill_count: 0
    .wavefront_size: 64
  - .args:
      - .address_space:  global
        .offset:         0
        .size:           8
        .value_kind:     global_buffer
      - .address_space:  global
        .offset:         8
        .size:           8
        .value_kind:     global_buffer
      - .offset:         16
        .size:           4
        .value_kind:     hidden_block_count_x
      - .offset:         20
        .size:           4
        .value_kind:     hidden_block_count_y
      - .offset:         24
        .size:           4
        .value_kind:     hidden_block_count_z
      - .offset:         28
        .size:           2
        .value_kind:     hidden_group_size_x
      - .offset:         30
        .size:           2
        .value_kind:     hidden_group_size_y
      - .offset:         32
        .size:           2
        .value_kind:     hidden_group_size_z
      - .offset:         34
        .size:           2
        .value_kind:     hidden_remainder_x
      - .offset:         36
        .size:           2
        .value_kind:     hidden_remainder_y
      - .offset:         38
        .size:           2
        .value_kind:     hidden_remainder_z
      - .offset:         56
        .size:           8
        .value_kind:     hidden_global_offset_x
      - .offset:         64
        .size:           8
        .value_kind:     hidden_global_offset_y
      - .offset:         72
        .size:           8
        .value_kind:     hidden_global_offset_z
      - .offset:         80
        .size:           2
        .value_kind:     hidden_grid_dims
    .group_segment_fixed_size: 7680
    .kernarg_segment_align: 8
    .kernarg_segment_size: 272
    .language:       OpenCL C
    .language_version:
      - 2
      - 0
    .max_flat_workgroup_size: 320
    .name:           _Z17sort_pairs_kernelI22helper_blocked_stripedN15benchmark_utils11custom_typeIiiEELj320ELj3ELj10EEvPKT0_PS4_
    .private_segment_fixed_size: 0
    .sgpr_count:     51
    .sgpr_spill_count: 0
    .symbol:         _Z17sort_pairs_kernelI22helper_blocked_stripedN15benchmark_utils11custom_typeIiiEELj320ELj3ELj10EEvPKT0_PS4_.kd
    .uniform_work_group_size: 1
    .uses_dynamic_stack: false
    .vgpr_count:     39
    .vgpr_spill_count: 0
    .wavefront_size: 64
  - .args:
      - .address_space:  global
        .offset:         0
        .size:           8
        .value_kind:     global_buffer
      - .address_space:  global
        .offset:         8
        .size:           8
        .value_kind:     global_buffer
      - .offset:         16
        .size:           4
        .value_kind:     hidden_block_count_x
      - .offset:         20
        .size:           4
        .value_kind:     hidden_block_count_y
      - .offset:         24
        .size:           4
        .value_kind:     hidden_block_count_z
      - .offset:         28
        .size:           2
        .value_kind:     hidden_group_size_x
      - .offset:         30
        .size:           2
        .value_kind:     hidden_group_size_y
      - .offset:         32
        .size:           2
        .value_kind:     hidden_group_size_z
      - .offset:         34
        .size:           2
        .value_kind:     hidden_remainder_x
      - .offset:         36
        .size:           2
        .value_kind:     hidden_remainder_y
      - .offset:         38
        .size:           2
        .value_kind:     hidden_remainder_z
      - .offset:         56
        .size:           8
        .value_kind:     hidden_global_offset_x
      - .offset:         64
        .size:           8
        .value_kind:     hidden_global_offset_y
      - .offset:         72
        .size:           8
        .value_kind:     hidden_global_offset_z
      - .offset:         80
        .size:           2
        .value_kind:     hidden_grid_dims
    .group_segment_fixed_size: 10560
    .kernarg_segment_align: 8
    .kernarg_segment_size: 272
    .language:       OpenCL C
    .language_version:
      - 2
      - 0
    .max_flat_workgroup_size: 320
    .name:           _Z16sort_keys_kernelI22helper_blocked_stripedN15benchmark_utils11custom_typeIiiEELj320ELj4ELj10EEvPKT0_PS4_
    .private_segment_fixed_size: 0
    .sgpr_count:     59
    .sgpr_spill_count: 0
    .symbol:         _Z16sort_keys_kernelI22helper_blocked_stripedN15benchmark_utils11custom_typeIiiEELj320ELj4ELj10EEvPKT0_PS4_.kd
    .uniform_work_group_size: 1
    .uses_dynamic_stack: false
    .vgpr_count:     42
    .vgpr_spill_count: 0
    .wavefront_size: 64
  - .args:
      - .address_space:  global
        .offset:         0
        .size:           8
        .value_kind:     global_buffer
      - .address_space:  global
        .offset:         8
        .size:           8
        .value_kind:     global_buffer
      - .offset:         16
        .size:           4
        .value_kind:     hidden_block_count_x
      - .offset:         20
        .size:           4
        .value_kind:     hidden_block_count_y
      - .offset:         24
        .size:           4
        .value_kind:     hidden_block_count_z
      - .offset:         28
        .size:           2
        .value_kind:     hidden_group_size_x
      - .offset:         30
        .size:           2
        .value_kind:     hidden_group_size_y
      - .offset:         32
        .size:           2
        .value_kind:     hidden_group_size_z
      - .offset:         34
        .size:           2
        .value_kind:     hidden_remainder_x
      - .offset:         36
        .size:           2
        .value_kind:     hidden_remainder_y
      - .offset:         38
        .size:           2
        .value_kind:     hidden_remainder_z
      - .offset:         56
        .size:           8
        .value_kind:     hidden_global_offset_x
      - .offset:         64
        .size:           8
        .value_kind:     hidden_global_offset_y
      - .offset:         72
        .size:           8
        .value_kind:     hidden_global_offset_z
      - .offset:         80
        .size:           2
        .value_kind:     hidden_grid_dims
    .group_segment_fixed_size: 10560
    .kernarg_segment_align: 8
    .kernarg_segment_size: 272
    .language:       OpenCL C
    .language_version:
      - 2
      - 0
    .max_flat_workgroup_size: 320
    .name:           _Z17sort_pairs_kernelI22helper_blocked_stripedN15benchmark_utils11custom_typeIiiEELj320ELj4ELj10EEvPKT0_PS4_
    .private_segment_fixed_size: 0
    .sgpr_count:     59
    .sgpr_spill_count: 0
    .symbol:         _Z17sort_pairs_kernelI22helper_blocked_stripedN15benchmark_utils11custom_typeIiiEELj320ELj4ELj10EEvPKT0_PS4_.kd
    .uniform_work_group_size: 1
    .uses_dynamic_stack: false
    .vgpr_count:     53
    .vgpr_spill_count: 0
    .wavefront_size: 64
  - .args:
      - .address_space:  global
        .offset:         0
        .size:           8
        .value_kind:     global_buffer
      - .address_space:  global
        .offset:         8
        .size:           8
        .value_kind:     global_buffer
      - .offset:         16
        .size:           4
        .value_kind:     hidden_block_count_x
      - .offset:         20
        .size:           4
        .value_kind:     hidden_block_count_y
      - .offset:         24
        .size:           4
        .value_kind:     hidden_block_count_z
      - .offset:         28
        .size:           2
        .value_kind:     hidden_group_size_x
      - .offset:         30
        .size:           2
        .value_kind:     hidden_group_size_y
      - .offset:         32
        .size:           2
        .value_kind:     hidden_group_size_z
      - .offset:         34
        .size:           2
        .value_kind:     hidden_remainder_x
      - .offset:         36
        .size:           2
        .value_kind:     hidden_remainder_y
      - .offset:         38
        .size:           2
        .value_kind:     hidden_remainder_z
      - .offset:         56
        .size:           8
        .value_kind:     hidden_global_offset_x
      - .offset:         64
        .size:           8
        .value_kind:     hidden_global_offset_y
      - .offset:         72
        .size:           8
        .value_kind:     hidden_global_offset_z
      - .offset:         80
        .size:           2
        .value_kind:     hidden_grid_dims
    .group_segment_fixed_size: 21120
    .kernarg_segment_align: 8
    .kernarg_segment_size: 272
    .language:       OpenCL C
    .language_version:
      - 2
      - 0
    .max_flat_workgroup_size: 320
    .name:           _Z16sort_keys_kernelI22helper_blocked_stripedN15benchmark_utils11custom_typeIiiEELj320ELj8ELj10EEvPKT0_PS4_
    .private_segment_fixed_size: 0
    .sgpr_count:     51
    .sgpr_spill_count: 0
    .symbol:         _Z16sort_keys_kernelI22helper_blocked_stripedN15benchmark_utils11custom_typeIiiEELj320ELj8ELj10EEvPKT0_PS4_.kd
    .uniform_work_group_size: 1
    .uses_dynamic_stack: false
    .vgpr_count:     63
    .vgpr_spill_count: 0
    .wavefront_size: 64
  - .args:
      - .address_space:  global
        .offset:         0
        .size:           8
        .value_kind:     global_buffer
      - .address_space:  global
        .offset:         8
        .size:           8
        .value_kind:     global_buffer
      - .offset:         16
        .size:           4
        .value_kind:     hidden_block_count_x
      - .offset:         20
        .size:           4
        .value_kind:     hidden_block_count_y
      - .offset:         24
        .size:           4
        .value_kind:     hidden_block_count_z
      - .offset:         28
        .size:           2
        .value_kind:     hidden_group_size_x
      - .offset:         30
        .size:           2
        .value_kind:     hidden_group_size_y
      - .offset:         32
        .size:           2
        .value_kind:     hidden_group_size_z
      - .offset:         34
        .size:           2
        .value_kind:     hidden_remainder_x
      - .offset:         36
        .size:           2
        .value_kind:     hidden_remainder_y
      - .offset:         38
        .size:           2
        .value_kind:     hidden_remainder_z
      - .offset:         56
        .size:           8
        .value_kind:     hidden_global_offset_x
      - .offset:         64
        .size:           8
        .value_kind:     hidden_global_offset_y
      - .offset:         72
        .size:           8
        .value_kind:     hidden_global_offset_z
      - .offset:         80
        .size:           2
        .value_kind:     hidden_grid_dims
    .group_segment_fixed_size: 21120
    .kernarg_segment_align: 8
    .kernarg_segment_size: 272
    .language:       OpenCL C
    .language_version:
      - 2
      - 0
    .max_flat_workgroup_size: 320
    .name:           _Z17sort_pairs_kernelI22helper_blocked_stripedN15benchmark_utils11custom_typeIiiEELj320ELj8ELj10EEvPKT0_PS4_
    .private_segment_fixed_size: 0
    .sgpr_count:     51
    .sgpr_spill_count: 0
    .symbol:         _Z17sort_pairs_kernelI22helper_blocked_stripedN15benchmark_utils11custom_typeIiiEELj320ELj8ELj10EEvPKT0_PS4_.kd
    .uniform_work_group_size: 1
    .uses_dynamic_stack: false
    .vgpr_count:     90
    .vgpr_spill_count: 0
    .wavefront_size: 64
  - .args:
      - .address_space:  global
        .offset:         0
        .size:           8
        .value_kind:     global_buffer
      - .address_space:  global
        .offset:         8
        .size:           8
        .value_kind:     global_buffer
      - .offset:         16
        .size:           4
        .value_kind:     hidden_block_count_x
      - .offset:         20
        .size:           4
        .value_kind:     hidden_block_count_y
      - .offset:         24
        .size:           4
        .value_kind:     hidden_block_count_z
      - .offset:         28
        .size:           2
        .value_kind:     hidden_group_size_x
      - .offset:         30
        .size:           2
        .value_kind:     hidden_group_size_y
      - .offset:         32
        .size:           2
        .value_kind:     hidden_group_size_z
      - .offset:         34
        .size:           2
        .value_kind:     hidden_remainder_x
      - .offset:         36
        .size:           2
        .value_kind:     hidden_remainder_y
      - .offset:         38
        .size:           2
        .value_kind:     hidden_remainder_z
      - .offset:         56
        .size:           8
        .value_kind:     hidden_global_offset_x
      - .offset:         64
        .size:           8
        .value_kind:     hidden_global_offset_y
      - .offset:         72
        .size:           8
        .value_kind:     hidden_global_offset_z
      - .offset:         80
        .size:           2
        .value_kind:     hidden_grid_dims
    .group_segment_fixed_size: 8224
    .kernarg_segment_align: 8
    .kernarg_segment_size: 272
    .language:       OpenCL C
    .language_version:
      - 2
      - 0
    .max_flat_workgroup_size: 512
    .name:           _Z16sort_keys_kernelI22helper_blocked_stripedN15benchmark_utils11custom_typeIiiEELj512ELj1ELj10EEvPKT0_PS4_
    .private_segment_fixed_size: 0
    .sgpr_count:     46
    .sgpr_spill_count: 0
    .symbol:         _Z16sort_keys_kernelI22helper_blocked_stripedN15benchmark_utils11custom_typeIiiEELj512ELj1ELj10EEvPKT0_PS4_.kd
    .uniform_work_group_size: 1
    .uses_dynamic_stack: false
    .vgpr_count:     33
    .vgpr_spill_count: 0
    .wavefront_size: 64
  - .args:
      - .address_space:  global
        .offset:         0
        .size:           8
        .value_kind:     global_buffer
      - .address_space:  global
        .offset:         8
        .size:           8
        .value_kind:     global_buffer
      - .offset:         16
        .size:           4
        .value_kind:     hidden_block_count_x
      - .offset:         20
        .size:           4
        .value_kind:     hidden_block_count_y
      - .offset:         24
        .size:           4
        .value_kind:     hidden_block_count_z
      - .offset:         28
        .size:           2
        .value_kind:     hidden_group_size_x
      - .offset:         30
        .size:           2
        .value_kind:     hidden_group_size_y
      - .offset:         32
        .size:           2
        .value_kind:     hidden_group_size_z
      - .offset:         34
        .size:           2
        .value_kind:     hidden_remainder_x
      - .offset:         36
        .size:           2
        .value_kind:     hidden_remainder_y
      - .offset:         38
        .size:           2
        .value_kind:     hidden_remainder_z
      - .offset:         56
        .size:           8
        .value_kind:     hidden_global_offset_x
      - .offset:         64
        .size:           8
        .value_kind:     hidden_global_offset_y
      - .offset:         72
        .size:           8
        .value_kind:     hidden_global_offset_z
      - .offset:         80
        .size:           2
        .value_kind:     hidden_grid_dims
    .group_segment_fixed_size: 8224
    .kernarg_segment_align: 8
    .kernarg_segment_size: 272
    .language:       OpenCL C
    .language_version:
      - 2
      - 0
    .max_flat_workgroup_size: 512
    .name:           _Z17sort_pairs_kernelI22helper_blocked_stripedN15benchmark_utils11custom_typeIiiEELj512ELj1ELj10EEvPKT0_PS4_
    .private_segment_fixed_size: 0
    .sgpr_count:     51
    .sgpr_spill_count: 0
    .symbol:         _Z17sort_pairs_kernelI22helper_blocked_stripedN15benchmark_utils11custom_typeIiiEELj512ELj1ELj10EEvPKT0_PS4_.kd
    .uniform_work_group_size: 1
    .uses_dynamic_stack: false
    .vgpr_count:     31
    .vgpr_spill_count: 0
    .wavefront_size: 64
  - .args:
      - .address_space:  global
        .offset:         0
        .size:           8
        .value_kind:     global_buffer
      - .address_space:  global
        .offset:         8
        .size:           8
        .value_kind:     global_buffer
      - .offset:         16
        .size:           4
        .value_kind:     hidden_block_count_x
      - .offset:         20
        .size:           4
        .value_kind:     hidden_block_count_y
      - .offset:         24
        .size:           4
        .value_kind:     hidden_block_count_z
      - .offset:         28
        .size:           2
        .value_kind:     hidden_group_size_x
      - .offset:         30
        .size:           2
        .value_kind:     hidden_group_size_y
      - .offset:         32
        .size:           2
        .value_kind:     hidden_group_size_z
      - .offset:         34
        .size:           2
        .value_kind:     hidden_remainder_x
      - .offset:         36
        .size:           2
        .value_kind:     hidden_remainder_y
      - .offset:         38
        .size:           2
        .value_kind:     hidden_remainder_z
      - .offset:         56
        .size:           8
        .value_kind:     hidden_global_offset_x
      - .offset:         64
        .size:           8
        .value_kind:     hidden_global_offset_y
      - .offset:         72
        .size:           8
        .value_kind:     hidden_global_offset_z
      - .offset:         80
        .size:           2
        .value_kind:     hidden_grid_dims
    .group_segment_fixed_size: 12288
    .kernarg_segment_align: 8
    .kernarg_segment_size: 272
    .language:       OpenCL C
    .language_version:
      - 2
      - 0
    .max_flat_workgroup_size: 512
    .name:           _Z16sort_keys_kernelI22helper_blocked_stripedN15benchmark_utils11custom_typeIiiEELj512ELj3ELj10EEvPKT0_PS4_
    .private_segment_fixed_size: 0
    .sgpr_count:     51
    .sgpr_spill_count: 0
    .symbol:         _Z16sort_keys_kernelI22helper_blocked_stripedN15benchmark_utils11custom_typeIiiEELj512ELj3ELj10EEvPKT0_PS4_.kd
    .uniform_work_group_size: 1
    .uses_dynamic_stack: false
    .vgpr_count:     35
    .vgpr_spill_count: 0
    .wavefront_size: 64
  - .args:
      - .address_space:  global
        .offset:         0
        .size:           8
        .value_kind:     global_buffer
      - .address_space:  global
        .offset:         8
        .size:           8
        .value_kind:     global_buffer
      - .offset:         16
        .size:           4
        .value_kind:     hidden_block_count_x
      - .offset:         20
        .size:           4
        .value_kind:     hidden_block_count_y
      - .offset:         24
        .size:           4
        .value_kind:     hidden_block_count_z
      - .offset:         28
        .size:           2
        .value_kind:     hidden_group_size_x
      - .offset:         30
        .size:           2
        .value_kind:     hidden_group_size_y
      - .offset:         32
        .size:           2
        .value_kind:     hidden_group_size_z
      - .offset:         34
        .size:           2
        .value_kind:     hidden_remainder_x
      - .offset:         36
        .size:           2
        .value_kind:     hidden_remainder_y
      - .offset:         38
        .size:           2
        .value_kind:     hidden_remainder_z
      - .offset:         56
        .size:           8
        .value_kind:     hidden_global_offset_x
      - .offset:         64
        .size:           8
        .value_kind:     hidden_global_offset_y
      - .offset:         72
        .size:           8
        .value_kind:     hidden_global_offset_z
      - .offset:         80
        .size:           2
        .value_kind:     hidden_grid_dims
    .group_segment_fixed_size: 12288
    .kernarg_segment_align: 8
    .kernarg_segment_size: 272
    .language:       OpenCL C
    .language_version:
      - 2
      - 0
    .max_flat_workgroup_size: 512
    .name:           _Z17sort_pairs_kernelI22helper_blocked_stripedN15benchmark_utils11custom_typeIiiEELj512ELj3ELj10EEvPKT0_PS4_
    .private_segment_fixed_size: 0
    .sgpr_count:     51
    .sgpr_spill_count: 0
    .symbol:         _Z17sort_pairs_kernelI22helper_blocked_stripedN15benchmark_utils11custom_typeIiiEELj512ELj3ELj10EEvPKT0_PS4_.kd
    .uniform_work_group_size: 1
    .uses_dynamic_stack: false
    .vgpr_count:     43
    .vgpr_spill_count: 0
    .wavefront_size: 64
  - .args:
      - .address_space:  global
        .offset:         0
        .size:           8
        .value_kind:     global_buffer
      - .address_space:  global
        .offset:         8
        .size:           8
        .value_kind:     global_buffer
      - .offset:         16
        .size:           4
        .value_kind:     hidden_block_count_x
      - .offset:         20
        .size:           4
        .value_kind:     hidden_block_count_y
      - .offset:         24
        .size:           4
        .value_kind:     hidden_block_count_z
      - .offset:         28
        .size:           2
        .value_kind:     hidden_group_size_x
      - .offset:         30
        .size:           2
        .value_kind:     hidden_group_size_y
      - .offset:         32
        .size:           2
        .value_kind:     hidden_group_size_z
      - .offset:         34
        .size:           2
        .value_kind:     hidden_remainder_x
      - .offset:         36
        .size:           2
        .value_kind:     hidden_remainder_y
      - .offset:         38
        .size:           2
        .value_kind:     hidden_remainder_z
      - .offset:         56
        .size:           8
        .value_kind:     hidden_global_offset_x
      - .offset:         64
        .size:           8
        .value_kind:     hidden_global_offset_y
      - .offset:         72
        .size:           8
        .value_kind:     hidden_global_offset_z
      - .offset:         80
        .size:           2
        .value_kind:     hidden_grid_dims
    .group_segment_fixed_size: 16384
    .kernarg_segment_align: 8
    .kernarg_segment_size: 272
    .language:       OpenCL C
    .language_version:
      - 2
      - 0
    .max_flat_workgroup_size: 512
    .name:           _Z16sort_keys_kernelI22helper_blocked_stripedN15benchmark_utils11custom_typeIiiEELj512ELj4ELj10EEvPKT0_PS4_
    .private_segment_fixed_size: 0
    .sgpr_count:     59
    .sgpr_spill_count: 0
    .symbol:         _Z16sort_keys_kernelI22helper_blocked_stripedN15benchmark_utils11custom_typeIiiEELj512ELj4ELj10EEvPKT0_PS4_.kd
    .uniform_work_group_size: 1
    .uses_dynamic_stack: false
    .vgpr_count:     43
    .vgpr_spill_count: 0
    .wavefront_size: 64
  - .args:
      - .address_space:  global
        .offset:         0
        .size:           8
        .value_kind:     global_buffer
      - .address_space:  global
        .offset:         8
        .size:           8
        .value_kind:     global_buffer
      - .offset:         16
        .size:           4
        .value_kind:     hidden_block_count_x
      - .offset:         20
        .size:           4
        .value_kind:     hidden_block_count_y
      - .offset:         24
        .size:           4
        .value_kind:     hidden_block_count_z
      - .offset:         28
        .size:           2
        .value_kind:     hidden_group_size_x
      - .offset:         30
        .size:           2
        .value_kind:     hidden_group_size_y
      - .offset:         32
        .size:           2
        .value_kind:     hidden_group_size_z
      - .offset:         34
        .size:           2
        .value_kind:     hidden_remainder_x
      - .offset:         36
        .size:           2
        .value_kind:     hidden_remainder_y
      - .offset:         38
        .size:           2
        .value_kind:     hidden_remainder_z
      - .offset:         56
        .size:           8
        .value_kind:     hidden_global_offset_x
      - .offset:         64
        .size:           8
        .value_kind:     hidden_global_offset_y
      - .offset:         72
        .size:           8
        .value_kind:     hidden_global_offset_z
      - .offset:         80
        .size:           2
        .value_kind:     hidden_grid_dims
    .group_segment_fixed_size: 16384
    .kernarg_segment_align: 8
    .kernarg_segment_size: 272
    .language:       OpenCL C
    .language_version:
      - 2
      - 0
    .max_flat_workgroup_size: 512
    .name:           _Z17sort_pairs_kernelI22helper_blocked_stripedN15benchmark_utils11custom_typeIiiEELj512ELj4ELj10EEvPKT0_PS4_
    .private_segment_fixed_size: 0
    .sgpr_count:     59
    .sgpr_spill_count: 0
    .symbol:         _Z17sort_pairs_kernelI22helper_blocked_stripedN15benchmark_utils11custom_typeIiiEELj512ELj4ELj10EEvPKT0_PS4_.kd
    .uniform_work_group_size: 1
    .uses_dynamic_stack: false
    .vgpr_count:     54
    .vgpr_spill_count: 0
    .wavefront_size: 64
  - .args:
      - .address_space:  global
        .offset:         0
        .size:           8
        .value_kind:     global_buffer
      - .address_space:  global
        .offset:         8
        .size:           8
        .value_kind:     global_buffer
      - .offset:         16
        .size:           4
        .value_kind:     hidden_block_count_x
      - .offset:         20
        .size:           4
        .value_kind:     hidden_block_count_y
      - .offset:         24
        .size:           4
        .value_kind:     hidden_block_count_z
      - .offset:         28
        .size:           2
        .value_kind:     hidden_group_size_x
      - .offset:         30
        .size:           2
        .value_kind:     hidden_group_size_y
      - .offset:         32
        .size:           2
        .value_kind:     hidden_group_size_z
      - .offset:         34
        .size:           2
        .value_kind:     hidden_remainder_x
      - .offset:         36
        .size:           2
        .value_kind:     hidden_remainder_y
      - .offset:         38
        .size:           2
        .value_kind:     hidden_remainder_z
      - .offset:         56
        .size:           8
        .value_kind:     hidden_global_offset_x
      - .offset:         64
        .size:           8
        .value_kind:     hidden_global_offset_y
      - .offset:         72
        .size:           8
        .value_kind:     hidden_global_offset_z
      - .offset:         80
        .size:           2
        .value_kind:     hidden_grid_dims
    .group_segment_fixed_size: 32768
    .kernarg_segment_align: 8
    .kernarg_segment_size: 272
    .language:       OpenCL C
    .language_version:
      - 2
      - 0
    .max_flat_workgroup_size: 512
    .name:           _Z16sort_keys_kernelI22helper_blocked_stripedN15benchmark_utils11custom_typeIiiEELj512ELj8ELj10EEvPKT0_PS4_
    .private_segment_fixed_size: 0
    .sgpr_count:     51
    .sgpr_spill_count: 0
    .symbol:         _Z16sort_keys_kernelI22helper_blocked_stripedN15benchmark_utils11custom_typeIiiEELj512ELj8ELj10EEvPKT0_PS4_.kd
    .uniform_work_group_size: 1
    .uses_dynamic_stack: false
    .vgpr_count:     60
    .vgpr_spill_count: 0
    .wavefront_size: 64
  - .args:
      - .address_space:  global
        .offset:         0
        .size:           8
        .value_kind:     global_buffer
      - .address_space:  global
        .offset:         8
        .size:           8
        .value_kind:     global_buffer
      - .offset:         16
        .size:           4
        .value_kind:     hidden_block_count_x
      - .offset:         20
        .size:           4
        .value_kind:     hidden_block_count_y
      - .offset:         24
        .size:           4
        .value_kind:     hidden_block_count_z
      - .offset:         28
        .size:           2
        .value_kind:     hidden_group_size_x
      - .offset:         30
        .size:           2
        .value_kind:     hidden_group_size_y
      - .offset:         32
        .size:           2
        .value_kind:     hidden_group_size_z
      - .offset:         34
        .size:           2
        .value_kind:     hidden_remainder_x
      - .offset:         36
        .size:           2
        .value_kind:     hidden_remainder_y
      - .offset:         38
        .size:           2
        .value_kind:     hidden_remainder_z
      - .offset:         56
        .size:           8
        .value_kind:     hidden_global_offset_x
      - .offset:         64
        .size:           8
        .value_kind:     hidden_global_offset_y
      - .offset:         72
        .size:           8
        .value_kind:     hidden_global_offset_z
      - .offset:         80
        .size:           2
        .value_kind:     hidden_grid_dims
    .group_segment_fixed_size: 32768
    .kernarg_segment_align: 8
    .kernarg_segment_size: 272
    .language:       OpenCL C
    .language_version:
      - 2
      - 0
    .max_flat_workgroup_size: 512
    .name:           _Z17sort_pairs_kernelI22helper_blocked_stripedN15benchmark_utils11custom_typeIiiEELj512ELj8ELj10EEvPKT0_PS4_
    .private_segment_fixed_size: 0
    .sgpr_count:     55
    .sgpr_spill_count: 0
    .symbol:         _Z17sort_pairs_kernelI22helper_blocked_stripedN15benchmark_utils11custom_typeIiiEELj512ELj8ELj10EEvPKT0_PS4_.kd
    .uniform_work_group_size: 1
    .uses_dynamic_stack: false
    .vgpr_count:     83
    .vgpr_spill_count: 0
    .wavefront_size: 64
amdhsa.target:   amdgcn-amd-amdhsa--gfx906
amdhsa.version:
  - 1
  - 2
...

	.end_amdgpu_metadata
